;; amdgpu-corpus repo=ROCm/rocSPARSE kind=compiled arch=gfx906 opt=O3
	.amdgcn_target "amdgcn-amd-amdhsa--gfx906"
	.amdhsa_code_object_version 6
	.section	.text._ZN9rocsparseL18bsrxmvn_4x4_kernelILj128ELj4EfiifffEEvT3_20rocsparse_direction_NS_24const_host_device_scalarIT1_EES1_PKS1_PKT2_SA_S7_PKT4_PKT5_S5_PT6_21rocsparse_index_base_b,"axG",@progbits,_ZN9rocsparseL18bsrxmvn_4x4_kernelILj128ELj4EfiifffEEvT3_20rocsparse_direction_NS_24const_host_device_scalarIT1_EES1_PKS1_PKT2_SA_S7_PKT4_PKT5_S5_PT6_21rocsparse_index_base_b,comdat
	.globl	_ZN9rocsparseL18bsrxmvn_4x4_kernelILj128ELj4EfiifffEEvT3_20rocsparse_direction_NS_24const_host_device_scalarIT1_EES1_PKS1_PKT2_SA_S7_PKT4_PKT5_S5_PT6_21rocsparse_index_base_b ; -- Begin function _ZN9rocsparseL18bsrxmvn_4x4_kernelILj128ELj4EfiifffEEvT3_20rocsparse_direction_NS_24const_host_device_scalarIT1_EES1_PKS1_PKT2_SA_S7_PKT4_PKT5_S5_PT6_21rocsparse_index_base_b
	.p2align	8
	.type	_ZN9rocsparseL18bsrxmvn_4x4_kernelILj128ELj4EfiifffEEvT3_20rocsparse_direction_NS_24const_host_device_scalarIT1_EES1_PKS1_PKT2_SA_S7_PKT4_PKT5_S5_PT6_21rocsparse_index_base_b,@function
_ZN9rocsparseL18bsrxmvn_4x4_kernelILj128ELj4EfiifffEEvT3_20rocsparse_direction_NS_24const_host_device_scalarIT1_EES1_PKS1_PKT2_SA_S7_PKT4_PKT5_S5_PT6_21rocsparse_index_base_b: ; @_ZN9rocsparseL18bsrxmvn_4x4_kernelILj128ELj4EfiifffEEvT3_20rocsparse_direction_NS_24const_host_device_scalarIT1_EES1_PKS1_PKT2_SA_S7_PKT4_PKT5_S5_PT6_21rocsparse_index_base_b
; %bb.0:
	s_load_dwordx2 s[20:21], s[4:5], 0x58
	s_load_dwordx2 s[18:19], s[4:5], 0x8
	;; [unrolled: 1-line block ×3, first 2 shown]
	s_waitcnt lgkmcnt(0)
	s_bitcmp1_b32 s21, 0
	s_cselect_b64 s[2:3], -1, 0
	s_xor_b64 s[0:1], s[2:3], -1
	s_and_b64 vcc, exec, s[2:3]
	s_cbranch_vccnz .LBB0_2
; %bb.1:
	s_load_dword s18, s[18:19], 0x0
.LBB0_2:
	s_andn2_b64 vcc, exec, s[0:1]
	s_cbranch_vccnz .LBB0_4
; %bb.3:
	s_load_dword s16, s[16:17], 0x0
.LBB0_4:
	s_waitcnt lgkmcnt(0)
	v_cmp_neq_f32_e64 s[0:1], s18, 0
	v_cmp_neq_f32_e64 s[2:3], s16, 1.0
	s_or_b64 s[0:1], s[0:1], s[2:3]
	s_andn2_b64 vcc, exec, s[0:1]
	s_cbranch_vccnz .LBB0_10
; %bb.5:
	s_load_dwordx2 s[8:9], s[4:5], 0x18
	s_load_dwordx2 s[0:1], s[4:5], 0x0
	v_lshrrev_b32_e32 v1, 2, v0
	v_lshl_or_b32 v4, s6, 5, v1
	s_mov_b64 s[2:3], 0
	s_waitcnt lgkmcnt(0)
	s_cmp_lg_u64 s[8:9], 0
	s_cbranch_scc0 .LBB0_11
; %bb.6:
	s_load_dword s6, s[4:5], 0x10
                                        ; implicit-def: $vgpr1
	s_waitcnt lgkmcnt(0)
	v_cmp_gt_i32_e32 vcc, s6, v4
	s_and_saveexec_b64 s[6:7], vcc
	s_xor_b64 s[6:7], exec, s[6:7]
	s_cbranch_execz .LBB0_8
; %bb.7:
	v_ashrrev_i32_e32 v5, 31, v4
	v_lshlrev_b64 v[1:2], 2, v[4:5]
	v_mov_b32_e32 v3, s9
	v_add_co_u32_e32 v1, vcc, s8, v1
	v_addc_co_u32_e32 v2, vcc, v3, v2, vcc
	global_load_dword v1, v[1:2], off
	s_mov_b64 s[2:3], exec
	s_waitcnt vmcnt(0)
	v_subrev_u32_e32 v1, s20, v1
.LBB0_8:
	s_or_b64 exec, exec, s[6:7]
	s_branch .LBB0_12
.LBB0_9:
	v_cmp_gt_i32_e32 vcc, s0, v4
	s_andn2_b64 s[2:3], s[2:3], exec
	s_and_b64 s[6:7], vcc, exec
	s_or_b64 s[2:3], s[2:3], s[6:7]
	s_and_saveexec_b64 s[6:7], s[2:3]
	s_cbranch_execnz .LBB0_13
.LBB0_10:
	s_endpgm
.LBB0_11:
                                        ; implicit-def: $vgpr1
	s_cbranch_execnz .LBB0_9
.LBB0_12:
	v_mov_b32_e32 v4, v1
	s_and_saveexec_b64 s[6:7], s[2:3]
	s_cbranch_execz .LBB0_10
.LBB0_13:
	s_load_dwordx8 s[8:15], s[4:5], 0x20
	v_ashrrev_i32_e32 v5, 31, v4
	v_lshlrev_b64 v[1:2], 2, v[4:5]
	v_and_b32_e32 v9, 3, v0
	s_load_dwordx2 s[6:7], s[4:5], 0x40
	s_waitcnt lgkmcnt(0)
	v_mov_b32_e32 v3, s9
	v_add_co_u32_e32 v5, vcc, s8, v1
	v_addc_co_u32_e32 v6, vcc, v3, v2, vcc
	v_add_co_u32_e32 v3, vcc, 4, v5
	global_load_dword v15, v[5:6], off
	v_addc_co_u32_e32 v5, vcc, 0, v6, vcc
	v_mov_b32_e32 v6, s11
	v_add_co_u32_e32 v1, vcc, s10, v1
	s_cmp_eq_u64 s[10:11], 0
	v_addc_co_u32_e32 v2, vcc, v6, v2, vcc
	s_cselect_b64 vcc, -1, 0
	v_cndmask_b32_e32 v2, v2, v5, vcc
	v_cndmask_b32_e32 v1, v1, v3, vcc
	global_load_dword v1, v[1:2], off
	v_mov_b32_e32 v5, s15
	s_cmp_eq_u32 s1, 1
	s_waitcnt vmcnt(1)
	v_subrev_u32_e32 v0, s20, v15
	v_add_u32_e32 v0, v0, v9
	s_waitcnt vmcnt(0)
	v_subrev_u32_e32 v10, s20, v1
	v_ashrrev_i32_e32 v1, 31, v0
	v_lshlrev_b64 v[2:3], 6, v[0:1]
	v_cmp_lt_i32_e64 s[0:1], v0, v10
	v_add_co_u32_e32 v2, vcc, s14, v2
	v_addc_co_u32_e32 v3, vcc, v5, v3, vcc
	s_cbranch_scc1 .LBB0_25
; %bb.14:
	v_mov_b32_e32 v11, 0
	v_mov_b32_e32 v12, 0
	;; [unrolled: 1-line block ×4, first 2 shown]
	s_and_saveexec_b64 s[8:9], s[0:1]
	s_cbranch_execz .LBB0_24
; %bb.15:
	v_add_u32_e32 v1, v15, v9
	v_subrev_u32_e32 v1, s20, v1
	v_add_u32_e32 v1, 4, v1
	v_max_i32_e32 v1, v1, v10
	v_not_b32_e32 v5, v15
	v_add3_u32 v1, s20, v1, v5
	v_sub_u32_e32 v1, v1, v9
	v_and_b32_e32 v5, 12, v1
	v_mov_b32_e32 v8, v3
	v_cmp_ne_u32_e32 vcc, 12, v5
	v_mov_b32_e32 v13, 0
	v_mov_b32_e32 v14, 0
	;; [unrolled: 1-line block ×6, first 2 shown]
	s_and_saveexec_b64 s[10:11], vcc
	s_cbranch_execz .LBB0_19
; %bb.16:
	v_lshrrev_b32_e32 v5, 2, v1
	v_add_u32_e32 v5, 1, v5
	v_and_b32_e32 v5, 3, v5
	v_mov_b32_e32 v8, v3
	v_sub_u32_e32 v16, 0, v5
	v_mov_b32_e32 v11, 0
	s_mov_b64 s[14:15], 0
	v_mov_b32_e32 v17, s13
	v_mov_b32_e32 v18, s7
	;; [unrolled: 1-line block ×7, first 2 shown]
.LBB0_17:                               ; =>This Inner Loop Header: Depth=1
	v_ashrrev_i32_e32 v6, 31, v5
	v_lshlrev_b64 v[27:28], 2, v[5:6]
	global_load_dwordx4 v[19:22], v[7:8], off
	global_load_dwordx4 v[23:26], v[7:8], off offset:16
	v_add_co_u32_e32 v27, vcc, s12, v27
	v_addc_co_u32_e32 v28, vcc, v17, v28, vcc
	global_load_dword v6, v[27:28], off
	v_add_co_u32_e64 v16, s[2:3], 1, v16
	v_add_u32_e32 v5, 4, v5
	s_or_b64 s[14:15], s[2:3], s[14:15]
	s_waitcnt vmcnt(0)
	v_subrev_u32_e32 v6, s20, v6
	v_lshlrev_b32_e32 v27, 2, v6
	v_ashrrev_i32_e32 v28, 31, v27
	v_lshlrev_b64 v[27:28], 2, v[27:28]
	v_add_co_u32_e32 v27, vcc, s6, v27
	v_addc_co_u32_e32 v28, vcc, v18, v28, vcc
	global_load_dwordx4 v[27:30], v[27:28], off
	s_waitcnt vmcnt(0)
	v_fmac_f32_e32 v13, v19, v27
	v_fmac_f32_e32 v14, v23, v27
	;; [unrolled: 1-line block ×7, first 2 shown]
	global_load_dwordx4 v[19:22], v[7:8], off offset:32
	v_fmac_f32_e32 v14, v26, v30
	global_load_dwordx4 v[23:26], v[7:8], off offset:48
	v_add_co_u32_e32 v7, vcc, 0x100, v7
	v_addc_co_u32_e32 v8, vcc, 0, v8, vcc
	s_waitcnt vmcnt(1)
	v_fmac_f32_e32 v12, v19, v27
	v_fmac_f32_e32 v12, v20, v28
	s_waitcnt vmcnt(0)
	v_fmac_f32_e32 v11, v23, v27
	v_fmac_f32_e32 v11, v24, v28
	;; [unrolled: 1-line block ×6, first 2 shown]
	s_andn2_b64 exec, exec, s[14:15]
	s_cbranch_execnz .LBB0_17
; %bb.18:
	s_or_b64 exec, exec, s[14:15]
.LBB0_19:
	s_or_b64 exec, exec, s[10:11]
	v_cmp_lt_u32_e32 vcc, 11, v1
	s_and_saveexec_b64 s[2:3], vcc
	s_cbranch_execz .LBB0_23
; %bb.20:
	s_mov_b64 s[10:11], 0
	v_mov_b32_e32 v1, s13
	v_mov_b32_e32 v16, s7
.LBB0_21:                               ; =>This Inner Loop Header: Depth=1
	v_ashrrev_i32_e32 v6, 31, v5
	v_lshlrev_b64 v[25:26], 2, v[5:6]
	global_load_dwordx4 v[17:20], v[7:8], off
	global_load_dwordx4 v[21:24], v[7:8], off offset:16
	v_add_co_u32_e32 v25, vcc, s12, v25
	v_addc_co_u32_e32 v26, vcc, v1, v26, vcc
	global_load_dword v6, v[25:26], off
	global_load_dword v27, v[25:26], off offset:16
	global_load_dword v37, v[25:26], off offset:32
	;; [unrolled: 1-line block ×3, first 2 shown]
	v_add_u32_e32 v5, 16, v5
	s_waitcnt vmcnt(3)
	v_subrev_u32_e32 v6, s20, v6
	s_waitcnt vmcnt(2)
	v_subrev_u32_e32 v26, s20, v27
	v_lshlrev_b32_e32 v25, 2, v6
	v_lshlrev_b32_e32 v27, 2, v26
	v_ashrrev_i32_e32 v26, 31, v25
	v_lshlrev_b64 v[25:26], 2, v[25:26]
	v_ashrrev_i32_e32 v28, 31, v27
	v_lshlrev_b64 v[27:28], 2, v[27:28]
	v_add_co_u32_e32 v33, vcc, s6, v25
	v_addc_co_u32_e32 v34, vcc, v16, v26, vcc
	v_add_co_u32_e32 v35, vcc, s6, v27
	v_addc_co_u32_e32 v36, vcc, v16, v28, vcc
	global_load_dwordx4 v[25:28], v[33:34], off
	global_load_dwordx4 v[29:32], v[35:36], off
	s_waitcnt vmcnt(3)
	v_subrev_u32_e32 v6, s20, v37
	s_waitcnt vmcnt(1)
	v_fmac_f32_e32 v13, v17, v25
	v_fmac_f32_e32 v14, v21, v25
	;; [unrolled: 1-line block ×8, first 2 shown]
	global_load_dwordx4 v[17:20], v[7:8], off offset:32
	global_load_dwordx4 v[21:24], v[7:8], off offset:48
	s_waitcnt vmcnt(1)
	v_fmac_f32_e32 v12, v17, v25
	s_waitcnt vmcnt(0)
	v_fmac_f32_e32 v11, v21, v25
	v_fmac_f32_e32 v12, v18, v26
	;; [unrolled: 1-line block ×7, first 2 shown]
	global_load_dwordx4 v[17:20], v[7:8], off offset:256
	global_load_dwordx4 v[21:24], v[7:8], off offset:272
	v_subrev_u32_e32 v26, s20, v38
	v_lshlrev_b32_e32 v25, 2, v6
	v_lshlrev_b32_e32 v27, 2, v26
	v_ashrrev_i32_e32 v26, 31, v25
	v_lshlrev_b64 v[25:26], 2, v[25:26]
	v_ashrrev_i32_e32 v28, 31, v27
	v_lshlrev_b64 v[27:28], 2, v[27:28]
	v_add_co_u32_e32 v33, vcc, s6, v25
	v_addc_co_u32_e32 v34, vcc, v16, v26, vcc
	v_add_co_u32_e32 v35, vcc, s6, v27
	v_addc_co_u32_e32 v36, vcc, v16, v28, vcc
	s_waitcnt vmcnt(1)
	v_fmac_f32_e32 v13, v17, v29
	v_fmac_f32_e32 v13, v18, v30
	s_waitcnt vmcnt(0)
	v_fmac_f32_e32 v14, v21, v29
	v_fmac_f32_e32 v13, v19, v31
	v_fmac_f32_e32 v14, v22, v30
	v_fmac_f32_e32 v13, v20, v32
	global_load_dwordx4 v[17:20], v[7:8], off offset:288
	v_fmac_f32_e32 v14, v23, v31
	v_fmac_f32_e32 v14, v24, v32
	global_load_dwordx4 v[21:24], v[7:8], off offset:304
	s_waitcnt vmcnt(1)
	v_fmac_f32_e32 v12, v17, v29
	v_fmac_f32_e32 v12, v18, v30
	;; [unrolled: 1-line block ×3, first 2 shown]
	s_waitcnt vmcnt(0)
	v_fmac_f32_e32 v11, v21, v29
	v_fmac_f32_e32 v11, v22, v30
	;; [unrolled: 1-line block ×3, first 2 shown]
	global_load_dwordx4 v[17:20], v[7:8], off offset:512
	v_fmac_f32_e32 v11, v23, v31
	v_fmac_f32_e32 v11, v24, v32
	global_load_dwordx4 v[21:24], v[7:8], off offset:528
	global_load_dwordx4 v[25:28], v[33:34], off
	global_load_dwordx4 v[29:32], v[35:36], off
	s_waitcnt vmcnt(1)
	v_fmac_f32_e32 v13, v17, v25
	v_fmac_f32_e32 v13, v18, v26
	;; [unrolled: 1-line block ×4, first 2 shown]
	global_load_dwordx4 v[17:20], v[7:8], off offset:544
	v_fmac_f32_e32 v14, v21, v25
	v_fmac_f32_e32 v14, v22, v26
	v_fmac_f32_e32 v14, v23, v27
	v_fmac_f32_e32 v14, v24, v28
	global_load_dwordx4 v[21:24], v[7:8], off offset:560
	s_waitcnt vmcnt(1)
	v_fmac_f32_e32 v12, v17, v25
	v_fmac_f32_e32 v12, v18, v26
	;; [unrolled: 1-line block ×4, first 2 shown]
	global_load_dwordx4 v[17:20], v[7:8], off offset:768
	s_waitcnt vmcnt(1)
	v_fmac_f32_e32 v11, v21, v25
	v_fmac_f32_e32 v11, v22, v26
	;; [unrolled: 1-line block ×4, first 2 shown]
	global_load_dwordx4 v[21:24], v[7:8], off offset:784
	global_load_dwordx4 v[25:28], v[7:8], off offset:800
	s_waitcnt vmcnt(2)
	v_fmac_f32_e32 v13, v17, v29
	v_fmac_f32_e32 v13, v18, v30
	;; [unrolled: 1-line block ×4, first 2 shown]
	global_load_dwordx4 v[17:20], v[7:8], off offset:816
	v_add_co_u32_e32 v7, vcc, 0x400, v7
	s_waitcnt vmcnt(2)
	v_fmac_f32_e32 v14, v21, v29
	s_waitcnt vmcnt(1)
	v_fmac_f32_e32 v12, v25, v29
	v_addc_co_u32_e32 v8, vcc, 0, v8, vcc
	v_fmac_f32_e32 v14, v22, v30
	v_fmac_f32_e32 v12, v26, v30
	v_cmp_ge_i32_e32 vcc, v5, v10
	v_fmac_f32_e32 v14, v23, v31
	v_fmac_f32_e32 v12, v27, v31
	s_or_b64 s[10:11], vcc, s[10:11]
	v_fmac_f32_e32 v14, v24, v32
	v_fmac_f32_e32 v12, v28, v32
	s_waitcnt vmcnt(0)
	v_fmac_f32_e32 v11, v17, v29
	v_fmac_f32_e32 v11, v18, v30
	;; [unrolled: 1-line block ×4, first 2 shown]
	s_andn2_b64 exec, exec, s[10:11]
	s_cbranch_execnz .LBB0_21
; %bb.22:
	s_or_b64 exec, exec, s[10:11]
.LBB0_23:
	s_or_b64 exec, exec, s[2:3]
.LBB0_24:
	s_or_b64 exec, exec, s[8:9]
	s_cbranch_execz .LBB0_26
	s_branch .LBB0_37
.LBB0_25:
                                        ; implicit-def: $vgpr11
                                        ; implicit-def: $vgpr12
                                        ; implicit-def: $vgpr14
                                        ; implicit-def: $vgpr13
.LBB0_26:
	v_mov_b32_e32 v11, 0
	v_mov_b32_e32 v12, 0
	;; [unrolled: 1-line block ×4, first 2 shown]
	s_and_saveexec_b64 s[2:3], s[0:1]
	s_cbranch_execz .LBB0_36
; %bb.27:
	v_add_u32_e32 v1, v15, v9
	v_subrev_u32_e32 v1, s20, v1
	v_add_u32_e32 v1, 4, v1
	v_max_i32_e32 v1, v1, v10
	v_not_b32_e32 v5, v15
	v_add3_u32 v1, s20, v1, v5
	v_sub_u32_e32 v5, v1, v9
	v_and_b32_e32 v1, 12, v5
	v_cmp_ne_u32_e32 vcc, 12, v1
	v_mov_b32_e32 v13, 0
	v_mov_b32_e32 v14, 0
	;; [unrolled: 1-line block ×4, first 2 shown]
	s_and_saveexec_b64 s[8:9], vcc
	s_cbranch_execz .LBB0_31
; %bb.28:
	v_lshrrev_b32_e32 v1, 2, v5
	v_add_u32_e32 v1, 1, v1
	v_and_b32_e32 v1, 3, v1
	v_sub_u32_e32 v6, 0, v1
	v_mov_b32_e32 v11, 0
	s_mov_b64 s[10:11], 0
	v_mov_b32_e32 v7, s13
	v_mov_b32_e32 v8, s7
	v_mov_b32_e32 v12, 0
	v_mov_b32_e32 v14, 0
	v_mov_b32_e32 v13, 0
.LBB0_29:                               ; =>This Inner Loop Header: Depth=1
	v_ashrrev_i32_e32 v1, 31, v0
	v_lshlrev_b64 v[27:28], 2, v[0:1]
	global_load_dwordx4 v[15:18], v[2:3], off offset:16
	global_load_dwordx4 v[19:22], v[2:3], off
	global_load_dwordx4 v[23:26], v[2:3], off offset:32
	v_add_co_u32_e32 v27, vcc, s12, v27
	v_addc_co_u32_e32 v28, vcc, v7, v28, vcc
	global_load_dword v1, v[27:28], off
	v_add_co_u32_e64 v6, s[0:1], 1, v6
	v_add_u32_e32 v0, 4, v0
	s_or_b64 s[10:11], s[0:1], s[10:11]
	s_waitcnt vmcnt(0)
	v_subrev_u32_e32 v1, s20, v1
	v_lshlrev_b32_e32 v27, 2, v1
	v_ashrrev_i32_e32 v28, 31, v27
	v_lshlrev_b64 v[27:28], 2, v[27:28]
	v_add_co_u32_e32 v27, vcc, s6, v27
	v_addc_co_u32_e32 v28, vcc, v8, v28, vcc
	global_load_dwordx4 v[27:30], v[27:28], off
	s_waitcnt vmcnt(0)
	v_fmac_f32_e32 v13, v19, v27
	v_fmac_f32_e32 v14, v20, v27
	;; [unrolled: 1-line block ×4, first 2 shown]
	global_load_dwordx4 v[19:22], v[2:3], off offset:48
	v_fmac_f32_e32 v13, v15, v28
	v_fmac_f32_e32 v14, v16, v28
	v_fmac_f32_e32 v12, v17, v28
	v_fmac_f32_e32 v11, v18, v28
	v_add_co_u32_e32 v2, vcc, 0x100, v2
	v_fmac_f32_e32 v13, v23, v29
	v_fmac_f32_e32 v14, v24, v29
	v_fmac_f32_e32 v12, v25, v29
	v_fmac_f32_e32 v11, v26, v29
	v_addc_co_u32_e32 v3, vcc, 0, v3, vcc
	s_waitcnt vmcnt(0)
	v_fmac_f32_e32 v13, v19, v30
	v_fmac_f32_e32 v14, v20, v30
	;; [unrolled: 1-line block ×4, first 2 shown]
	s_andn2_b64 exec, exec, s[10:11]
	s_cbranch_execnz .LBB0_29
; %bb.30:
	s_or_b64 exec, exec, s[10:11]
.LBB0_31:
	s_or_b64 exec, exec, s[8:9]
	v_cmp_lt_u32_e32 vcc, 11, v5
	s_and_saveexec_b64 s[0:1], vcc
	s_cbranch_execz .LBB0_35
; %bb.32:
	s_mov_b64 s[8:9], 0
	v_mov_b32_e32 v5, s13
	v_mov_b32_e32 v6, s7
.LBB0_33:                               ; =>This Inner Loop Header: Depth=1
	v_ashrrev_i32_e32 v1, 31, v0
	v_lshlrev_b64 v[7:8], 2, v[0:1]
	global_load_dwordx4 v[15:18], v[2:3], off
	global_load_dwordx4 v[19:22], v[2:3], off offset:16
	v_add_co_u32_e32 v7, vcc, s12, v7
	v_addc_co_u32_e32 v8, vcc, v5, v8, vcc
	global_load_dword v1, v[7:8], off
	global_load_dword v23, v[7:8], off offset:16
	global_load_dword v33, v[7:8], off offset:32
	;; [unrolled: 1-line block ×3, first 2 shown]
	v_add_u32_e32 v0, 16, v0
	s_waitcnt vmcnt(3)
	v_subrev_u32_e32 v1, s20, v1
	s_waitcnt vmcnt(2)
	v_subrev_u32_e32 v8, s20, v23
	v_lshlrev_b32_e32 v7, 2, v1
	v_lshlrev_b32_e32 v23, 2, v8
	v_ashrrev_i32_e32 v8, 31, v7
	v_lshlrev_b64 v[7:8], 2, v[7:8]
	v_ashrrev_i32_e32 v24, 31, v23
	v_lshlrev_b64 v[23:24], 2, v[23:24]
	v_add_co_u32_e32 v7, vcc, s6, v7
	v_addc_co_u32_e32 v8, vcc, v6, v8, vcc
	v_add_co_u32_e32 v31, vcc, s6, v23
	v_addc_co_u32_e32 v32, vcc, v6, v24, vcc
	global_load_dwordx4 v[23:26], v[7:8], off
	global_load_dwordx4 v[27:30], v[31:32], off
	s_waitcnt vmcnt(3)
	v_subrev_u32_e32 v1, s20, v33
	s_waitcnt vmcnt(2)
	v_subrev_u32_e32 v8, s20, v34
	v_lshlrev_b32_e32 v7, 2, v1
	s_waitcnt vmcnt(1)
	v_fmac_f32_e32 v13, v15, v23
	v_fmac_f32_e32 v14, v16, v23
	;; [unrolled: 1-line block ×8, first 2 shown]
	global_load_dwordx4 v[15:18], v[2:3], off offset:32
	global_load_dwordx4 v[19:22], v[2:3], off offset:48
	v_lshlrev_b32_e32 v23, 2, v8
	v_ashrrev_i32_e32 v8, 31, v7
	v_lshlrev_b64 v[7:8], 2, v[7:8]
	v_ashrrev_i32_e32 v24, 31, v23
	v_lshlrev_b64 v[23:24], 2, v[23:24]
	v_add_co_u32_e32 v7, vcc, s6, v7
	v_addc_co_u32_e32 v8, vcc, v6, v8, vcc
	v_add_co_u32_e32 v31, vcc, s6, v23
	v_addc_co_u32_e32 v32, vcc, v6, v24, vcc
	s_waitcnt vmcnt(1)
	v_fmac_f32_e32 v13, v15, v25
	v_fmac_f32_e32 v14, v16, v25
	;; [unrolled: 1-line block ×4, first 2 shown]
	s_waitcnt vmcnt(0)
	v_fmac_f32_e32 v13, v19, v26
	v_fmac_f32_e32 v14, v20, v26
	;; [unrolled: 1-line block ×4, first 2 shown]
	global_load_dwordx4 v[15:18], v[2:3], off offset:256
	global_load_dwordx4 v[19:22], v[2:3], off offset:272
	s_waitcnt vmcnt(1)
	v_fmac_f32_e32 v13, v15, v27
	v_fmac_f32_e32 v14, v16, v27
	v_fmac_f32_e32 v12, v17, v27
	v_fmac_f32_e32 v11, v18, v27
	global_load_dwordx4 v[15:18], v[2:3], off offset:288
	s_waitcnt vmcnt(1)
	v_fmac_f32_e32 v13, v19, v28
	v_fmac_f32_e32 v14, v20, v28
	v_fmac_f32_e32 v12, v21, v28
	v_fmac_f32_e32 v11, v22, v28
	;; [unrolled: 6-line block ×4, first 2 shown]
	global_load_dwordx4 v[19:22], v[2:3], off offset:528
	global_load_dwordx4 v[23:26], v[7:8], off
	global_load_dwordx4 v[27:30], v[31:32], off
	s_waitcnt vmcnt(1)
	v_fmac_f32_e32 v13, v15, v23
	v_fmac_f32_e32 v14, v16, v23
	;; [unrolled: 1-line block ×4, first 2 shown]
	global_load_dwordx4 v[15:18], v[2:3], off offset:544
	v_fmac_f32_e32 v13, v19, v24
	v_fmac_f32_e32 v14, v20, v24
	;; [unrolled: 1-line block ×4, first 2 shown]
	global_load_dwordx4 v[19:22], v[2:3], off offset:560
	s_waitcnt vmcnt(1)
	v_fmac_f32_e32 v13, v15, v25
	v_fmac_f32_e32 v14, v16, v25
	;; [unrolled: 1-line block ×4, first 2 shown]
	global_load_dwordx4 v[15:18], v[2:3], off offset:768
	s_waitcnt vmcnt(1)
	v_fmac_f32_e32 v13, v19, v26
	v_fmac_f32_e32 v14, v20, v26
	;; [unrolled: 1-line block ×4, first 2 shown]
	global_load_dwordx4 v[19:22], v[2:3], off offset:784
	global_load_dwordx4 v[23:26], v[2:3], off offset:800
	s_waitcnt vmcnt(2)
	v_fmac_f32_e32 v13, v15, v27
	v_fmac_f32_e32 v14, v16, v27
	;; [unrolled: 1-line block ×4, first 2 shown]
	global_load_dwordx4 v[15:18], v[2:3], off offset:816
	v_add_co_u32_e32 v2, vcc, 0x400, v2
	v_addc_co_u32_e32 v3, vcc, 0, v3, vcc
	s_waitcnt vmcnt(2)
	v_fmac_f32_e32 v13, v19, v28
	v_fmac_f32_e32 v14, v20, v28
	;; [unrolled: 1-line block ×4, first 2 shown]
	v_cmp_ge_i32_e32 vcc, v0, v10
	s_waitcnt vmcnt(1)
	v_fmac_f32_e32 v13, v23, v29
	v_fmac_f32_e32 v14, v24, v29
	;; [unrolled: 1-line block ×4, first 2 shown]
	s_or_b64 s[8:9], vcc, s[8:9]
	s_waitcnt vmcnt(0)
	v_fmac_f32_e32 v13, v15, v30
	v_fmac_f32_e32 v14, v16, v30
	;; [unrolled: 1-line block ×4, first 2 shown]
	s_andn2_b64 exec, exec, s[8:9]
	s_cbranch_execnz .LBB0_33
; %bb.34:
	s_or_b64 exec, exec, s[8:9]
.LBB0_35:
	s_or_b64 exec, exec, s[0:1]
.LBB0_36:
	s_or_b64 exec, exec, s[2:3]
.LBB0_37:
	v_mov_b32_dpp v0, v13 row_shr:1 row_mask:0xf bank_mask:0xf
	v_mov_b32_dpp v2, v14 row_shr:1 row_mask:0xf bank_mask:0xf
	v_mov_b32_dpp v5, v12 row_shr:1 row_mask:0xf bank_mask:0xf
	v_mov_b32_dpp v7, v11 row_shr:1 row_mask:0xf bank_mask:0xf
	v_add_f32_e32 v0, v13, v0
	v_add_f32_e32 v2, v14, v2
	;; [unrolled: 1-line block ×4, first 2 shown]
	v_mov_b32_dpp v1, v0 row_shr:2 row_mask:0xf bank_mask:0xf
	v_mov_b32_dpp v3, v2 row_shr:2 row_mask:0xf bank_mask:0xf
	;; [unrolled: 1-line block ×4, first 2 shown]
	v_cmp_eq_u32_e32 vcc, 3, v9
	s_and_b64 exec, exec, vcc
	s_cbranch_execz .LBB0_10
; %bb.38:
	s_load_dwordx2 s[0:1], s[4:5], 0x50
	v_add_f32_e32 v0, v0, v1
	v_add_f32_e32 v1, v2, v3
	;; [unrolled: 1-line block ×4, first 2 shown]
	v_cmp_eq_f32_e64 s[2:3], s16, 0
	s_and_b64 vcc, exec, s[2:3]
	v_mul_f32_e32 v0, s18, v0
	v_mul_f32_e32 v1, s18, v1
	;; [unrolled: 1-line block ×4, first 2 shown]
	v_lshlrev_b32_e32 v4, 2, v4
	s_cbranch_vccz .LBB0_40
; %bb.39:
	v_ashrrev_i32_e32 v5, 31, v4
	v_lshlrev_b64 v[5:6], 2, v[4:5]
	s_waitcnt lgkmcnt(0)
	v_mov_b32_e32 v7, s1
	v_add_co_u32_e32 v5, vcc, s0, v5
	v_addc_co_u32_e32 v6, vcc, v7, v6, vcc
	global_store_dwordx4 v[5:6], v[0:3], off
	s_cbranch_execnz .LBB0_10
	s_branch .LBB0_41
.LBB0_40:
.LBB0_41:
	v_ashrrev_i32_e32 v5, 31, v4
	v_lshlrev_b64 v[4:5], 2, v[4:5]
	s_waitcnt lgkmcnt(0)
	v_mov_b32_e32 v6, s1
	v_add_co_u32_e32 v8, vcc, s0, v4
	v_addc_co_u32_e32 v9, vcc, v6, v5, vcc
	global_load_dwordx4 v[4:7], v[8:9], off
	s_waitcnt vmcnt(0)
	v_fmac_f32_e32 v0, s16, v4
	v_fmac_f32_e32 v1, s16, v5
	;; [unrolled: 1-line block ×4, first 2 shown]
	global_store_dwordx4 v[8:9], v[0:3], off
	s_endpgm
	.section	.rodata,"a",@progbits
	.p2align	6, 0x0
	.amdhsa_kernel _ZN9rocsparseL18bsrxmvn_4x4_kernelILj128ELj4EfiifffEEvT3_20rocsparse_direction_NS_24const_host_device_scalarIT1_EES1_PKS1_PKT2_SA_S7_PKT4_PKT5_S5_PT6_21rocsparse_index_base_b
		.amdhsa_group_segment_fixed_size 0
		.amdhsa_private_segment_fixed_size 0
		.amdhsa_kernarg_size 96
		.amdhsa_user_sgpr_count 6
		.amdhsa_user_sgpr_private_segment_buffer 1
		.amdhsa_user_sgpr_dispatch_ptr 0
		.amdhsa_user_sgpr_queue_ptr 0
		.amdhsa_user_sgpr_kernarg_segment_ptr 1
		.amdhsa_user_sgpr_dispatch_id 0
		.amdhsa_user_sgpr_flat_scratch_init 0
		.amdhsa_user_sgpr_private_segment_size 0
		.amdhsa_uses_dynamic_stack 0
		.amdhsa_system_sgpr_private_segment_wavefront_offset 0
		.amdhsa_system_sgpr_workgroup_id_x 1
		.amdhsa_system_sgpr_workgroup_id_y 0
		.amdhsa_system_sgpr_workgroup_id_z 0
		.amdhsa_system_sgpr_workgroup_info 0
		.amdhsa_system_vgpr_workitem_id 0
		.amdhsa_next_free_vgpr 39
		.amdhsa_next_free_sgpr 22
		.amdhsa_reserve_vcc 1
		.amdhsa_reserve_flat_scratch 0
		.amdhsa_float_round_mode_32 0
		.amdhsa_float_round_mode_16_64 0
		.amdhsa_float_denorm_mode_32 3
		.amdhsa_float_denorm_mode_16_64 3
		.amdhsa_dx10_clamp 1
		.amdhsa_ieee_mode 1
		.amdhsa_fp16_overflow 0
		.amdhsa_exception_fp_ieee_invalid_op 0
		.amdhsa_exception_fp_denorm_src 0
		.amdhsa_exception_fp_ieee_div_zero 0
		.amdhsa_exception_fp_ieee_overflow 0
		.amdhsa_exception_fp_ieee_underflow 0
		.amdhsa_exception_fp_ieee_inexact 0
		.amdhsa_exception_int_div_zero 0
	.end_amdhsa_kernel
	.section	.text._ZN9rocsparseL18bsrxmvn_4x4_kernelILj128ELj4EfiifffEEvT3_20rocsparse_direction_NS_24const_host_device_scalarIT1_EES1_PKS1_PKT2_SA_S7_PKT4_PKT5_S5_PT6_21rocsparse_index_base_b,"axG",@progbits,_ZN9rocsparseL18bsrxmvn_4x4_kernelILj128ELj4EfiifffEEvT3_20rocsparse_direction_NS_24const_host_device_scalarIT1_EES1_PKS1_PKT2_SA_S7_PKT4_PKT5_S5_PT6_21rocsparse_index_base_b,comdat
.Lfunc_end0:
	.size	_ZN9rocsparseL18bsrxmvn_4x4_kernelILj128ELj4EfiifffEEvT3_20rocsparse_direction_NS_24const_host_device_scalarIT1_EES1_PKS1_PKT2_SA_S7_PKT4_PKT5_S5_PT6_21rocsparse_index_base_b, .Lfunc_end0-_ZN9rocsparseL18bsrxmvn_4x4_kernelILj128ELj4EfiifffEEvT3_20rocsparse_direction_NS_24const_host_device_scalarIT1_EES1_PKS1_PKT2_SA_S7_PKT4_PKT5_S5_PT6_21rocsparse_index_base_b
                                        ; -- End function
	.set _ZN9rocsparseL18bsrxmvn_4x4_kernelILj128ELj4EfiifffEEvT3_20rocsparse_direction_NS_24const_host_device_scalarIT1_EES1_PKS1_PKT2_SA_S7_PKT4_PKT5_S5_PT6_21rocsparse_index_base_b.num_vgpr, 39
	.set _ZN9rocsparseL18bsrxmvn_4x4_kernelILj128ELj4EfiifffEEvT3_20rocsparse_direction_NS_24const_host_device_scalarIT1_EES1_PKS1_PKT2_SA_S7_PKT4_PKT5_S5_PT6_21rocsparse_index_base_b.num_agpr, 0
	.set _ZN9rocsparseL18bsrxmvn_4x4_kernelILj128ELj4EfiifffEEvT3_20rocsparse_direction_NS_24const_host_device_scalarIT1_EES1_PKS1_PKT2_SA_S7_PKT4_PKT5_S5_PT6_21rocsparse_index_base_b.numbered_sgpr, 22
	.set _ZN9rocsparseL18bsrxmvn_4x4_kernelILj128ELj4EfiifffEEvT3_20rocsparse_direction_NS_24const_host_device_scalarIT1_EES1_PKS1_PKT2_SA_S7_PKT4_PKT5_S5_PT6_21rocsparse_index_base_b.num_named_barrier, 0
	.set _ZN9rocsparseL18bsrxmvn_4x4_kernelILj128ELj4EfiifffEEvT3_20rocsparse_direction_NS_24const_host_device_scalarIT1_EES1_PKS1_PKT2_SA_S7_PKT4_PKT5_S5_PT6_21rocsparse_index_base_b.private_seg_size, 0
	.set _ZN9rocsparseL18bsrxmvn_4x4_kernelILj128ELj4EfiifffEEvT3_20rocsparse_direction_NS_24const_host_device_scalarIT1_EES1_PKS1_PKT2_SA_S7_PKT4_PKT5_S5_PT6_21rocsparse_index_base_b.uses_vcc, 1
	.set _ZN9rocsparseL18bsrxmvn_4x4_kernelILj128ELj4EfiifffEEvT3_20rocsparse_direction_NS_24const_host_device_scalarIT1_EES1_PKS1_PKT2_SA_S7_PKT4_PKT5_S5_PT6_21rocsparse_index_base_b.uses_flat_scratch, 0
	.set _ZN9rocsparseL18bsrxmvn_4x4_kernelILj128ELj4EfiifffEEvT3_20rocsparse_direction_NS_24const_host_device_scalarIT1_EES1_PKS1_PKT2_SA_S7_PKT4_PKT5_S5_PT6_21rocsparse_index_base_b.has_dyn_sized_stack, 0
	.set _ZN9rocsparseL18bsrxmvn_4x4_kernelILj128ELj4EfiifffEEvT3_20rocsparse_direction_NS_24const_host_device_scalarIT1_EES1_PKS1_PKT2_SA_S7_PKT4_PKT5_S5_PT6_21rocsparse_index_base_b.has_recursion, 0
	.set _ZN9rocsparseL18bsrxmvn_4x4_kernelILj128ELj4EfiifffEEvT3_20rocsparse_direction_NS_24const_host_device_scalarIT1_EES1_PKS1_PKT2_SA_S7_PKT4_PKT5_S5_PT6_21rocsparse_index_base_b.has_indirect_call, 0
	.section	.AMDGPU.csdata,"",@progbits
; Kernel info:
; codeLenInByte = 2864
; TotalNumSgprs: 26
; NumVgprs: 39
; ScratchSize: 0
; MemoryBound: 0
; FloatMode: 240
; IeeeMode: 1
; LDSByteSize: 0 bytes/workgroup (compile time only)
; SGPRBlocks: 3
; VGPRBlocks: 9
; NumSGPRsForWavesPerEU: 26
; NumVGPRsForWavesPerEU: 39
; Occupancy: 6
; WaveLimiterHint : 1
; COMPUTE_PGM_RSRC2:SCRATCH_EN: 0
; COMPUTE_PGM_RSRC2:USER_SGPR: 6
; COMPUTE_PGM_RSRC2:TRAP_HANDLER: 0
; COMPUTE_PGM_RSRC2:TGID_X_EN: 1
; COMPUTE_PGM_RSRC2:TGID_Y_EN: 0
; COMPUTE_PGM_RSRC2:TGID_Z_EN: 0
; COMPUTE_PGM_RSRC2:TIDIG_COMP_CNT: 0
	.section	.text._ZN9rocsparseL18bsrxmvn_4x4_kernelILj128ELj8EfiifffEEvT3_20rocsparse_direction_NS_24const_host_device_scalarIT1_EES1_PKS1_PKT2_SA_S7_PKT4_PKT5_S5_PT6_21rocsparse_index_base_b,"axG",@progbits,_ZN9rocsparseL18bsrxmvn_4x4_kernelILj128ELj8EfiifffEEvT3_20rocsparse_direction_NS_24const_host_device_scalarIT1_EES1_PKS1_PKT2_SA_S7_PKT4_PKT5_S5_PT6_21rocsparse_index_base_b,comdat
	.globl	_ZN9rocsparseL18bsrxmvn_4x4_kernelILj128ELj8EfiifffEEvT3_20rocsparse_direction_NS_24const_host_device_scalarIT1_EES1_PKS1_PKT2_SA_S7_PKT4_PKT5_S5_PT6_21rocsparse_index_base_b ; -- Begin function _ZN9rocsparseL18bsrxmvn_4x4_kernelILj128ELj8EfiifffEEvT3_20rocsparse_direction_NS_24const_host_device_scalarIT1_EES1_PKS1_PKT2_SA_S7_PKT4_PKT5_S5_PT6_21rocsparse_index_base_b
	.p2align	8
	.type	_ZN9rocsparseL18bsrxmvn_4x4_kernelILj128ELj8EfiifffEEvT3_20rocsparse_direction_NS_24const_host_device_scalarIT1_EES1_PKS1_PKT2_SA_S7_PKT4_PKT5_S5_PT6_21rocsparse_index_base_b,@function
_ZN9rocsparseL18bsrxmvn_4x4_kernelILj128ELj8EfiifffEEvT3_20rocsparse_direction_NS_24const_host_device_scalarIT1_EES1_PKS1_PKT2_SA_S7_PKT4_PKT5_S5_PT6_21rocsparse_index_base_b: ; @_ZN9rocsparseL18bsrxmvn_4x4_kernelILj128ELj8EfiifffEEvT3_20rocsparse_direction_NS_24const_host_device_scalarIT1_EES1_PKS1_PKT2_SA_S7_PKT4_PKT5_S5_PT6_21rocsparse_index_base_b
; %bb.0:
	s_load_dwordx2 s[20:21], s[4:5], 0x58
	s_load_dwordx2 s[18:19], s[4:5], 0x8
	;; [unrolled: 1-line block ×3, first 2 shown]
	s_waitcnt lgkmcnt(0)
	s_bitcmp1_b32 s21, 0
	s_cselect_b64 s[2:3], -1, 0
	s_xor_b64 s[0:1], s[2:3], -1
	s_and_b64 vcc, exec, s[2:3]
	s_cbranch_vccnz .LBB1_2
; %bb.1:
	s_load_dword s18, s[18:19], 0x0
.LBB1_2:
	s_andn2_b64 vcc, exec, s[0:1]
	s_cbranch_vccnz .LBB1_4
; %bb.3:
	s_load_dword s16, s[16:17], 0x0
.LBB1_4:
	s_waitcnt lgkmcnt(0)
	v_cmp_neq_f32_e64 s[0:1], s18, 0
	v_cmp_neq_f32_e64 s[2:3], s16, 1.0
	s_or_b64 s[0:1], s[0:1], s[2:3]
	s_andn2_b64 vcc, exec, s[0:1]
	s_cbranch_vccnz .LBB1_10
; %bb.5:
	s_load_dwordx2 s[8:9], s[4:5], 0x18
	s_load_dwordx2 s[0:1], s[4:5], 0x0
	v_lshrrev_b32_e32 v1, 3, v0
	v_lshl_or_b32 v4, s6, 4, v1
	s_mov_b64 s[2:3], 0
	s_waitcnt lgkmcnt(0)
	s_cmp_lg_u64 s[8:9], 0
	s_cbranch_scc0 .LBB1_11
; %bb.6:
	s_load_dword s6, s[4:5], 0x10
                                        ; implicit-def: $vgpr1
	s_waitcnt lgkmcnt(0)
	v_cmp_gt_i32_e32 vcc, s6, v4
	s_and_saveexec_b64 s[6:7], vcc
	s_xor_b64 s[6:7], exec, s[6:7]
	s_cbranch_execz .LBB1_8
; %bb.7:
	v_ashrrev_i32_e32 v5, 31, v4
	v_lshlrev_b64 v[1:2], 2, v[4:5]
	v_mov_b32_e32 v3, s9
	v_add_co_u32_e32 v1, vcc, s8, v1
	v_addc_co_u32_e32 v2, vcc, v3, v2, vcc
	global_load_dword v1, v[1:2], off
	s_mov_b64 s[2:3], exec
	s_waitcnt vmcnt(0)
	v_subrev_u32_e32 v1, s20, v1
.LBB1_8:
	s_or_b64 exec, exec, s[6:7]
	s_branch .LBB1_12
.LBB1_9:
	v_cmp_gt_i32_e32 vcc, s0, v4
	s_andn2_b64 s[2:3], s[2:3], exec
	s_and_b64 s[6:7], vcc, exec
	s_or_b64 s[2:3], s[2:3], s[6:7]
	s_and_saveexec_b64 s[6:7], s[2:3]
	s_cbranch_execnz .LBB1_13
.LBB1_10:
	s_endpgm
.LBB1_11:
                                        ; implicit-def: $vgpr1
	s_cbranch_execnz .LBB1_9
.LBB1_12:
	v_mov_b32_e32 v4, v1
	s_and_saveexec_b64 s[6:7], s[2:3]
	s_cbranch_execz .LBB1_10
.LBB1_13:
	s_load_dwordx8 s[8:15], s[4:5], 0x20
	v_ashrrev_i32_e32 v5, 31, v4
	v_lshlrev_b64 v[1:2], 2, v[4:5]
	v_and_b32_e32 v9, 7, v0
	s_load_dwordx2 s[6:7], s[4:5], 0x40
	s_waitcnt lgkmcnt(0)
	v_mov_b32_e32 v3, s9
	v_add_co_u32_e32 v5, vcc, s8, v1
	v_addc_co_u32_e32 v6, vcc, v3, v2, vcc
	v_add_co_u32_e32 v3, vcc, 4, v5
	global_load_dword v15, v[5:6], off
	v_addc_co_u32_e32 v5, vcc, 0, v6, vcc
	v_mov_b32_e32 v6, s11
	v_add_co_u32_e32 v1, vcc, s10, v1
	s_cmp_eq_u64 s[10:11], 0
	v_addc_co_u32_e32 v2, vcc, v6, v2, vcc
	s_cselect_b64 vcc, -1, 0
	v_cndmask_b32_e32 v2, v2, v5, vcc
	v_cndmask_b32_e32 v1, v1, v3, vcc
	global_load_dword v1, v[1:2], off
	v_mov_b32_e32 v5, s15
	s_cmp_eq_u32 s1, 1
	s_waitcnt vmcnt(1)
	v_subrev_u32_e32 v0, s20, v15
	v_add_u32_e32 v0, v0, v9
	s_waitcnt vmcnt(0)
	v_subrev_u32_e32 v10, s20, v1
	v_ashrrev_i32_e32 v1, 31, v0
	v_lshlrev_b64 v[2:3], 6, v[0:1]
	v_cmp_lt_i32_e64 s[0:1], v0, v10
	v_add_co_u32_e32 v2, vcc, s14, v2
	v_addc_co_u32_e32 v3, vcc, v5, v3, vcc
	s_cbranch_scc1 .LBB1_25
; %bb.14:
	v_mov_b32_e32 v11, 0
	v_mov_b32_e32 v12, 0
	;; [unrolled: 1-line block ×4, first 2 shown]
	s_and_saveexec_b64 s[8:9], s[0:1]
	s_cbranch_execz .LBB1_24
; %bb.15:
	v_add_u32_e32 v1, v15, v9
	v_subrev_u32_e32 v1, s20, v1
	v_add_u32_e32 v1, 8, v1
	v_max_i32_e32 v1, v1, v10
	v_not_b32_e32 v5, v15
	v_add3_u32 v1, s20, v1, v5
	v_sub_u32_e32 v1, v1, v9
	v_and_b32_e32 v5, 24, v1
	v_mov_b32_e32 v8, v3
	v_cmp_ne_u32_e32 vcc, 24, v5
	v_mov_b32_e32 v13, 0
	v_mov_b32_e32 v14, 0
	;; [unrolled: 1-line block ×6, first 2 shown]
	s_and_saveexec_b64 s[10:11], vcc
	s_cbranch_execz .LBB1_19
; %bb.16:
	v_lshrrev_b32_e32 v5, 3, v1
	v_add_u32_e32 v5, 1, v5
	v_and_b32_e32 v5, 3, v5
	v_mov_b32_e32 v8, v3
	v_sub_u32_e32 v16, 0, v5
	v_mov_b32_e32 v11, 0
	s_mov_b64 s[14:15], 0
	v_mov_b32_e32 v17, s13
	v_mov_b32_e32 v18, s7
	v_mov_b32_e32 v7, v2
	v_mov_b32_e32 v5, v0
	v_mov_b32_e32 v12, 0
	v_mov_b32_e32 v14, 0
	v_mov_b32_e32 v13, 0
.LBB1_17:                               ; =>This Inner Loop Header: Depth=1
	v_ashrrev_i32_e32 v6, 31, v5
	v_lshlrev_b64 v[27:28], 2, v[5:6]
	global_load_dwordx4 v[19:22], v[7:8], off
	global_load_dwordx4 v[23:26], v[7:8], off offset:16
	v_add_co_u32_e32 v27, vcc, s12, v27
	v_addc_co_u32_e32 v28, vcc, v17, v28, vcc
	global_load_dword v6, v[27:28], off
	v_add_co_u32_e64 v16, s[2:3], 1, v16
	v_add_u32_e32 v5, 8, v5
	s_or_b64 s[14:15], s[2:3], s[14:15]
	s_waitcnt vmcnt(0)
	v_subrev_u32_e32 v6, s20, v6
	v_lshlrev_b32_e32 v27, 2, v6
	v_ashrrev_i32_e32 v28, 31, v27
	v_lshlrev_b64 v[27:28], 2, v[27:28]
	v_add_co_u32_e32 v27, vcc, s6, v27
	v_addc_co_u32_e32 v28, vcc, v18, v28, vcc
	global_load_dwordx4 v[27:30], v[27:28], off
	s_waitcnt vmcnt(0)
	v_fmac_f32_e32 v13, v19, v27
	v_fmac_f32_e32 v14, v23, v27
	;; [unrolled: 1-line block ×7, first 2 shown]
	global_load_dwordx4 v[19:22], v[7:8], off offset:32
	v_fmac_f32_e32 v14, v26, v30
	global_load_dwordx4 v[23:26], v[7:8], off offset:48
	v_add_co_u32_e32 v7, vcc, 0x200, v7
	v_addc_co_u32_e32 v8, vcc, 0, v8, vcc
	s_waitcnt vmcnt(1)
	v_fmac_f32_e32 v12, v19, v27
	v_fmac_f32_e32 v12, v20, v28
	s_waitcnt vmcnt(0)
	v_fmac_f32_e32 v11, v23, v27
	v_fmac_f32_e32 v11, v24, v28
	;; [unrolled: 1-line block ×6, first 2 shown]
	s_andn2_b64 exec, exec, s[14:15]
	s_cbranch_execnz .LBB1_17
; %bb.18:
	s_or_b64 exec, exec, s[14:15]
.LBB1_19:
	s_or_b64 exec, exec, s[10:11]
	v_cmp_lt_u32_e32 vcc, 23, v1
	s_and_saveexec_b64 s[2:3], vcc
	s_cbranch_execz .LBB1_23
; %bb.20:
	s_mov_b64 s[10:11], 0
	v_mov_b32_e32 v1, s13
	v_mov_b32_e32 v16, s7
.LBB1_21:                               ; =>This Inner Loop Header: Depth=1
	v_ashrrev_i32_e32 v6, 31, v5
	v_lshlrev_b64 v[25:26], 2, v[5:6]
	global_load_dwordx4 v[17:20], v[7:8], off
	global_load_dwordx4 v[21:24], v[7:8], off offset:16
	v_add_co_u32_e32 v25, vcc, s12, v25
	v_addc_co_u32_e32 v26, vcc, v1, v26, vcc
	global_load_dword v6, v[25:26], off
	global_load_dword v27, v[25:26], off offset:32
	global_load_dword v37, v[25:26], off offset:64
	;; [unrolled: 1-line block ×3, first 2 shown]
	v_add_u32_e32 v5, 32, v5
	s_waitcnt vmcnt(3)
	v_subrev_u32_e32 v6, s20, v6
	s_waitcnt vmcnt(2)
	v_subrev_u32_e32 v26, s20, v27
	v_lshlrev_b32_e32 v25, 2, v6
	v_lshlrev_b32_e32 v27, 2, v26
	v_ashrrev_i32_e32 v26, 31, v25
	v_lshlrev_b64 v[25:26], 2, v[25:26]
	v_ashrrev_i32_e32 v28, 31, v27
	v_lshlrev_b64 v[27:28], 2, v[27:28]
	v_add_co_u32_e32 v33, vcc, s6, v25
	v_addc_co_u32_e32 v34, vcc, v16, v26, vcc
	v_add_co_u32_e32 v35, vcc, s6, v27
	v_addc_co_u32_e32 v36, vcc, v16, v28, vcc
	global_load_dwordx4 v[25:28], v[33:34], off
	global_load_dwordx4 v[29:32], v[35:36], off
	s_waitcnt vmcnt(3)
	v_subrev_u32_e32 v6, s20, v37
	s_waitcnt vmcnt(1)
	v_fmac_f32_e32 v13, v17, v25
	v_fmac_f32_e32 v14, v21, v25
	;; [unrolled: 1-line block ×8, first 2 shown]
	global_load_dwordx4 v[17:20], v[7:8], off offset:32
	global_load_dwordx4 v[21:24], v[7:8], off offset:48
	s_waitcnt vmcnt(1)
	v_fmac_f32_e32 v12, v17, v25
	s_waitcnt vmcnt(0)
	v_fmac_f32_e32 v11, v21, v25
	v_fmac_f32_e32 v12, v18, v26
	;; [unrolled: 1-line block ×7, first 2 shown]
	global_load_dwordx4 v[17:20], v[7:8], off offset:512
	global_load_dwordx4 v[21:24], v[7:8], off offset:528
	v_subrev_u32_e32 v26, s20, v38
	v_lshlrev_b32_e32 v25, 2, v6
	v_lshlrev_b32_e32 v27, 2, v26
	v_ashrrev_i32_e32 v26, 31, v25
	v_lshlrev_b64 v[25:26], 2, v[25:26]
	v_ashrrev_i32_e32 v28, 31, v27
	v_lshlrev_b64 v[27:28], 2, v[27:28]
	v_add_co_u32_e32 v33, vcc, s6, v25
	v_addc_co_u32_e32 v34, vcc, v16, v26, vcc
	v_add_co_u32_e32 v35, vcc, s6, v27
	v_addc_co_u32_e32 v36, vcc, v16, v28, vcc
	s_waitcnt vmcnt(1)
	v_fmac_f32_e32 v13, v17, v29
	v_fmac_f32_e32 v13, v18, v30
	s_waitcnt vmcnt(0)
	v_fmac_f32_e32 v14, v21, v29
	v_fmac_f32_e32 v13, v19, v31
	;; [unrolled: 1-line block ×4, first 2 shown]
	global_load_dwordx4 v[17:20], v[7:8], off offset:544
	v_fmac_f32_e32 v14, v23, v31
	v_fmac_f32_e32 v14, v24, v32
	global_load_dwordx4 v[21:24], v[7:8], off offset:560
	s_waitcnt vmcnt(1)
	v_fmac_f32_e32 v12, v17, v29
	v_fmac_f32_e32 v12, v18, v30
	;; [unrolled: 1-line block ×3, first 2 shown]
	s_waitcnt vmcnt(0)
	v_fmac_f32_e32 v11, v21, v29
	v_fmac_f32_e32 v11, v22, v30
	;; [unrolled: 1-line block ×3, first 2 shown]
	global_load_dwordx4 v[17:20], v[7:8], off offset:1024
	v_fmac_f32_e32 v11, v23, v31
	v_fmac_f32_e32 v11, v24, v32
	global_load_dwordx4 v[21:24], v[7:8], off offset:1040
	global_load_dwordx4 v[25:28], v[33:34], off
	global_load_dwordx4 v[29:32], v[35:36], off
	s_waitcnt vmcnt(1)
	v_fmac_f32_e32 v13, v17, v25
	v_fmac_f32_e32 v13, v18, v26
	;; [unrolled: 1-line block ×4, first 2 shown]
	global_load_dwordx4 v[17:20], v[7:8], off offset:1056
	v_fmac_f32_e32 v14, v21, v25
	v_fmac_f32_e32 v14, v22, v26
	v_fmac_f32_e32 v14, v23, v27
	v_fmac_f32_e32 v14, v24, v28
	global_load_dwordx4 v[21:24], v[7:8], off offset:1072
	s_waitcnt vmcnt(1)
	v_fmac_f32_e32 v12, v17, v25
	v_fmac_f32_e32 v12, v18, v26
	v_fmac_f32_e32 v12, v19, v27
	v_fmac_f32_e32 v12, v20, v28
	global_load_dwordx4 v[17:20], v[7:8], off offset:1536
	s_waitcnt vmcnt(1)
	v_fmac_f32_e32 v11, v21, v25
	v_fmac_f32_e32 v11, v22, v26
	;; [unrolled: 1-line block ×4, first 2 shown]
	global_load_dwordx4 v[21:24], v[7:8], off offset:1552
	global_load_dwordx4 v[25:28], v[7:8], off offset:1568
	s_waitcnt vmcnt(2)
	v_fmac_f32_e32 v13, v17, v29
	v_fmac_f32_e32 v13, v18, v30
	;; [unrolled: 1-line block ×4, first 2 shown]
	global_load_dwordx4 v[17:20], v[7:8], off offset:1584
	v_add_co_u32_e32 v7, vcc, 0x800, v7
	s_waitcnt vmcnt(2)
	v_fmac_f32_e32 v14, v21, v29
	s_waitcnt vmcnt(1)
	v_fmac_f32_e32 v12, v25, v29
	v_addc_co_u32_e32 v8, vcc, 0, v8, vcc
	v_fmac_f32_e32 v14, v22, v30
	v_fmac_f32_e32 v12, v26, v30
	v_cmp_ge_i32_e32 vcc, v5, v10
	v_fmac_f32_e32 v14, v23, v31
	v_fmac_f32_e32 v12, v27, v31
	s_or_b64 s[10:11], vcc, s[10:11]
	v_fmac_f32_e32 v14, v24, v32
	v_fmac_f32_e32 v12, v28, v32
	s_waitcnt vmcnt(0)
	v_fmac_f32_e32 v11, v17, v29
	v_fmac_f32_e32 v11, v18, v30
	;; [unrolled: 1-line block ×4, first 2 shown]
	s_andn2_b64 exec, exec, s[10:11]
	s_cbranch_execnz .LBB1_21
; %bb.22:
	s_or_b64 exec, exec, s[10:11]
.LBB1_23:
	s_or_b64 exec, exec, s[2:3]
.LBB1_24:
	s_or_b64 exec, exec, s[8:9]
	s_cbranch_execz .LBB1_26
	s_branch .LBB1_37
.LBB1_25:
                                        ; implicit-def: $vgpr11
                                        ; implicit-def: $vgpr12
                                        ; implicit-def: $vgpr14
                                        ; implicit-def: $vgpr13
.LBB1_26:
	v_mov_b32_e32 v11, 0
	v_mov_b32_e32 v12, 0
	;; [unrolled: 1-line block ×4, first 2 shown]
	s_and_saveexec_b64 s[2:3], s[0:1]
	s_cbranch_execz .LBB1_36
; %bb.27:
	v_add_u32_e32 v1, v15, v9
	v_subrev_u32_e32 v1, s20, v1
	v_add_u32_e32 v1, 8, v1
	v_max_i32_e32 v1, v1, v10
	v_not_b32_e32 v5, v15
	v_add3_u32 v1, s20, v1, v5
	v_sub_u32_e32 v5, v1, v9
	v_and_b32_e32 v1, 24, v5
	v_cmp_ne_u32_e32 vcc, 24, v1
	v_mov_b32_e32 v13, 0
	v_mov_b32_e32 v14, 0
	;; [unrolled: 1-line block ×4, first 2 shown]
	s_and_saveexec_b64 s[8:9], vcc
	s_cbranch_execz .LBB1_31
; %bb.28:
	v_lshrrev_b32_e32 v1, 3, v5
	v_add_u32_e32 v1, 1, v1
	v_and_b32_e32 v1, 3, v1
	v_sub_u32_e32 v6, 0, v1
	v_mov_b32_e32 v11, 0
	s_mov_b64 s[10:11], 0
	v_mov_b32_e32 v7, s13
	v_mov_b32_e32 v8, s7
	;; [unrolled: 1-line block ×5, first 2 shown]
.LBB1_29:                               ; =>This Inner Loop Header: Depth=1
	v_ashrrev_i32_e32 v1, 31, v0
	v_lshlrev_b64 v[27:28], 2, v[0:1]
	global_load_dwordx4 v[15:18], v[2:3], off offset:16
	global_load_dwordx4 v[19:22], v[2:3], off
	global_load_dwordx4 v[23:26], v[2:3], off offset:32
	v_add_co_u32_e32 v27, vcc, s12, v27
	v_addc_co_u32_e32 v28, vcc, v7, v28, vcc
	global_load_dword v1, v[27:28], off
	v_add_co_u32_e64 v6, s[0:1], 1, v6
	v_add_u32_e32 v0, 8, v0
	s_or_b64 s[10:11], s[0:1], s[10:11]
	s_waitcnt vmcnt(0)
	v_subrev_u32_e32 v1, s20, v1
	v_lshlrev_b32_e32 v27, 2, v1
	v_ashrrev_i32_e32 v28, 31, v27
	v_lshlrev_b64 v[27:28], 2, v[27:28]
	v_add_co_u32_e32 v27, vcc, s6, v27
	v_addc_co_u32_e32 v28, vcc, v8, v28, vcc
	global_load_dwordx4 v[27:30], v[27:28], off
	s_waitcnt vmcnt(0)
	v_fmac_f32_e32 v13, v19, v27
	v_fmac_f32_e32 v14, v20, v27
	;; [unrolled: 1-line block ×4, first 2 shown]
	global_load_dwordx4 v[19:22], v[2:3], off offset:48
	v_fmac_f32_e32 v13, v15, v28
	v_fmac_f32_e32 v14, v16, v28
	;; [unrolled: 1-line block ×4, first 2 shown]
	v_add_co_u32_e32 v2, vcc, 0x200, v2
	v_fmac_f32_e32 v13, v23, v29
	v_fmac_f32_e32 v14, v24, v29
	;; [unrolled: 1-line block ×4, first 2 shown]
	v_addc_co_u32_e32 v3, vcc, 0, v3, vcc
	s_waitcnt vmcnt(0)
	v_fmac_f32_e32 v13, v19, v30
	v_fmac_f32_e32 v14, v20, v30
	v_fmac_f32_e32 v12, v21, v30
	v_fmac_f32_e32 v11, v22, v30
	s_andn2_b64 exec, exec, s[10:11]
	s_cbranch_execnz .LBB1_29
; %bb.30:
	s_or_b64 exec, exec, s[10:11]
.LBB1_31:
	s_or_b64 exec, exec, s[8:9]
	v_cmp_lt_u32_e32 vcc, 23, v5
	s_and_saveexec_b64 s[0:1], vcc
	s_cbranch_execz .LBB1_35
; %bb.32:
	s_mov_b64 s[8:9], 0
	v_mov_b32_e32 v5, s13
	v_mov_b32_e32 v6, s7
.LBB1_33:                               ; =>This Inner Loop Header: Depth=1
	v_ashrrev_i32_e32 v1, 31, v0
	v_lshlrev_b64 v[7:8], 2, v[0:1]
	global_load_dwordx4 v[15:18], v[2:3], off
	global_load_dwordx4 v[19:22], v[2:3], off offset:16
	v_add_co_u32_e32 v7, vcc, s12, v7
	v_addc_co_u32_e32 v8, vcc, v5, v8, vcc
	global_load_dword v1, v[7:8], off
	global_load_dword v23, v[7:8], off offset:32
	global_load_dword v33, v[7:8], off offset:64
	;; [unrolled: 1-line block ×3, first 2 shown]
	v_add_u32_e32 v0, 32, v0
	s_waitcnt vmcnt(3)
	v_subrev_u32_e32 v1, s20, v1
	s_waitcnt vmcnt(2)
	v_subrev_u32_e32 v8, s20, v23
	v_lshlrev_b32_e32 v7, 2, v1
	v_lshlrev_b32_e32 v23, 2, v8
	v_ashrrev_i32_e32 v8, 31, v7
	v_lshlrev_b64 v[7:8], 2, v[7:8]
	v_ashrrev_i32_e32 v24, 31, v23
	v_lshlrev_b64 v[23:24], 2, v[23:24]
	v_add_co_u32_e32 v7, vcc, s6, v7
	v_addc_co_u32_e32 v8, vcc, v6, v8, vcc
	v_add_co_u32_e32 v31, vcc, s6, v23
	v_addc_co_u32_e32 v32, vcc, v6, v24, vcc
	global_load_dwordx4 v[23:26], v[7:8], off
	global_load_dwordx4 v[27:30], v[31:32], off
	s_waitcnt vmcnt(3)
	v_subrev_u32_e32 v1, s20, v33
	s_waitcnt vmcnt(2)
	v_subrev_u32_e32 v8, s20, v34
	v_lshlrev_b32_e32 v7, 2, v1
	s_waitcnt vmcnt(1)
	v_fmac_f32_e32 v13, v15, v23
	v_fmac_f32_e32 v14, v16, v23
	;; [unrolled: 1-line block ×8, first 2 shown]
	global_load_dwordx4 v[15:18], v[2:3], off offset:32
	global_load_dwordx4 v[19:22], v[2:3], off offset:48
	v_lshlrev_b32_e32 v23, 2, v8
	v_ashrrev_i32_e32 v8, 31, v7
	v_lshlrev_b64 v[7:8], 2, v[7:8]
	v_ashrrev_i32_e32 v24, 31, v23
	v_lshlrev_b64 v[23:24], 2, v[23:24]
	v_add_co_u32_e32 v7, vcc, s6, v7
	v_addc_co_u32_e32 v8, vcc, v6, v8, vcc
	v_add_co_u32_e32 v31, vcc, s6, v23
	v_addc_co_u32_e32 v32, vcc, v6, v24, vcc
	s_waitcnt vmcnt(1)
	v_fmac_f32_e32 v13, v15, v25
	v_fmac_f32_e32 v14, v16, v25
	;; [unrolled: 1-line block ×4, first 2 shown]
	s_waitcnt vmcnt(0)
	v_fmac_f32_e32 v13, v19, v26
	v_fmac_f32_e32 v14, v20, v26
	;; [unrolled: 1-line block ×4, first 2 shown]
	global_load_dwordx4 v[15:18], v[2:3], off offset:512
	global_load_dwordx4 v[19:22], v[2:3], off offset:528
	s_waitcnt vmcnt(1)
	v_fmac_f32_e32 v13, v15, v27
	v_fmac_f32_e32 v14, v16, v27
	v_fmac_f32_e32 v12, v17, v27
	v_fmac_f32_e32 v11, v18, v27
	global_load_dwordx4 v[15:18], v[2:3], off offset:544
	s_waitcnt vmcnt(1)
	v_fmac_f32_e32 v13, v19, v28
	v_fmac_f32_e32 v14, v20, v28
	v_fmac_f32_e32 v12, v21, v28
	v_fmac_f32_e32 v11, v22, v28
	;; [unrolled: 6-line block ×4, first 2 shown]
	global_load_dwordx4 v[19:22], v[2:3], off offset:1040
	global_load_dwordx4 v[23:26], v[7:8], off
	global_load_dwordx4 v[27:30], v[31:32], off
	s_waitcnt vmcnt(1)
	v_fmac_f32_e32 v13, v15, v23
	v_fmac_f32_e32 v14, v16, v23
	;; [unrolled: 1-line block ×4, first 2 shown]
	global_load_dwordx4 v[15:18], v[2:3], off offset:1056
	v_fmac_f32_e32 v13, v19, v24
	v_fmac_f32_e32 v14, v20, v24
	;; [unrolled: 1-line block ×4, first 2 shown]
	global_load_dwordx4 v[19:22], v[2:3], off offset:1072
	s_waitcnt vmcnt(1)
	v_fmac_f32_e32 v13, v15, v25
	v_fmac_f32_e32 v14, v16, v25
	;; [unrolled: 1-line block ×4, first 2 shown]
	global_load_dwordx4 v[15:18], v[2:3], off offset:1536
	s_waitcnt vmcnt(1)
	v_fmac_f32_e32 v13, v19, v26
	v_fmac_f32_e32 v14, v20, v26
	;; [unrolled: 1-line block ×4, first 2 shown]
	global_load_dwordx4 v[19:22], v[2:3], off offset:1552
	global_load_dwordx4 v[23:26], v[2:3], off offset:1568
	s_waitcnt vmcnt(2)
	v_fmac_f32_e32 v13, v15, v27
	v_fmac_f32_e32 v14, v16, v27
	;; [unrolled: 1-line block ×4, first 2 shown]
	global_load_dwordx4 v[15:18], v[2:3], off offset:1584
	v_add_co_u32_e32 v2, vcc, 0x800, v2
	v_addc_co_u32_e32 v3, vcc, 0, v3, vcc
	s_waitcnt vmcnt(2)
	v_fmac_f32_e32 v13, v19, v28
	v_fmac_f32_e32 v14, v20, v28
	v_fmac_f32_e32 v12, v21, v28
	v_fmac_f32_e32 v11, v22, v28
	v_cmp_ge_i32_e32 vcc, v0, v10
	s_waitcnt vmcnt(1)
	v_fmac_f32_e32 v13, v23, v29
	v_fmac_f32_e32 v14, v24, v29
	;; [unrolled: 1-line block ×4, first 2 shown]
	s_or_b64 s[8:9], vcc, s[8:9]
	s_waitcnt vmcnt(0)
	v_fmac_f32_e32 v13, v15, v30
	v_fmac_f32_e32 v14, v16, v30
	;; [unrolled: 1-line block ×4, first 2 shown]
	s_andn2_b64 exec, exec, s[8:9]
	s_cbranch_execnz .LBB1_33
; %bb.34:
	s_or_b64 exec, exec, s[8:9]
.LBB1_35:
	s_or_b64 exec, exec, s[0:1]
.LBB1_36:
	s_or_b64 exec, exec, s[2:3]
.LBB1_37:
	v_mov_b32_dpp v0, v13 row_shr:1 row_mask:0xf bank_mask:0xf
	v_mov_b32_dpp v2, v14 row_shr:1 row_mask:0xf bank_mask:0xf
	;; [unrolled: 1-line block ×4, first 2 shown]
	v_add_f32_e32 v0, v13, v0
	v_add_f32_e32 v2, v14, v2
	;; [unrolled: 1-line block ×4, first 2 shown]
	v_mov_b32_dpp v1, v0 row_shr:2 row_mask:0xf bank_mask:0xf
	v_mov_b32_dpp v3, v2 row_shr:2 row_mask:0xf bank_mask:0xf
	;; [unrolled: 1-line block ×4, first 2 shown]
	v_add_f32_e32 v0, v0, v1
	v_add_f32_e32 v2, v2, v3
	;; [unrolled: 1-line block ×4, first 2 shown]
	v_mov_b32_dpp v1, v0 row_shr:4 row_mask:0xf bank_mask:0xe
	v_mov_b32_dpp v3, v2 row_shr:4 row_mask:0xf bank_mask:0xe
	;; [unrolled: 1-line block ×4, first 2 shown]
	v_cmp_eq_u32_e32 vcc, 7, v9
	s_and_b64 exec, exec, vcc
	s_cbranch_execz .LBB1_10
; %bb.38:
	s_load_dwordx2 s[0:1], s[4:5], 0x50
	v_add_f32_e32 v0, v0, v1
	v_add_f32_e32 v1, v2, v3
	;; [unrolled: 1-line block ×4, first 2 shown]
	v_cmp_eq_f32_e64 s[2:3], s16, 0
	s_and_b64 vcc, exec, s[2:3]
	v_mul_f32_e32 v0, s18, v0
	v_mul_f32_e32 v1, s18, v1
	;; [unrolled: 1-line block ×4, first 2 shown]
	v_lshlrev_b32_e32 v4, 2, v4
	s_cbranch_vccz .LBB1_40
; %bb.39:
	v_ashrrev_i32_e32 v5, 31, v4
	v_lshlrev_b64 v[5:6], 2, v[4:5]
	s_waitcnt lgkmcnt(0)
	v_mov_b32_e32 v7, s1
	v_add_co_u32_e32 v5, vcc, s0, v5
	v_addc_co_u32_e32 v6, vcc, v7, v6, vcc
	global_store_dwordx4 v[5:6], v[0:3], off
	s_cbranch_execnz .LBB1_10
	s_branch .LBB1_41
.LBB1_40:
.LBB1_41:
	v_ashrrev_i32_e32 v5, 31, v4
	v_lshlrev_b64 v[4:5], 2, v[4:5]
	s_waitcnt lgkmcnt(0)
	v_mov_b32_e32 v6, s1
	v_add_co_u32_e32 v8, vcc, s0, v4
	v_addc_co_u32_e32 v9, vcc, v6, v5, vcc
	global_load_dwordx4 v[4:7], v[8:9], off
	s_waitcnt vmcnt(0)
	v_fmac_f32_e32 v0, s16, v4
	v_fmac_f32_e32 v1, s16, v5
	;; [unrolled: 1-line block ×4, first 2 shown]
	global_store_dwordx4 v[8:9], v[0:3], off
	s_endpgm
	.section	.rodata,"a",@progbits
	.p2align	6, 0x0
	.amdhsa_kernel _ZN9rocsparseL18bsrxmvn_4x4_kernelILj128ELj8EfiifffEEvT3_20rocsparse_direction_NS_24const_host_device_scalarIT1_EES1_PKS1_PKT2_SA_S7_PKT4_PKT5_S5_PT6_21rocsparse_index_base_b
		.amdhsa_group_segment_fixed_size 0
		.amdhsa_private_segment_fixed_size 0
		.amdhsa_kernarg_size 96
		.amdhsa_user_sgpr_count 6
		.amdhsa_user_sgpr_private_segment_buffer 1
		.amdhsa_user_sgpr_dispatch_ptr 0
		.amdhsa_user_sgpr_queue_ptr 0
		.amdhsa_user_sgpr_kernarg_segment_ptr 1
		.amdhsa_user_sgpr_dispatch_id 0
		.amdhsa_user_sgpr_flat_scratch_init 0
		.amdhsa_user_sgpr_private_segment_size 0
		.amdhsa_uses_dynamic_stack 0
		.amdhsa_system_sgpr_private_segment_wavefront_offset 0
		.amdhsa_system_sgpr_workgroup_id_x 1
		.amdhsa_system_sgpr_workgroup_id_y 0
		.amdhsa_system_sgpr_workgroup_id_z 0
		.amdhsa_system_sgpr_workgroup_info 0
		.amdhsa_system_vgpr_workitem_id 0
		.amdhsa_next_free_vgpr 39
		.amdhsa_next_free_sgpr 22
		.amdhsa_reserve_vcc 1
		.amdhsa_reserve_flat_scratch 0
		.amdhsa_float_round_mode_32 0
		.amdhsa_float_round_mode_16_64 0
		.amdhsa_float_denorm_mode_32 3
		.amdhsa_float_denorm_mode_16_64 3
		.amdhsa_dx10_clamp 1
		.amdhsa_ieee_mode 1
		.amdhsa_fp16_overflow 0
		.amdhsa_exception_fp_ieee_invalid_op 0
		.amdhsa_exception_fp_denorm_src 0
		.amdhsa_exception_fp_ieee_div_zero 0
		.amdhsa_exception_fp_ieee_overflow 0
		.amdhsa_exception_fp_ieee_underflow 0
		.amdhsa_exception_fp_ieee_inexact 0
		.amdhsa_exception_int_div_zero 0
	.end_amdhsa_kernel
	.section	.text._ZN9rocsparseL18bsrxmvn_4x4_kernelILj128ELj8EfiifffEEvT3_20rocsparse_direction_NS_24const_host_device_scalarIT1_EES1_PKS1_PKT2_SA_S7_PKT4_PKT5_S5_PT6_21rocsparse_index_base_b,"axG",@progbits,_ZN9rocsparseL18bsrxmvn_4x4_kernelILj128ELj8EfiifffEEvT3_20rocsparse_direction_NS_24const_host_device_scalarIT1_EES1_PKS1_PKT2_SA_S7_PKT4_PKT5_S5_PT6_21rocsparse_index_base_b,comdat
.Lfunc_end1:
	.size	_ZN9rocsparseL18bsrxmvn_4x4_kernelILj128ELj8EfiifffEEvT3_20rocsparse_direction_NS_24const_host_device_scalarIT1_EES1_PKS1_PKT2_SA_S7_PKT4_PKT5_S5_PT6_21rocsparse_index_base_b, .Lfunc_end1-_ZN9rocsparseL18bsrxmvn_4x4_kernelILj128ELj8EfiifffEEvT3_20rocsparse_direction_NS_24const_host_device_scalarIT1_EES1_PKS1_PKT2_SA_S7_PKT4_PKT5_S5_PT6_21rocsparse_index_base_b
                                        ; -- End function
	.set _ZN9rocsparseL18bsrxmvn_4x4_kernelILj128ELj8EfiifffEEvT3_20rocsparse_direction_NS_24const_host_device_scalarIT1_EES1_PKS1_PKT2_SA_S7_PKT4_PKT5_S5_PT6_21rocsparse_index_base_b.num_vgpr, 39
	.set _ZN9rocsparseL18bsrxmvn_4x4_kernelILj128ELj8EfiifffEEvT3_20rocsparse_direction_NS_24const_host_device_scalarIT1_EES1_PKS1_PKT2_SA_S7_PKT4_PKT5_S5_PT6_21rocsparse_index_base_b.num_agpr, 0
	.set _ZN9rocsparseL18bsrxmvn_4x4_kernelILj128ELj8EfiifffEEvT3_20rocsparse_direction_NS_24const_host_device_scalarIT1_EES1_PKS1_PKT2_SA_S7_PKT4_PKT5_S5_PT6_21rocsparse_index_base_b.numbered_sgpr, 22
	.set _ZN9rocsparseL18bsrxmvn_4x4_kernelILj128ELj8EfiifffEEvT3_20rocsparse_direction_NS_24const_host_device_scalarIT1_EES1_PKS1_PKT2_SA_S7_PKT4_PKT5_S5_PT6_21rocsparse_index_base_b.num_named_barrier, 0
	.set _ZN9rocsparseL18bsrxmvn_4x4_kernelILj128ELj8EfiifffEEvT3_20rocsparse_direction_NS_24const_host_device_scalarIT1_EES1_PKS1_PKT2_SA_S7_PKT4_PKT5_S5_PT6_21rocsparse_index_base_b.private_seg_size, 0
	.set _ZN9rocsparseL18bsrxmvn_4x4_kernelILj128ELj8EfiifffEEvT3_20rocsparse_direction_NS_24const_host_device_scalarIT1_EES1_PKS1_PKT2_SA_S7_PKT4_PKT5_S5_PT6_21rocsparse_index_base_b.uses_vcc, 1
	.set _ZN9rocsparseL18bsrxmvn_4x4_kernelILj128ELj8EfiifffEEvT3_20rocsparse_direction_NS_24const_host_device_scalarIT1_EES1_PKS1_PKT2_SA_S7_PKT4_PKT5_S5_PT6_21rocsparse_index_base_b.uses_flat_scratch, 0
	.set _ZN9rocsparseL18bsrxmvn_4x4_kernelILj128ELj8EfiifffEEvT3_20rocsparse_direction_NS_24const_host_device_scalarIT1_EES1_PKS1_PKT2_SA_S7_PKT4_PKT5_S5_PT6_21rocsparse_index_base_b.has_dyn_sized_stack, 0
	.set _ZN9rocsparseL18bsrxmvn_4x4_kernelILj128ELj8EfiifffEEvT3_20rocsparse_direction_NS_24const_host_device_scalarIT1_EES1_PKS1_PKT2_SA_S7_PKT4_PKT5_S5_PT6_21rocsparse_index_base_b.has_recursion, 0
	.set _ZN9rocsparseL18bsrxmvn_4x4_kernelILj128ELj8EfiifffEEvT3_20rocsparse_direction_NS_24const_host_device_scalarIT1_EES1_PKS1_PKT2_SA_S7_PKT4_PKT5_S5_PT6_21rocsparse_index_base_b.has_indirect_call, 0
	.section	.AMDGPU.csdata,"",@progbits
; Kernel info:
; codeLenInByte = 2912
; TotalNumSgprs: 26
; NumVgprs: 39
; ScratchSize: 0
; MemoryBound: 0
; FloatMode: 240
; IeeeMode: 1
; LDSByteSize: 0 bytes/workgroup (compile time only)
; SGPRBlocks: 3
; VGPRBlocks: 9
; NumSGPRsForWavesPerEU: 26
; NumVGPRsForWavesPerEU: 39
; Occupancy: 6
; WaveLimiterHint : 1
; COMPUTE_PGM_RSRC2:SCRATCH_EN: 0
; COMPUTE_PGM_RSRC2:USER_SGPR: 6
; COMPUTE_PGM_RSRC2:TRAP_HANDLER: 0
; COMPUTE_PGM_RSRC2:TGID_X_EN: 1
; COMPUTE_PGM_RSRC2:TGID_Y_EN: 0
; COMPUTE_PGM_RSRC2:TGID_Z_EN: 0
; COMPUTE_PGM_RSRC2:TIDIG_COMP_CNT: 0
	.section	.text._ZN9rocsparseL18bsrxmvn_4x4_kernelILj128ELj16EfiifffEEvT3_20rocsparse_direction_NS_24const_host_device_scalarIT1_EES1_PKS1_PKT2_SA_S7_PKT4_PKT5_S5_PT6_21rocsparse_index_base_b,"axG",@progbits,_ZN9rocsparseL18bsrxmvn_4x4_kernelILj128ELj16EfiifffEEvT3_20rocsparse_direction_NS_24const_host_device_scalarIT1_EES1_PKS1_PKT2_SA_S7_PKT4_PKT5_S5_PT6_21rocsparse_index_base_b,comdat
	.globl	_ZN9rocsparseL18bsrxmvn_4x4_kernelILj128ELj16EfiifffEEvT3_20rocsparse_direction_NS_24const_host_device_scalarIT1_EES1_PKS1_PKT2_SA_S7_PKT4_PKT5_S5_PT6_21rocsparse_index_base_b ; -- Begin function _ZN9rocsparseL18bsrxmvn_4x4_kernelILj128ELj16EfiifffEEvT3_20rocsparse_direction_NS_24const_host_device_scalarIT1_EES1_PKS1_PKT2_SA_S7_PKT4_PKT5_S5_PT6_21rocsparse_index_base_b
	.p2align	8
	.type	_ZN9rocsparseL18bsrxmvn_4x4_kernelILj128ELj16EfiifffEEvT3_20rocsparse_direction_NS_24const_host_device_scalarIT1_EES1_PKS1_PKT2_SA_S7_PKT4_PKT5_S5_PT6_21rocsparse_index_base_b,@function
_ZN9rocsparseL18bsrxmvn_4x4_kernelILj128ELj16EfiifffEEvT3_20rocsparse_direction_NS_24const_host_device_scalarIT1_EES1_PKS1_PKT2_SA_S7_PKT4_PKT5_S5_PT6_21rocsparse_index_base_b: ; @_ZN9rocsparseL18bsrxmvn_4x4_kernelILj128ELj16EfiifffEEvT3_20rocsparse_direction_NS_24const_host_device_scalarIT1_EES1_PKS1_PKT2_SA_S7_PKT4_PKT5_S5_PT6_21rocsparse_index_base_b
; %bb.0:
	s_load_dwordx2 s[20:21], s[4:5], 0x58
	s_load_dwordx2 s[18:19], s[4:5], 0x8
	;; [unrolled: 1-line block ×3, first 2 shown]
	s_waitcnt lgkmcnt(0)
	s_bitcmp1_b32 s21, 0
	s_cselect_b64 s[2:3], -1, 0
	s_xor_b64 s[0:1], s[2:3], -1
	s_and_b64 vcc, exec, s[2:3]
	s_cbranch_vccnz .LBB2_2
; %bb.1:
	s_load_dword s18, s[18:19], 0x0
.LBB2_2:
	s_andn2_b64 vcc, exec, s[0:1]
	s_cbranch_vccnz .LBB2_4
; %bb.3:
	s_load_dword s16, s[16:17], 0x0
.LBB2_4:
	s_waitcnt lgkmcnt(0)
	v_cmp_neq_f32_e64 s[0:1], s18, 0
	v_cmp_neq_f32_e64 s[2:3], s16, 1.0
	s_or_b64 s[0:1], s[0:1], s[2:3]
	s_andn2_b64 vcc, exec, s[0:1]
	s_cbranch_vccnz .LBB2_10
; %bb.5:
	s_load_dwordx2 s[8:9], s[4:5], 0x18
	s_load_dwordx2 s[0:1], s[4:5], 0x0
	v_lshrrev_b32_e32 v1, 4, v0
	v_lshl_or_b32 v4, s6, 3, v1
	s_mov_b64 s[2:3], 0
	s_waitcnt lgkmcnt(0)
	s_cmp_lg_u64 s[8:9], 0
	s_cbranch_scc0 .LBB2_11
; %bb.6:
	s_load_dword s6, s[4:5], 0x10
                                        ; implicit-def: $vgpr1
	s_waitcnt lgkmcnt(0)
	v_cmp_gt_i32_e32 vcc, s6, v4
	s_and_saveexec_b64 s[6:7], vcc
	s_xor_b64 s[6:7], exec, s[6:7]
	s_cbranch_execz .LBB2_8
; %bb.7:
	v_ashrrev_i32_e32 v5, 31, v4
	v_lshlrev_b64 v[1:2], 2, v[4:5]
	v_mov_b32_e32 v3, s9
	v_add_co_u32_e32 v1, vcc, s8, v1
	v_addc_co_u32_e32 v2, vcc, v3, v2, vcc
	global_load_dword v1, v[1:2], off
	s_mov_b64 s[2:3], exec
	s_waitcnt vmcnt(0)
	v_subrev_u32_e32 v1, s20, v1
.LBB2_8:
	s_or_b64 exec, exec, s[6:7]
	s_branch .LBB2_12
.LBB2_9:
	v_cmp_gt_i32_e32 vcc, s0, v4
	s_andn2_b64 s[2:3], s[2:3], exec
	s_and_b64 s[6:7], vcc, exec
	s_or_b64 s[2:3], s[2:3], s[6:7]
	s_and_saveexec_b64 s[6:7], s[2:3]
	s_cbranch_execnz .LBB2_13
.LBB2_10:
	s_endpgm
.LBB2_11:
                                        ; implicit-def: $vgpr1
	s_cbranch_execnz .LBB2_9
.LBB2_12:
	v_mov_b32_e32 v4, v1
	s_and_saveexec_b64 s[6:7], s[2:3]
	s_cbranch_execz .LBB2_10
.LBB2_13:
	s_load_dwordx8 s[8:15], s[4:5], 0x20
	v_ashrrev_i32_e32 v5, 31, v4
	v_lshlrev_b64 v[1:2], 2, v[4:5]
	v_and_b32_e32 v9, 15, v0
	s_load_dwordx2 s[6:7], s[4:5], 0x40
	s_waitcnt lgkmcnt(0)
	v_mov_b32_e32 v3, s9
	v_add_co_u32_e32 v5, vcc, s8, v1
	v_addc_co_u32_e32 v6, vcc, v3, v2, vcc
	v_add_co_u32_e32 v3, vcc, 4, v5
	global_load_dword v15, v[5:6], off
	v_addc_co_u32_e32 v5, vcc, 0, v6, vcc
	v_mov_b32_e32 v6, s11
	v_add_co_u32_e32 v1, vcc, s10, v1
	s_cmp_eq_u64 s[10:11], 0
	v_addc_co_u32_e32 v2, vcc, v6, v2, vcc
	s_cselect_b64 vcc, -1, 0
	v_cndmask_b32_e32 v2, v2, v5, vcc
	v_cndmask_b32_e32 v1, v1, v3, vcc
	global_load_dword v1, v[1:2], off
	v_mov_b32_e32 v5, s15
	s_cmp_eq_u32 s1, 1
	s_waitcnt vmcnt(1)
	v_subrev_u32_e32 v0, s20, v15
	v_add_u32_e32 v0, v0, v9
	s_waitcnt vmcnt(0)
	v_subrev_u32_e32 v10, s20, v1
	v_ashrrev_i32_e32 v1, 31, v0
	v_lshlrev_b64 v[2:3], 6, v[0:1]
	v_cmp_lt_i32_e64 s[0:1], v0, v10
	v_add_co_u32_e32 v2, vcc, s14, v2
	v_addc_co_u32_e32 v3, vcc, v5, v3, vcc
	s_cbranch_scc1 .LBB2_25
; %bb.14:
	v_mov_b32_e32 v11, 0
	v_mov_b32_e32 v12, 0
	;; [unrolled: 1-line block ×4, first 2 shown]
	s_and_saveexec_b64 s[8:9], s[0:1]
	s_cbranch_execz .LBB2_24
; %bb.15:
	v_add_u32_e32 v1, v15, v9
	v_subrev_u32_e32 v1, s20, v1
	v_add_u32_e32 v1, 16, v1
	v_max_i32_e32 v1, v1, v10
	v_not_b32_e32 v5, v15
	v_add3_u32 v1, s20, v1, v5
	v_sub_u32_e32 v1, v1, v9
	v_and_b32_e32 v5, 48, v1
	v_mov_b32_e32 v8, v3
	v_cmp_ne_u32_e32 vcc, 48, v5
	v_mov_b32_e32 v14, 0
	v_mov_b32_e32 v13, 0
	;; [unrolled: 1-line block ×6, first 2 shown]
	s_and_saveexec_b64 s[10:11], vcc
	s_cbranch_execz .LBB2_19
; %bb.16:
	v_lshrrev_b32_e32 v5, 4, v1
	v_add_u32_e32 v5, 1, v5
	v_and_b32_e32 v5, 3, v5
	v_mov_b32_e32 v8, v3
	v_sub_u32_e32 v16, 0, v5
	v_mov_b32_e32 v11, 0
	s_mov_b64 s[14:15], 0
	v_mov_b32_e32 v17, s13
	v_mov_b32_e32 v18, s7
	v_mov_b32_e32 v7, v2
	v_mov_b32_e32 v5, v0
	v_mov_b32_e32 v12, 0
	v_mov_b32_e32 v13, 0
	v_mov_b32_e32 v14, 0
.LBB2_17:                               ; =>This Inner Loop Header: Depth=1
	v_ashrrev_i32_e32 v6, 31, v5
	v_lshlrev_b64 v[27:28], 2, v[5:6]
	global_load_dwordx4 v[19:22], v[7:8], off
	global_load_dwordx4 v[23:26], v[7:8], off offset:16
	v_add_co_u32_e32 v27, vcc, s12, v27
	v_addc_co_u32_e32 v28, vcc, v17, v28, vcc
	global_load_dword v6, v[27:28], off
	v_add_co_u32_e64 v16, s[2:3], 1, v16
	v_add_u32_e32 v5, 16, v5
	s_or_b64 s[14:15], s[2:3], s[14:15]
	s_waitcnt vmcnt(0)
	v_subrev_u32_e32 v6, s20, v6
	v_lshlrev_b32_e32 v27, 2, v6
	v_ashrrev_i32_e32 v28, 31, v27
	v_lshlrev_b64 v[27:28], 2, v[27:28]
	v_add_co_u32_e32 v27, vcc, s6, v27
	v_addc_co_u32_e32 v28, vcc, v18, v28, vcc
	global_load_dwordx4 v[27:30], v[27:28], off
	s_waitcnt vmcnt(0)
	v_fmac_f32_e32 v14, v19, v27
	v_fmac_f32_e32 v13, v23, v27
	;; [unrolled: 1-line block ×7, first 2 shown]
	global_load_dwordx4 v[19:22], v[7:8], off offset:32
	v_fmac_f32_e32 v13, v26, v30
	global_load_dwordx4 v[23:26], v[7:8], off offset:48
	v_add_co_u32_e32 v7, vcc, 0x400, v7
	v_addc_co_u32_e32 v8, vcc, 0, v8, vcc
	s_waitcnt vmcnt(1)
	v_fmac_f32_e32 v12, v19, v27
	v_fmac_f32_e32 v12, v20, v28
	s_waitcnt vmcnt(0)
	v_fmac_f32_e32 v11, v23, v27
	v_fmac_f32_e32 v11, v24, v28
	;; [unrolled: 1-line block ×6, first 2 shown]
	s_andn2_b64 exec, exec, s[14:15]
	s_cbranch_execnz .LBB2_17
; %bb.18:
	s_or_b64 exec, exec, s[14:15]
.LBB2_19:
	s_or_b64 exec, exec, s[10:11]
	v_cmp_lt_u32_e32 vcc, 47, v1
	s_and_saveexec_b64 s[2:3], vcc
	s_cbranch_execz .LBB2_23
; %bb.20:
	s_mov_b64 s[10:11], 0
	v_mov_b32_e32 v1, s13
	v_mov_b32_e32 v16, s7
.LBB2_21:                               ; =>This Inner Loop Header: Depth=1
	v_ashrrev_i32_e32 v6, 31, v5
	v_lshlrev_b64 v[25:26], 2, v[5:6]
	global_load_dwordx4 v[17:20], v[7:8], off
	global_load_dwordx4 v[21:24], v[7:8], off offset:16
	v_add_co_u32_e32 v25, vcc, s12, v25
	v_addc_co_u32_e32 v26, vcc, v1, v26, vcc
	global_load_dword v6, v[25:26], off
	global_load_dword v27, v[25:26], off offset:64
	global_load_dword v37, v[25:26], off offset:128
	;; [unrolled: 1-line block ×3, first 2 shown]
	v_add_u32_e32 v5, 64, v5
	s_waitcnt vmcnt(3)
	v_subrev_u32_e32 v6, s20, v6
	s_waitcnt vmcnt(2)
	v_subrev_u32_e32 v26, s20, v27
	v_lshlrev_b32_e32 v25, 2, v6
	v_lshlrev_b32_e32 v27, 2, v26
	v_ashrrev_i32_e32 v26, 31, v25
	v_lshlrev_b64 v[25:26], 2, v[25:26]
	v_ashrrev_i32_e32 v28, 31, v27
	v_lshlrev_b64 v[27:28], 2, v[27:28]
	v_add_co_u32_e32 v33, vcc, s6, v25
	v_addc_co_u32_e32 v34, vcc, v16, v26, vcc
	v_add_co_u32_e32 v35, vcc, s6, v27
	v_addc_co_u32_e32 v36, vcc, v16, v28, vcc
	global_load_dwordx4 v[25:28], v[33:34], off
	global_load_dwordx4 v[29:32], v[35:36], off
	s_waitcnt vmcnt(3)
	v_subrev_u32_e32 v6, s20, v37
	s_waitcnt vmcnt(1)
	v_fmac_f32_e32 v14, v17, v25
	v_fmac_f32_e32 v13, v21, v25
	;; [unrolled: 1-line block ×8, first 2 shown]
	global_load_dwordx4 v[17:20], v[7:8], off offset:32
	global_load_dwordx4 v[21:24], v[7:8], off offset:48
	s_waitcnt vmcnt(1)
	v_fmac_f32_e32 v12, v17, v25
	s_waitcnt vmcnt(0)
	v_fmac_f32_e32 v11, v21, v25
	v_fmac_f32_e32 v12, v18, v26
	;; [unrolled: 1-line block ×7, first 2 shown]
	global_load_dwordx4 v[17:20], v[7:8], off offset:1024
	global_load_dwordx4 v[21:24], v[7:8], off offset:1040
	v_subrev_u32_e32 v26, s20, v38
	v_lshlrev_b32_e32 v25, 2, v6
	v_lshlrev_b32_e32 v27, 2, v26
	v_ashrrev_i32_e32 v26, 31, v25
	v_lshlrev_b64 v[25:26], 2, v[25:26]
	v_ashrrev_i32_e32 v28, 31, v27
	v_lshlrev_b64 v[27:28], 2, v[27:28]
	v_add_co_u32_e32 v33, vcc, s6, v25
	v_addc_co_u32_e32 v34, vcc, v16, v26, vcc
	v_add_co_u32_e32 v35, vcc, s6, v27
	v_addc_co_u32_e32 v36, vcc, v16, v28, vcc
	s_waitcnt vmcnt(1)
	v_fmac_f32_e32 v14, v17, v29
	v_fmac_f32_e32 v14, v18, v30
	s_waitcnt vmcnt(0)
	v_fmac_f32_e32 v13, v21, v29
	v_fmac_f32_e32 v14, v19, v31
	;; [unrolled: 1-line block ×4, first 2 shown]
	global_load_dwordx4 v[17:20], v[7:8], off offset:1056
	v_fmac_f32_e32 v13, v23, v31
	v_fmac_f32_e32 v13, v24, v32
	global_load_dwordx4 v[21:24], v[7:8], off offset:1072
	s_waitcnt vmcnt(1)
	v_fmac_f32_e32 v12, v17, v29
	v_fmac_f32_e32 v12, v18, v30
	;; [unrolled: 1-line block ×3, first 2 shown]
	s_waitcnt vmcnt(0)
	v_fmac_f32_e32 v11, v21, v29
	v_fmac_f32_e32 v11, v22, v30
	;; [unrolled: 1-line block ×3, first 2 shown]
	global_load_dwordx4 v[17:20], v[7:8], off offset:2048
	v_fmac_f32_e32 v11, v23, v31
	v_fmac_f32_e32 v11, v24, v32
	global_load_dwordx4 v[21:24], v[7:8], off offset:2064
	global_load_dwordx4 v[25:28], v[33:34], off
	global_load_dwordx4 v[29:32], v[35:36], off
	s_waitcnt vmcnt(1)
	v_fmac_f32_e32 v14, v17, v25
	v_fmac_f32_e32 v14, v18, v26
	v_fmac_f32_e32 v14, v19, v27
	v_fmac_f32_e32 v14, v20, v28
	global_load_dwordx4 v[17:20], v[7:8], off offset:2080
	v_fmac_f32_e32 v13, v21, v25
	v_fmac_f32_e32 v13, v22, v26
	;; [unrolled: 1-line block ×4, first 2 shown]
	global_load_dwordx4 v[21:24], v[7:8], off offset:2096
	s_waitcnt vmcnt(1)
	v_fmac_f32_e32 v12, v17, v25
	v_fmac_f32_e32 v12, v18, v26
	;; [unrolled: 1-line block ×4, first 2 shown]
	global_load_dwordx4 v[17:20], v[7:8], off offset:3072
	s_waitcnt vmcnt(1)
	v_fmac_f32_e32 v11, v21, v25
	v_fmac_f32_e32 v11, v22, v26
	;; [unrolled: 1-line block ×4, first 2 shown]
	global_load_dwordx4 v[21:24], v[7:8], off offset:3088
	global_load_dwordx4 v[25:28], v[7:8], off offset:3104
	s_waitcnt vmcnt(2)
	v_fmac_f32_e32 v14, v17, v29
	v_fmac_f32_e32 v14, v18, v30
	;; [unrolled: 1-line block ×4, first 2 shown]
	global_load_dwordx4 v[17:20], v[7:8], off offset:3120
	v_add_co_u32_e32 v7, vcc, 0x1000, v7
	s_waitcnt vmcnt(2)
	v_fmac_f32_e32 v13, v21, v29
	s_waitcnt vmcnt(1)
	v_fmac_f32_e32 v12, v25, v29
	v_addc_co_u32_e32 v8, vcc, 0, v8, vcc
	v_fmac_f32_e32 v13, v22, v30
	v_fmac_f32_e32 v12, v26, v30
	v_cmp_ge_i32_e32 vcc, v5, v10
	v_fmac_f32_e32 v13, v23, v31
	v_fmac_f32_e32 v12, v27, v31
	s_or_b64 s[10:11], vcc, s[10:11]
	v_fmac_f32_e32 v13, v24, v32
	v_fmac_f32_e32 v12, v28, v32
	s_waitcnt vmcnt(0)
	v_fmac_f32_e32 v11, v17, v29
	v_fmac_f32_e32 v11, v18, v30
	;; [unrolled: 1-line block ×4, first 2 shown]
	s_andn2_b64 exec, exec, s[10:11]
	s_cbranch_execnz .LBB2_21
; %bb.22:
	s_or_b64 exec, exec, s[10:11]
.LBB2_23:
	s_or_b64 exec, exec, s[2:3]
.LBB2_24:
	s_or_b64 exec, exec, s[8:9]
	s_cbranch_execz .LBB2_26
	s_branch .LBB2_37
.LBB2_25:
                                        ; implicit-def: $vgpr11
                                        ; implicit-def: $vgpr12
                                        ; implicit-def: $vgpr13
                                        ; implicit-def: $vgpr14
.LBB2_26:
	v_mov_b32_e32 v11, 0
	v_mov_b32_e32 v12, 0
	;; [unrolled: 1-line block ×4, first 2 shown]
	s_and_saveexec_b64 s[2:3], s[0:1]
	s_cbranch_execz .LBB2_36
; %bb.27:
	v_add_u32_e32 v1, v15, v9
	v_subrev_u32_e32 v1, s20, v1
	v_add_u32_e32 v1, 16, v1
	v_max_i32_e32 v1, v1, v10
	v_not_b32_e32 v5, v15
	v_add3_u32 v1, s20, v1, v5
	v_sub_u32_e32 v5, v1, v9
	v_and_b32_e32 v1, 48, v5
	v_cmp_ne_u32_e32 vcc, 48, v1
	v_mov_b32_e32 v14, 0
	v_mov_b32_e32 v13, 0
	;; [unrolled: 1-line block ×4, first 2 shown]
	s_and_saveexec_b64 s[8:9], vcc
	s_cbranch_execz .LBB2_31
; %bb.28:
	v_lshrrev_b32_e32 v1, 4, v5
	v_add_u32_e32 v1, 1, v1
	v_and_b32_e32 v1, 3, v1
	v_sub_u32_e32 v6, 0, v1
	v_mov_b32_e32 v11, 0
	s_mov_b64 s[10:11], 0
	v_mov_b32_e32 v7, s13
	v_mov_b32_e32 v8, s7
	;; [unrolled: 1-line block ×5, first 2 shown]
.LBB2_29:                               ; =>This Inner Loop Header: Depth=1
	v_ashrrev_i32_e32 v1, 31, v0
	v_lshlrev_b64 v[27:28], 2, v[0:1]
	global_load_dwordx4 v[15:18], v[2:3], off offset:16
	global_load_dwordx4 v[19:22], v[2:3], off
	global_load_dwordx4 v[23:26], v[2:3], off offset:32
	v_add_co_u32_e32 v27, vcc, s12, v27
	v_addc_co_u32_e32 v28, vcc, v7, v28, vcc
	global_load_dword v1, v[27:28], off
	v_add_co_u32_e64 v6, s[0:1], 1, v6
	v_add_u32_e32 v0, 16, v0
	s_or_b64 s[10:11], s[0:1], s[10:11]
	s_waitcnt vmcnt(0)
	v_subrev_u32_e32 v1, s20, v1
	v_lshlrev_b32_e32 v27, 2, v1
	v_ashrrev_i32_e32 v28, 31, v27
	v_lshlrev_b64 v[27:28], 2, v[27:28]
	v_add_co_u32_e32 v27, vcc, s6, v27
	v_addc_co_u32_e32 v28, vcc, v8, v28, vcc
	global_load_dwordx4 v[27:30], v[27:28], off
	s_waitcnt vmcnt(0)
	v_fmac_f32_e32 v14, v19, v27
	v_fmac_f32_e32 v13, v20, v27
	;; [unrolled: 1-line block ×4, first 2 shown]
	global_load_dwordx4 v[19:22], v[2:3], off offset:48
	v_fmac_f32_e32 v14, v15, v28
	v_fmac_f32_e32 v13, v16, v28
	;; [unrolled: 1-line block ×4, first 2 shown]
	v_add_co_u32_e32 v2, vcc, 0x400, v2
	v_fmac_f32_e32 v14, v23, v29
	v_fmac_f32_e32 v13, v24, v29
	v_fmac_f32_e32 v12, v25, v29
	v_fmac_f32_e32 v11, v26, v29
	v_addc_co_u32_e32 v3, vcc, 0, v3, vcc
	s_waitcnt vmcnt(0)
	v_fmac_f32_e32 v14, v19, v30
	v_fmac_f32_e32 v13, v20, v30
	;; [unrolled: 1-line block ×4, first 2 shown]
	s_andn2_b64 exec, exec, s[10:11]
	s_cbranch_execnz .LBB2_29
; %bb.30:
	s_or_b64 exec, exec, s[10:11]
.LBB2_31:
	s_or_b64 exec, exec, s[8:9]
	v_cmp_lt_u32_e32 vcc, 47, v5
	s_and_saveexec_b64 s[0:1], vcc
	s_cbranch_execz .LBB2_35
; %bb.32:
	s_mov_b64 s[8:9], 0
	v_mov_b32_e32 v5, s13
	v_mov_b32_e32 v6, s7
.LBB2_33:                               ; =>This Inner Loop Header: Depth=1
	v_ashrrev_i32_e32 v1, 31, v0
	v_lshlrev_b64 v[7:8], 2, v[0:1]
	global_load_dwordx4 v[15:18], v[2:3], off
	global_load_dwordx4 v[19:22], v[2:3], off offset:16
	v_add_co_u32_e32 v7, vcc, s12, v7
	v_addc_co_u32_e32 v8, vcc, v5, v8, vcc
	global_load_dword v1, v[7:8], off
	global_load_dword v23, v[7:8], off offset:64
	global_load_dword v33, v[7:8], off offset:128
	;; [unrolled: 1-line block ×3, first 2 shown]
	v_add_u32_e32 v0, 64, v0
	s_waitcnt vmcnt(3)
	v_subrev_u32_e32 v1, s20, v1
	s_waitcnt vmcnt(2)
	v_subrev_u32_e32 v8, s20, v23
	v_lshlrev_b32_e32 v7, 2, v1
	v_lshlrev_b32_e32 v23, 2, v8
	v_ashrrev_i32_e32 v8, 31, v7
	v_lshlrev_b64 v[7:8], 2, v[7:8]
	v_ashrrev_i32_e32 v24, 31, v23
	v_lshlrev_b64 v[23:24], 2, v[23:24]
	v_add_co_u32_e32 v7, vcc, s6, v7
	v_addc_co_u32_e32 v8, vcc, v6, v8, vcc
	v_add_co_u32_e32 v31, vcc, s6, v23
	v_addc_co_u32_e32 v32, vcc, v6, v24, vcc
	global_load_dwordx4 v[23:26], v[7:8], off
	global_load_dwordx4 v[27:30], v[31:32], off
	s_waitcnt vmcnt(3)
	v_subrev_u32_e32 v1, s20, v33
	s_waitcnt vmcnt(2)
	v_subrev_u32_e32 v8, s20, v34
	v_lshlrev_b32_e32 v7, 2, v1
	s_waitcnt vmcnt(1)
	v_fmac_f32_e32 v14, v15, v23
	v_fmac_f32_e32 v13, v16, v23
	;; [unrolled: 1-line block ×8, first 2 shown]
	global_load_dwordx4 v[15:18], v[2:3], off offset:32
	global_load_dwordx4 v[19:22], v[2:3], off offset:48
	v_lshlrev_b32_e32 v23, 2, v8
	v_ashrrev_i32_e32 v8, 31, v7
	v_lshlrev_b64 v[7:8], 2, v[7:8]
	v_ashrrev_i32_e32 v24, 31, v23
	v_lshlrev_b64 v[23:24], 2, v[23:24]
	v_add_co_u32_e32 v7, vcc, s6, v7
	v_addc_co_u32_e32 v8, vcc, v6, v8, vcc
	v_add_co_u32_e32 v31, vcc, s6, v23
	v_addc_co_u32_e32 v32, vcc, v6, v24, vcc
	s_waitcnt vmcnt(1)
	v_fmac_f32_e32 v14, v15, v25
	v_fmac_f32_e32 v13, v16, v25
	v_fmac_f32_e32 v12, v17, v25
	v_fmac_f32_e32 v11, v18, v25
	s_waitcnt vmcnt(0)
	v_fmac_f32_e32 v14, v19, v26
	v_fmac_f32_e32 v13, v20, v26
	;; [unrolled: 1-line block ×4, first 2 shown]
	global_load_dwordx4 v[15:18], v[2:3], off offset:1024
	global_load_dwordx4 v[19:22], v[2:3], off offset:1040
	s_waitcnt vmcnt(1)
	v_fmac_f32_e32 v14, v15, v27
	v_fmac_f32_e32 v13, v16, v27
	v_fmac_f32_e32 v12, v17, v27
	v_fmac_f32_e32 v11, v18, v27
	global_load_dwordx4 v[15:18], v[2:3], off offset:1056
	s_waitcnt vmcnt(1)
	v_fmac_f32_e32 v14, v19, v28
	v_fmac_f32_e32 v13, v20, v28
	v_fmac_f32_e32 v12, v21, v28
	v_fmac_f32_e32 v11, v22, v28
	;; [unrolled: 6-line block ×4, first 2 shown]
	global_load_dwordx4 v[19:22], v[2:3], off offset:2064
	global_load_dwordx4 v[23:26], v[7:8], off
	global_load_dwordx4 v[27:30], v[31:32], off
	s_waitcnt vmcnt(1)
	v_fmac_f32_e32 v14, v15, v23
	v_fmac_f32_e32 v13, v16, v23
	;; [unrolled: 1-line block ×4, first 2 shown]
	global_load_dwordx4 v[15:18], v[2:3], off offset:2080
	v_fmac_f32_e32 v14, v19, v24
	v_fmac_f32_e32 v13, v20, v24
	;; [unrolled: 1-line block ×4, first 2 shown]
	global_load_dwordx4 v[19:22], v[2:3], off offset:2096
	s_waitcnt vmcnt(1)
	v_fmac_f32_e32 v14, v15, v25
	v_fmac_f32_e32 v13, v16, v25
	;; [unrolled: 1-line block ×4, first 2 shown]
	global_load_dwordx4 v[15:18], v[2:3], off offset:3072
	s_waitcnt vmcnt(1)
	v_fmac_f32_e32 v14, v19, v26
	v_fmac_f32_e32 v13, v20, v26
	;; [unrolled: 1-line block ×4, first 2 shown]
	global_load_dwordx4 v[19:22], v[2:3], off offset:3088
	global_load_dwordx4 v[23:26], v[2:3], off offset:3104
	s_waitcnt vmcnt(2)
	v_fmac_f32_e32 v14, v15, v27
	v_fmac_f32_e32 v13, v16, v27
	;; [unrolled: 1-line block ×4, first 2 shown]
	global_load_dwordx4 v[15:18], v[2:3], off offset:3120
	v_add_co_u32_e32 v2, vcc, 0x1000, v2
	v_addc_co_u32_e32 v3, vcc, 0, v3, vcc
	s_waitcnt vmcnt(2)
	v_fmac_f32_e32 v14, v19, v28
	v_fmac_f32_e32 v13, v20, v28
	v_fmac_f32_e32 v12, v21, v28
	v_fmac_f32_e32 v11, v22, v28
	v_cmp_ge_i32_e32 vcc, v0, v10
	s_waitcnt vmcnt(1)
	v_fmac_f32_e32 v14, v23, v29
	v_fmac_f32_e32 v13, v24, v29
	;; [unrolled: 1-line block ×4, first 2 shown]
	s_or_b64 s[8:9], vcc, s[8:9]
	s_waitcnt vmcnt(0)
	v_fmac_f32_e32 v14, v15, v30
	v_fmac_f32_e32 v13, v16, v30
	;; [unrolled: 1-line block ×4, first 2 shown]
	s_andn2_b64 exec, exec, s[8:9]
	s_cbranch_execnz .LBB2_33
; %bb.34:
	s_or_b64 exec, exec, s[8:9]
.LBB2_35:
	s_or_b64 exec, exec, s[0:1]
.LBB2_36:
	s_or_b64 exec, exec, s[2:3]
.LBB2_37:
	v_mov_b32_dpp v0, v14 row_shr:1 row_mask:0xf bank_mask:0xf
	v_mov_b32_dpp v2, v13 row_shr:1 row_mask:0xf bank_mask:0xf
	v_mov_b32_dpp v5, v12 row_shr:1 row_mask:0xf bank_mask:0xf
	v_mov_b32_dpp v7, v11 row_shr:1 row_mask:0xf bank_mask:0xf
	v_add_f32_e32 v0, v14, v0
	v_add_f32_e32 v2, v13, v2
	v_add_f32_e32 v5, v12, v5
	v_add_f32_e32 v7, v11, v7
	v_mov_b32_dpp v1, v0 row_shr:2 row_mask:0xf bank_mask:0xf
	v_mov_b32_dpp v3, v2 row_shr:2 row_mask:0xf bank_mask:0xf
	v_mov_b32_dpp v6, v5 row_shr:2 row_mask:0xf bank_mask:0xf
	v_mov_b32_dpp v8, v7 row_shr:2 row_mask:0xf bank_mask:0xf
	v_add_f32_e32 v0, v0, v1
	v_add_f32_e32 v2, v2, v3
	v_add_f32_e32 v5, v5, v6
	v_add_f32_e32 v7, v7, v8
	;; [unrolled: 8-line block ×3, first 2 shown]
	v_mov_b32_dpp v1, v0 row_shr:8 row_mask:0xf bank_mask:0xc
	v_mov_b32_dpp v3, v2 row_shr:8 row_mask:0xf bank_mask:0xc
	;; [unrolled: 1-line block ×4, first 2 shown]
	v_cmp_eq_u32_e32 vcc, 15, v9
	s_and_b64 exec, exec, vcc
	s_cbranch_execz .LBB2_10
; %bb.38:
	s_load_dwordx2 s[0:1], s[4:5], 0x50
	v_add_f32_e32 v0, v0, v1
	v_add_f32_e32 v1, v2, v3
	v_add_f32_e32 v2, v5, v6
	v_add_f32_e32 v3, v7, v8
	v_cmp_eq_f32_e64 s[2:3], s16, 0
	s_and_b64 vcc, exec, s[2:3]
	v_mul_f32_e32 v0, s18, v0
	v_mul_f32_e32 v1, s18, v1
	v_mul_f32_e32 v2, s18, v2
	v_mul_f32_e32 v3, s18, v3
	v_lshlrev_b32_e32 v4, 2, v4
	s_cbranch_vccz .LBB2_40
; %bb.39:
	v_ashrrev_i32_e32 v5, 31, v4
	v_lshlrev_b64 v[5:6], 2, v[4:5]
	s_waitcnt lgkmcnt(0)
	v_mov_b32_e32 v7, s1
	v_add_co_u32_e32 v5, vcc, s0, v5
	v_addc_co_u32_e32 v6, vcc, v7, v6, vcc
	global_store_dwordx4 v[5:6], v[0:3], off
	s_cbranch_execnz .LBB2_10
	s_branch .LBB2_41
.LBB2_40:
.LBB2_41:
	v_ashrrev_i32_e32 v5, 31, v4
	v_lshlrev_b64 v[4:5], 2, v[4:5]
	s_waitcnt lgkmcnt(0)
	v_mov_b32_e32 v6, s1
	v_add_co_u32_e32 v8, vcc, s0, v4
	v_addc_co_u32_e32 v9, vcc, v6, v5, vcc
	global_load_dwordx4 v[4:7], v[8:9], off
	s_waitcnt vmcnt(0)
	v_fmac_f32_e32 v0, s16, v4
	v_fmac_f32_e32 v1, s16, v5
	;; [unrolled: 1-line block ×4, first 2 shown]
	global_store_dwordx4 v[8:9], v[0:3], off
	s_endpgm
	.section	.rodata,"a",@progbits
	.p2align	6, 0x0
	.amdhsa_kernel _ZN9rocsparseL18bsrxmvn_4x4_kernelILj128ELj16EfiifffEEvT3_20rocsparse_direction_NS_24const_host_device_scalarIT1_EES1_PKS1_PKT2_SA_S7_PKT4_PKT5_S5_PT6_21rocsparse_index_base_b
		.amdhsa_group_segment_fixed_size 0
		.amdhsa_private_segment_fixed_size 0
		.amdhsa_kernarg_size 96
		.amdhsa_user_sgpr_count 6
		.amdhsa_user_sgpr_private_segment_buffer 1
		.amdhsa_user_sgpr_dispatch_ptr 0
		.amdhsa_user_sgpr_queue_ptr 0
		.amdhsa_user_sgpr_kernarg_segment_ptr 1
		.amdhsa_user_sgpr_dispatch_id 0
		.amdhsa_user_sgpr_flat_scratch_init 0
		.amdhsa_user_sgpr_private_segment_size 0
		.amdhsa_uses_dynamic_stack 0
		.amdhsa_system_sgpr_private_segment_wavefront_offset 0
		.amdhsa_system_sgpr_workgroup_id_x 1
		.amdhsa_system_sgpr_workgroup_id_y 0
		.amdhsa_system_sgpr_workgroup_id_z 0
		.amdhsa_system_sgpr_workgroup_info 0
		.amdhsa_system_vgpr_workitem_id 0
		.amdhsa_next_free_vgpr 39
		.amdhsa_next_free_sgpr 22
		.amdhsa_reserve_vcc 1
		.amdhsa_reserve_flat_scratch 0
		.amdhsa_float_round_mode_32 0
		.amdhsa_float_round_mode_16_64 0
		.amdhsa_float_denorm_mode_32 3
		.amdhsa_float_denorm_mode_16_64 3
		.amdhsa_dx10_clamp 1
		.amdhsa_ieee_mode 1
		.amdhsa_fp16_overflow 0
		.amdhsa_exception_fp_ieee_invalid_op 0
		.amdhsa_exception_fp_denorm_src 0
		.amdhsa_exception_fp_ieee_div_zero 0
		.amdhsa_exception_fp_ieee_overflow 0
		.amdhsa_exception_fp_ieee_underflow 0
		.amdhsa_exception_fp_ieee_inexact 0
		.amdhsa_exception_int_div_zero 0
	.end_amdhsa_kernel
	.section	.text._ZN9rocsparseL18bsrxmvn_4x4_kernelILj128ELj16EfiifffEEvT3_20rocsparse_direction_NS_24const_host_device_scalarIT1_EES1_PKS1_PKT2_SA_S7_PKT4_PKT5_S5_PT6_21rocsparse_index_base_b,"axG",@progbits,_ZN9rocsparseL18bsrxmvn_4x4_kernelILj128ELj16EfiifffEEvT3_20rocsparse_direction_NS_24const_host_device_scalarIT1_EES1_PKS1_PKT2_SA_S7_PKT4_PKT5_S5_PT6_21rocsparse_index_base_b,comdat
.Lfunc_end2:
	.size	_ZN9rocsparseL18bsrxmvn_4x4_kernelILj128ELj16EfiifffEEvT3_20rocsparse_direction_NS_24const_host_device_scalarIT1_EES1_PKS1_PKT2_SA_S7_PKT4_PKT5_S5_PT6_21rocsparse_index_base_b, .Lfunc_end2-_ZN9rocsparseL18bsrxmvn_4x4_kernelILj128ELj16EfiifffEEvT3_20rocsparse_direction_NS_24const_host_device_scalarIT1_EES1_PKS1_PKT2_SA_S7_PKT4_PKT5_S5_PT6_21rocsparse_index_base_b
                                        ; -- End function
	.set _ZN9rocsparseL18bsrxmvn_4x4_kernelILj128ELj16EfiifffEEvT3_20rocsparse_direction_NS_24const_host_device_scalarIT1_EES1_PKS1_PKT2_SA_S7_PKT4_PKT5_S5_PT6_21rocsparse_index_base_b.num_vgpr, 39
	.set _ZN9rocsparseL18bsrxmvn_4x4_kernelILj128ELj16EfiifffEEvT3_20rocsparse_direction_NS_24const_host_device_scalarIT1_EES1_PKS1_PKT2_SA_S7_PKT4_PKT5_S5_PT6_21rocsparse_index_base_b.num_agpr, 0
	.set _ZN9rocsparseL18bsrxmvn_4x4_kernelILj128ELj16EfiifffEEvT3_20rocsparse_direction_NS_24const_host_device_scalarIT1_EES1_PKS1_PKT2_SA_S7_PKT4_PKT5_S5_PT6_21rocsparse_index_base_b.numbered_sgpr, 22
	.set _ZN9rocsparseL18bsrxmvn_4x4_kernelILj128ELj16EfiifffEEvT3_20rocsparse_direction_NS_24const_host_device_scalarIT1_EES1_PKS1_PKT2_SA_S7_PKT4_PKT5_S5_PT6_21rocsparse_index_base_b.num_named_barrier, 0
	.set _ZN9rocsparseL18bsrxmvn_4x4_kernelILj128ELj16EfiifffEEvT3_20rocsparse_direction_NS_24const_host_device_scalarIT1_EES1_PKS1_PKT2_SA_S7_PKT4_PKT5_S5_PT6_21rocsparse_index_base_b.private_seg_size, 0
	.set _ZN9rocsparseL18bsrxmvn_4x4_kernelILj128ELj16EfiifffEEvT3_20rocsparse_direction_NS_24const_host_device_scalarIT1_EES1_PKS1_PKT2_SA_S7_PKT4_PKT5_S5_PT6_21rocsparse_index_base_b.uses_vcc, 1
	.set _ZN9rocsparseL18bsrxmvn_4x4_kernelILj128ELj16EfiifffEEvT3_20rocsparse_direction_NS_24const_host_device_scalarIT1_EES1_PKS1_PKT2_SA_S7_PKT4_PKT5_S5_PT6_21rocsparse_index_base_b.uses_flat_scratch, 0
	.set _ZN9rocsparseL18bsrxmvn_4x4_kernelILj128ELj16EfiifffEEvT3_20rocsparse_direction_NS_24const_host_device_scalarIT1_EES1_PKS1_PKT2_SA_S7_PKT4_PKT5_S5_PT6_21rocsparse_index_base_b.has_dyn_sized_stack, 0
	.set _ZN9rocsparseL18bsrxmvn_4x4_kernelILj128ELj16EfiifffEEvT3_20rocsparse_direction_NS_24const_host_device_scalarIT1_EES1_PKS1_PKT2_SA_S7_PKT4_PKT5_S5_PT6_21rocsparse_index_base_b.has_recursion, 0
	.set _ZN9rocsparseL18bsrxmvn_4x4_kernelILj128ELj16EfiifffEEvT3_20rocsparse_direction_NS_24const_host_device_scalarIT1_EES1_PKS1_PKT2_SA_S7_PKT4_PKT5_S5_PT6_21rocsparse_index_base_b.has_indirect_call, 0
	.section	.AMDGPU.csdata,"",@progbits
; Kernel info:
; codeLenInByte = 2960
; TotalNumSgprs: 26
; NumVgprs: 39
; ScratchSize: 0
; MemoryBound: 0
; FloatMode: 240
; IeeeMode: 1
; LDSByteSize: 0 bytes/workgroup (compile time only)
; SGPRBlocks: 3
; VGPRBlocks: 9
; NumSGPRsForWavesPerEU: 26
; NumVGPRsForWavesPerEU: 39
; Occupancy: 6
; WaveLimiterHint : 1
; COMPUTE_PGM_RSRC2:SCRATCH_EN: 0
; COMPUTE_PGM_RSRC2:USER_SGPR: 6
; COMPUTE_PGM_RSRC2:TRAP_HANDLER: 0
; COMPUTE_PGM_RSRC2:TGID_X_EN: 1
; COMPUTE_PGM_RSRC2:TGID_Y_EN: 0
; COMPUTE_PGM_RSRC2:TGID_Z_EN: 0
; COMPUTE_PGM_RSRC2:TIDIG_COMP_CNT: 0
	.section	.text._ZN9rocsparseL18bsrxmvn_4x4_kernelILj128ELj32EfiifffEEvT3_20rocsparse_direction_NS_24const_host_device_scalarIT1_EES1_PKS1_PKT2_SA_S7_PKT4_PKT5_S5_PT6_21rocsparse_index_base_b,"axG",@progbits,_ZN9rocsparseL18bsrxmvn_4x4_kernelILj128ELj32EfiifffEEvT3_20rocsparse_direction_NS_24const_host_device_scalarIT1_EES1_PKS1_PKT2_SA_S7_PKT4_PKT5_S5_PT6_21rocsparse_index_base_b,comdat
	.globl	_ZN9rocsparseL18bsrxmvn_4x4_kernelILj128ELj32EfiifffEEvT3_20rocsparse_direction_NS_24const_host_device_scalarIT1_EES1_PKS1_PKT2_SA_S7_PKT4_PKT5_S5_PT6_21rocsparse_index_base_b ; -- Begin function _ZN9rocsparseL18bsrxmvn_4x4_kernelILj128ELj32EfiifffEEvT3_20rocsparse_direction_NS_24const_host_device_scalarIT1_EES1_PKS1_PKT2_SA_S7_PKT4_PKT5_S5_PT6_21rocsparse_index_base_b
	.p2align	8
	.type	_ZN9rocsparseL18bsrxmvn_4x4_kernelILj128ELj32EfiifffEEvT3_20rocsparse_direction_NS_24const_host_device_scalarIT1_EES1_PKS1_PKT2_SA_S7_PKT4_PKT5_S5_PT6_21rocsparse_index_base_b,@function
_ZN9rocsparseL18bsrxmvn_4x4_kernelILj128ELj32EfiifffEEvT3_20rocsparse_direction_NS_24const_host_device_scalarIT1_EES1_PKS1_PKT2_SA_S7_PKT4_PKT5_S5_PT6_21rocsparse_index_base_b: ; @_ZN9rocsparseL18bsrxmvn_4x4_kernelILj128ELj32EfiifffEEvT3_20rocsparse_direction_NS_24const_host_device_scalarIT1_EES1_PKS1_PKT2_SA_S7_PKT4_PKT5_S5_PT6_21rocsparse_index_base_b
; %bb.0:
	s_load_dwordx2 s[20:21], s[4:5], 0x58
	s_load_dwordx2 s[18:19], s[4:5], 0x8
	;; [unrolled: 1-line block ×3, first 2 shown]
	s_waitcnt lgkmcnt(0)
	s_bitcmp1_b32 s21, 0
	s_cselect_b64 s[2:3], -1, 0
	s_xor_b64 s[0:1], s[2:3], -1
	s_and_b64 vcc, exec, s[2:3]
	s_cbranch_vccnz .LBB3_2
; %bb.1:
	s_load_dword s18, s[18:19], 0x0
.LBB3_2:
	s_andn2_b64 vcc, exec, s[0:1]
	s_cbranch_vccnz .LBB3_4
; %bb.3:
	s_load_dword s16, s[16:17], 0x0
.LBB3_4:
	s_waitcnt lgkmcnt(0)
	v_cmp_neq_f32_e64 s[0:1], s18, 0
	v_cmp_neq_f32_e64 s[2:3], s16, 1.0
	s_or_b64 s[0:1], s[0:1], s[2:3]
	s_andn2_b64 vcc, exec, s[0:1]
	s_cbranch_vccnz .LBB3_10
; %bb.5:
	s_load_dwordx2 s[8:9], s[4:5], 0x18
	s_load_dwordx2 s[0:1], s[4:5], 0x0
	v_lshrrev_b32_e32 v1, 5, v0
	v_lshl_or_b32 v4, s6, 2, v1
	s_mov_b64 s[2:3], 0
	s_waitcnt lgkmcnt(0)
	s_cmp_lg_u64 s[8:9], 0
	s_cbranch_scc0 .LBB3_11
; %bb.6:
	s_load_dword s6, s[4:5], 0x10
                                        ; implicit-def: $vgpr1
	s_waitcnt lgkmcnt(0)
	v_cmp_gt_i32_e32 vcc, s6, v4
	s_and_saveexec_b64 s[6:7], vcc
	s_xor_b64 s[6:7], exec, s[6:7]
	s_cbranch_execz .LBB3_8
; %bb.7:
	v_ashrrev_i32_e32 v5, 31, v4
	v_lshlrev_b64 v[1:2], 2, v[4:5]
	v_mov_b32_e32 v3, s9
	v_add_co_u32_e32 v1, vcc, s8, v1
	v_addc_co_u32_e32 v2, vcc, v3, v2, vcc
	global_load_dword v1, v[1:2], off
	s_mov_b64 s[2:3], exec
	s_waitcnt vmcnt(0)
	v_subrev_u32_e32 v1, s20, v1
.LBB3_8:
	s_or_b64 exec, exec, s[6:7]
	s_branch .LBB3_12
.LBB3_9:
	v_cmp_gt_i32_e32 vcc, s0, v4
	s_andn2_b64 s[2:3], s[2:3], exec
	s_and_b64 s[6:7], vcc, exec
	s_or_b64 s[2:3], s[2:3], s[6:7]
	s_and_saveexec_b64 s[6:7], s[2:3]
	s_cbranch_execnz .LBB3_13
.LBB3_10:
	s_endpgm
.LBB3_11:
                                        ; implicit-def: $vgpr1
	s_cbranch_execnz .LBB3_9
.LBB3_12:
	v_mov_b32_e32 v4, v1
	s_and_saveexec_b64 s[6:7], s[2:3]
	s_cbranch_execz .LBB3_10
.LBB3_13:
	s_load_dwordx8 s[8:15], s[4:5], 0x20
	v_ashrrev_i32_e32 v5, 31, v4
	v_lshlrev_b64 v[1:2], 2, v[4:5]
	v_and_b32_e32 v9, 31, v0
	s_load_dwordx2 s[6:7], s[4:5], 0x40
	s_waitcnt lgkmcnt(0)
	v_mov_b32_e32 v3, s9
	v_add_co_u32_e32 v5, vcc, s8, v1
	v_addc_co_u32_e32 v6, vcc, v3, v2, vcc
	v_add_co_u32_e32 v3, vcc, 4, v5
	global_load_dword v15, v[5:6], off
	v_addc_co_u32_e32 v5, vcc, 0, v6, vcc
	v_mov_b32_e32 v6, s11
	v_add_co_u32_e32 v1, vcc, s10, v1
	s_cmp_eq_u64 s[10:11], 0
	v_addc_co_u32_e32 v2, vcc, v6, v2, vcc
	s_cselect_b64 vcc, -1, 0
	v_cndmask_b32_e32 v2, v2, v5, vcc
	v_cndmask_b32_e32 v1, v1, v3, vcc
	global_load_dword v1, v[1:2], off
	v_mov_b32_e32 v5, s15
	s_cmp_eq_u32 s1, 1
	s_waitcnt vmcnt(1)
	v_subrev_u32_e32 v0, s20, v15
	v_add_u32_e32 v0, v0, v9
	s_waitcnt vmcnt(0)
	v_subrev_u32_e32 v11, s20, v1
	v_ashrrev_i32_e32 v1, 31, v0
	v_lshlrev_b64 v[2:3], 6, v[0:1]
	v_cmp_lt_i32_e64 s[0:1], v0, v11
	v_add_co_u32_e32 v2, vcc, s14, v2
	v_addc_co_u32_e32 v3, vcc, v5, v3, vcc
	s_cbranch_scc1 .LBB3_25
; %bb.14:
	v_mov_b32_e32 v10, 0
	v_mov_b32_e32 v12, 0
	v_mov_b32_e32 v13, 0
	v_mov_b32_e32 v14, 0
	s_and_saveexec_b64 s[8:9], s[0:1]
	s_cbranch_execz .LBB3_24
; %bb.15:
	v_add_u32_e32 v1, v15, v9
	v_subrev_u32_e32 v1, s20, v1
	v_add_u32_e32 v1, 32, v1
	v_max_i32_e32 v1, v1, v11
	v_not_b32_e32 v5, v15
	v_add3_u32 v1, s20, v1, v5
	v_sub_u32_e32 v1, v1, v9
	s_movk_i32 s2, 0x60
	v_and_b32_e32 v5, 0x60, v1
	v_mov_b32_e32 v8, v3
	v_cmp_ne_u32_e32 vcc, s2, v5
	v_mov_b32_e32 v14, 0
	v_mov_b32_e32 v13, 0
	;; [unrolled: 1-line block ×6, first 2 shown]
	s_and_saveexec_b64 s[10:11], vcc
	s_cbranch_execz .LBB3_19
; %bb.16:
	v_lshrrev_b32_e32 v5, 5, v1
	v_add_u32_e32 v5, 1, v5
	v_and_b32_e32 v5, 3, v5
	v_mov_b32_e32 v8, v3
	v_sub_u32_e32 v16, 0, v5
	v_mov_b32_e32 v10, 0
	s_mov_b64 s[14:15], 0
	v_mov_b32_e32 v17, s13
	v_mov_b32_e32 v18, s7
	v_mov_b32_e32 v7, v2
	v_mov_b32_e32 v5, v0
	v_mov_b32_e32 v12, 0
	v_mov_b32_e32 v13, 0
	v_mov_b32_e32 v14, 0
.LBB3_17:                               ; =>This Inner Loop Header: Depth=1
	v_ashrrev_i32_e32 v6, 31, v5
	v_lshlrev_b64 v[31:32], 2, v[5:6]
	global_load_dwordx4 v[19:22], v[7:8], off
	global_load_dwordx4 v[23:26], v[7:8], off offset:16
	global_load_dwordx4 v[27:30], v[7:8], off offset:32
	v_add_co_u32_e32 v31, vcc, s12, v31
	v_addc_co_u32_e32 v32, vcc, v17, v32, vcc
	global_load_dword v6, v[31:32], off
	v_add_co_u32_e64 v16, s[2:3], 1, v16
	v_add_u32_e32 v5, 32, v5
	s_or_b64 s[14:15], s[2:3], s[14:15]
	s_waitcnt vmcnt(0)
	v_subrev_u32_e32 v6, s20, v6
	v_lshlrev_b32_e32 v31, 2, v6
	v_ashrrev_i32_e32 v32, 31, v31
	v_lshlrev_b64 v[31:32], 2, v[31:32]
	v_add_co_u32_e32 v31, vcc, s6, v31
	v_addc_co_u32_e32 v32, vcc, v18, v32, vcc
	global_load_dwordx4 v[31:34], v[31:32], off
	s_waitcnt vmcnt(0)
	v_fmac_f32_e32 v14, v19, v31
	v_fmac_f32_e32 v14, v20, v32
	;; [unrolled: 1-line block ×4, first 2 shown]
	global_load_dwordx4 v[19:22], v[7:8], off offset:48
	v_fmac_f32_e32 v13, v23, v31
	v_fmac_f32_e32 v12, v27, v31
	v_fmac_f32_e32 v13, v24, v32
	v_fmac_f32_e32 v12, v28, v32
	v_add_co_u32_e32 v7, vcc, 0x800, v7
	v_fmac_f32_e32 v13, v25, v33
	v_fmac_f32_e32 v12, v29, v33
	v_addc_co_u32_e32 v8, vcc, 0, v8, vcc
	v_fmac_f32_e32 v13, v26, v34
	v_fmac_f32_e32 v12, v30, v34
	s_waitcnt vmcnt(0)
	v_fmac_f32_e32 v10, v19, v31
	v_fmac_f32_e32 v10, v20, v32
	v_fmac_f32_e32 v10, v21, v33
	v_fmac_f32_e32 v10, v22, v34
	s_andn2_b64 exec, exec, s[14:15]
	s_cbranch_execnz .LBB3_17
; %bb.18:
	s_or_b64 exec, exec, s[14:15]
.LBB3_19:
	s_or_b64 exec, exec, s[10:11]
	s_movk_i32 s2, 0x5f
	v_cmp_lt_u32_e32 vcc, s2, v1
	s_and_saveexec_b64 s[2:3], vcc
	s_cbranch_execz .LBB3_23
; %bb.20:
	s_mov_b64 s[10:11], 0
	v_mov_b32_e32 v1, s13
	v_mov_b32_e32 v16, s7
	s_movk_i32 s14, 0x1000
.LBB3_21:                               ; =>This Inner Loop Header: Depth=1
	v_ashrrev_i32_e32 v6, 31, v5
	v_lshlrev_b64 v[25:26], 2, v[5:6]
	global_load_dwordx4 v[17:20], v[7:8], off
	global_load_dwordx4 v[21:24], v[7:8], off offset:16
	v_add_co_u32_e32 v25, vcc, s12, v25
	v_addc_co_u32_e32 v26, vcc, v1, v26, vcc
	global_load_dword v6, v[25:26], off
	global_load_dword v27, v[25:26], off offset:128
	global_load_dword v39, v[25:26], off offset:256
	global_load_dword v40, v[25:26], off offset:384
	v_add_u32_e32 v5, 0x80, v5
	s_waitcnt vmcnt(3)
	v_subrev_u32_e32 v6, s20, v6
	s_waitcnt vmcnt(2)
	v_subrev_u32_e32 v26, s20, v27
	v_lshlrev_b32_e32 v25, 2, v6
	v_lshlrev_b32_e32 v27, 2, v26
	v_ashrrev_i32_e32 v26, 31, v25
	v_lshlrev_b64 v[25:26], 2, v[25:26]
	v_ashrrev_i32_e32 v28, 31, v27
	v_lshlrev_b64 v[27:28], 2, v[27:28]
	v_add_co_u32_e32 v33, vcc, s6, v25
	v_addc_co_u32_e32 v34, vcc, v16, v26, vcc
	v_add_co_u32_e32 v35, vcc, s6, v27
	v_addc_co_u32_e32 v36, vcc, v16, v28, vcc
	global_load_dwordx4 v[25:28], v[33:34], off
	global_load_dwordx4 v[29:32], v[35:36], off
	v_add_co_u32_e32 v37, vcc, s14, v7
	v_addc_co_u32_e32 v38, vcc, 0, v8, vcc
	s_waitcnt vmcnt(3)
	v_subrev_u32_e32 v6, s20, v39
	s_waitcnt vmcnt(2)
	v_subrev_u32_e32 v34, s20, v40
	v_lshlrev_b32_e32 v33, 2, v6
	s_waitcnt vmcnt(1)
	v_fmac_f32_e32 v14, v17, v25
	v_fmac_f32_e32 v14, v18, v26
	;; [unrolled: 1-line block ×4, first 2 shown]
	global_load_dwordx4 v[17:20], v[7:8], off offset:32
	v_fmac_f32_e32 v13, v21, v25
	v_fmac_f32_e32 v13, v22, v26
	;; [unrolled: 1-line block ×4, first 2 shown]
	global_load_dwordx4 v[21:24], v[7:8], off offset:48
	s_waitcnt vmcnt(1)
	v_fmac_f32_e32 v12, v17, v25
	v_fmac_f32_e32 v12, v18, v26
	;; [unrolled: 1-line block ×4, first 2 shown]
	global_load_dwordx4 v[17:20], v[7:8], off offset:2048
	s_waitcnt vmcnt(1)
	v_fmac_f32_e32 v10, v21, v25
	v_fmac_f32_e32 v10, v22, v26
	;; [unrolled: 1-line block ×4, first 2 shown]
	global_load_dwordx4 v[21:24], v[7:8], off offset:2064
	global_load_dwordx4 v[25:28], v[7:8], off offset:2080
	s_waitcnt vmcnt(2)
	v_fmac_f32_e32 v14, v17, v29
	v_fmac_f32_e32 v14, v18, v30
	;; [unrolled: 1-line block ×4, first 2 shown]
	global_load_dwordx4 v[17:20], v[7:8], off offset:2096
	s_waitcnt vmcnt(2)
	v_fmac_f32_e32 v13, v21, v29
	v_fmac_f32_e32 v13, v22, v30
	;; [unrolled: 1-line block ×4, first 2 shown]
	global_load_dwordx4 v[21:24], v[37:38], off
	s_waitcnt vmcnt(2)
	v_fmac_f32_e32 v12, v25, v29
	v_fmac_f32_e32 v12, v26, v30
	;; [unrolled: 1-line block ×4, first 2 shown]
	global_load_dwordx4 v[25:28], v[37:38], off offset:16
	s_waitcnt vmcnt(2)
	v_fmac_f32_e32 v10, v17, v29
	v_fmac_f32_e32 v10, v18, v30
	;; [unrolled: 1-line block ×3, first 2 shown]
	v_lshlrev_b32_e32 v17, 2, v34
	v_ashrrev_i32_e32 v34, 31, v33
	v_fmac_f32_e32 v10, v20, v32
	v_lshlrev_b64 v[19:20], 2, v[33:34]
	v_ashrrev_i32_e32 v18, 31, v17
	v_lshlrev_b64 v[17:18], 2, v[17:18]
	v_add_co_u32_e32 v33, vcc, s6, v19
	v_addc_co_u32_e32 v34, vcc, v16, v20, vcc
	v_add_co_u32_e32 v35, vcc, s6, v17
	v_addc_co_u32_e32 v36, vcc, v16, v18, vcc
	global_load_dwordx4 v[17:20], v[33:34], off
	global_load_dwordx4 v[29:32], v[35:36], off
	v_add_co_u32_e32 v7, vcc, 0x2000, v7
	v_addc_co_u32_e32 v8, vcc, 0, v8, vcc
	v_cmp_ge_i32_e32 vcc, v5, v11
	s_or_b64 s[10:11], vcc, s[10:11]
	s_waitcnt vmcnt(1)
	v_fmac_f32_e32 v14, v21, v17
	v_fmac_f32_e32 v13, v25, v17
	;; [unrolled: 1-line block ×7, first 2 shown]
	global_load_dwordx4 v[21:24], v[37:38], off offset:32
	v_fmac_f32_e32 v13, v28, v20
	global_load_dwordx4 v[25:28], v[37:38], off offset:48
	s_waitcnt vmcnt(1)
	v_fmac_f32_e32 v12, v21, v17
	v_fmac_f32_e32 v12, v22, v18
	s_waitcnt vmcnt(0)
	v_fmac_f32_e32 v10, v25, v17
	v_fmac_f32_e32 v10, v26, v18
	;; [unrolled: 1-line block ×5, first 2 shown]
	global_load_dwordx4 v[21:24], v[37:38], off offset:2048
	v_fmac_f32_e32 v10, v28, v20
	global_load_dwordx4 v[17:20], v[37:38], off offset:2064
	global_load_dwordx4 v[25:28], v[37:38], off offset:2080
	;; [unrolled: 1-line block ×3, first 2 shown]
	s_waitcnt vmcnt(2)
	v_fmac_f32_e32 v13, v17, v29
	v_fmac_f32_e32 v14, v21, v29
	s_waitcnt vmcnt(1)
	v_fmac_f32_e32 v12, v25, v29
	s_waitcnt vmcnt(0)
	v_fmac_f32_e32 v10, v33, v29
	v_fmac_f32_e32 v14, v22, v30
	;; [unrolled: 1-line block ×13, first 2 shown]
	s_andn2_b64 exec, exec, s[10:11]
	s_cbranch_execnz .LBB3_21
; %bb.22:
	s_or_b64 exec, exec, s[10:11]
.LBB3_23:
	s_or_b64 exec, exec, s[2:3]
.LBB3_24:
	s_or_b64 exec, exec, s[8:9]
	s_cbranch_execz .LBB3_26
	s_branch .LBB3_37
.LBB3_25:
                                        ; implicit-def: $vgpr10
                                        ; implicit-def: $vgpr12
                                        ; implicit-def: $vgpr13
                                        ; implicit-def: $vgpr14
.LBB3_26:
	v_mov_b32_e32 v10, 0
	v_mov_b32_e32 v12, 0
	;; [unrolled: 1-line block ×4, first 2 shown]
	s_and_saveexec_b64 s[2:3], s[0:1]
	s_cbranch_execz .LBB3_36
; %bb.27:
	v_add_u32_e32 v1, v15, v9
	v_subrev_u32_e32 v1, s20, v1
	v_add_u32_e32 v1, 32, v1
	v_max_i32_e32 v1, v1, v11
	v_not_b32_e32 v5, v15
	v_add3_u32 v1, s20, v1, v5
	v_sub_u32_e32 v5, v1, v9
	s_movk_i32 s0, 0x60
	v_and_b32_e32 v1, 0x60, v5
	v_cmp_ne_u32_e32 vcc, s0, v1
	v_mov_b32_e32 v14, 0
	v_mov_b32_e32 v13, 0
	;; [unrolled: 1-line block ×4, first 2 shown]
	s_and_saveexec_b64 s[8:9], vcc
	s_cbranch_execz .LBB3_31
; %bb.28:
	v_lshrrev_b32_e32 v1, 5, v5
	v_add_u32_e32 v1, 1, v1
	v_and_b32_e32 v1, 3, v1
	v_sub_u32_e32 v6, 0, v1
	v_mov_b32_e32 v10, 0
	s_mov_b64 s[10:11], 0
	v_mov_b32_e32 v7, s13
	v_mov_b32_e32 v8, s7
	;; [unrolled: 1-line block ×5, first 2 shown]
.LBB3_29:                               ; =>This Inner Loop Header: Depth=1
	v_ashrrev_i32_e32 v1, 31, v0
	v_lshlrev_b64 v[15:16], 2, v[0:1]
	v_add_co_u32_e64 v6, s[0:1], 1, v6
	v_add_co_u32_e32 v27, vcc, s12, v15
	v_addc_co_u32_e32 v28, vcc, v7, v16, vcc
	global_load_dword v1, v[27:28], off
	global_load_dwordx4 v[15:18], v[2:3], off offset:16
	global_load_dwordx4 v[19:22], v[2:3], off
	global_load_dwordx4 v[23:26], v[2:3], off offset:32
	v_add_u32_e32 v0, 32, v0
	s_or_b64 s[10:11], s[0:1], s[10:11]
	s_waitcnt vmcnt(3)
	v_subrev_u32_e32 v1, s20, v1
	v_lshlrev_b32_e32 v27, 2, v1
	v_ashrrev_i32_e32 v28, 31, v27
	v_lshlrev_b64 v[27:28], 2, v[27:28]
	v_add_co_u32_e32 v35, vcc, s6, v27
	v_addc_co_u32_e32 v36, vcc, v8, v28, vcc
	global_load_dwordx4 v[27:30], v[35:36], off
	global_load_dwordx4 v[31:34], v[2:3], off offset:48
	v_add_co_u32_e32 v2, vcc, 0x800, v2
	v_addc_co_u32_e32 v3, vcc, 0, v3, vcc
	s_waitcnt vmcnt(1)
	v_fmac_f32_e32 v14, v19, v27
	v_fmac_f32_e32 v13, v20, v27
	;; [unrolled: 1-line block ×12, first 2 shown]
	s_waitcnt vmcnt(0)
	v_fmac_f32_e32 v14, v31, v30
	v_fmac_f32_e32 v13, v32, v30
	;; [unrolled: 1-line block ×4, first 2 shown]
	s_andn2_b64 exec, exec, s[10:11]
	s_cbranch_execnz .LBB3_29
; %bb.30:
	s_or_b64 exec, exec, s[10:11]
.LBB3_31:
	s_or_b64 exec, exec, s[8:9]
	s_movk_i32 s0, 0x5f
	v_cmp_lt_u32_e32 vcc, s0, v5
	s_and_saveexec_b64 s[0:1], vcc
	s_cbranch_execz .LBB3_35
; %bb.32:
	s_mov_b64 s[8:9], 0
	v_mov_b32_e32 v5, s13
	v_mov_b32_e32 v6, s7
	s_movk_i32 s7, 0x1000
.LBB3_33:                               ; =>This Inner Loop Header: Depth=1
	v_ashrrev_i32_e32 v1, 31, v0
	v_lshlrev_b64 v[7:8], 2, v[0:1]
	global_load_dwordx4 v[15:18], v[2:3], off
	global_load_dwordx4 v[19:22], v[2:3], off offset:16
	v_add_co_u32_e32 v7, vcc, s12, v7
	v_addc_co_u32_e32 v8, vcc, v5, v8, vcc
	global_load_dword v1, v[7:8], off
	global_load_dword v23, v[7:8], off offset:128
	global_load_dword v33, v[7:8], off offset:256
	;; [unrolled: 1-line block ×3, first 2 shown]
	v_add_u32_e32 v0, 0x80, v0
	s_waitcnt vmcnt(3)
	v_subrev_u32_e32 v1, s20, v1
	s_waitcnt vmcnt(2)
	v_subrev_u32_e32 v8, s20, v23
	v_lshlrev_b32_e32 v7, 2, v1
	v_lshlrev_b32_e32 v23, 2, v8
	v_ashrrev_i32_e32 v8, 31, v7
	v_lshlrev_b64 v[7:8], 2, v[7:8]
	v_ashrrev_i32_e32 v24, 31, v23
	v_lshlrev_b64 v[23:24], 2, v[23:24]
	v_add_co_u32_e32 v7, vcc, s6, v7
	v_addc_co_u32_e32 v8, vcc, v6, v8, vcc
	v_add_co_u32_e32 v31, vcc, s6, v23
	v_addc_co_u32_e32 v32, vcc, v6, v24, vcc
	global_load_dwordx4 v[23:26], v[7:8], off
	global_load_dwordx4 v[27:30], v[31:32], off
	v_add_co_u32_e32 v7, vcc, s7, v2
	s_waitcnt vmcnt(3)
	v_subrev_u32_e32 v1, s20, v33
	v_addc_co_u32_e32 v8, vcc, 0, v3, vcc
	s_waitcnt vmcnt(1)
	v_fmac_f32_e32 v14, v15, v23
	v_fmac_f32_e32 v13, v16, v23
	;; [unrolled: 1-line block ×4, first 2 shown]
	global_load_dwordx4 v[15:18], v[2:3], off offset:32
	v_fmac_f32_e32 v14, v19, v24
	v_fmac_f32_e32 v13, v20, v24
	;; [unrolled: 1-line block ×4, first 2 shown]
	global_load_dwordx4 v[19:22], v[2:3], off offset:48
	s_waitcnt vmcnt(1)
	v_fmac_f32_e32 v14, v15, v25
	v_fmac_f32_e32 v13, v16, v25
	;; [unrolled: 1-line block ×4, first 2 shown]
	global_load_dwordx4 v[15:18], v[2:3], off offset:2048
	s_waitcnt vmcnt(1)
	v_fmac_f32_e32 v14, v19, v26
	v_fmac_f32_e32 v13, v20, v26
	;; [unrolled: 1-line block ×4, first 2 shown]
	global_load_dwordx4 v[19:22], v[2:3], off offset:2064
	global_load_dwordx4 v[23:26], v[2:3], off offset:2080
	s_waitcnt vmcnt(2)
	v_fmac_f32_e32 v14, v15, v27
	v_fmac_f32_e32 v13, v16, v27
	;; [unrolled: 1-line block ×4, first 2 shown]
	global_load_dwordx4 v[15:18], v[2:3], off offset:2096
	s_waitcnt vmcnt(2)
	v_fmac_f32_e32 v14, v19, v28
	v_fmac_f32_e32 v13, v20, v28
	;; [unrolled: 1-line block ×4, first 2 shown]
	s_waitcnt vmcnt(1)
	v_fmac_f32_e32 v14, v23, v29
	v_subrev_u32_e32 v28, s20, v34
	v_lshlrev_b32_e32 v27, 2, v1
	global_load_dwordx4 v[19:22], v[7:8], off
	v_fmac_f32_e32 v12, v25, v29
	v_fmac_f32_e32 v10, v26, v29
	;; [unrolled: 1-line block ×3, first 2 shown]
	global_load_dwordx4 v[23:26], v[7:8], off offset:16
	s_waitcnt vmcnt(2)
	v_fmac_f32_e32 v14, v15, v30
	v_lshlrev_b32_e32 v15, 2, v28
	v_ashrrev_i32_e32 v28, 31, v27
	v_fmac_f32_e32 v12, v17, v30
	v_fmac_f32_e32 v10, v18, v30
	v_lshlrev_b64 v[17:18], 2, v[27:28]
	v_fmac_f32_e32 v13, v16, v30
	v_ashrrev_i32_e32 v16, 31, v15
	v_lshlrev_b64 v[15:16], 2, v[15:16]
	v_add_co_u32_e32 v31, vcc, s6, v17
	v_addc_co_u32_e32 v32, vcc, v6, v18, vcc
	v_add_co_u32_e32 v33, vcc, s6, v15
	v_addc_co_u32_e32 v34, vcc, v6, v16, vcc
	global_load_dwordx4 v[15:18], v[31:32], off
	global_load_dwordx4 v[27:30], v[33:34], off
	v_add_co_u32_e32 v2, vcc, 0x2000, v2
	v_addc_co_u32_e32 v3, vcc, 0, v3, vcc
	v_cmp_ge_i32_e32 vcc, v0, v11
	s_or_b64 s[8:9], vcc, s[8:9]
	s_waitcnt vmcnt(1)
	v_fmac_f32_e32 v14, v19, v15
	v_fmac_f32_e32 v13, v20, v15
	;; [unrolled: 1-line block ×4, first 2 shown]
	global_load_dwordx4 v[19:22], v[7:8], off offset:32
	v_fmac_f32_e32 v14, v23, v16
	v_fmac_f32_e32 v13, v24, v16
	v_fmac_f32_e32 v12, v25, v16
	v_fmac_f32_e32 v10, v26, v16
	global_load_dwordx4 v[23:26], v[7:8], off offset:48
	s_waitcnt vmcnt(1)
	v_fmac_f32_e32 v14, v19, v17
	v_fmac_f32_e32 v13, v20, v17
	;; [unrolled: 1-line block ×4, first 2 shown]
	global_load_dwordx4 v[19:22], v[7:8], off offset:2048
	s_waitcnt vmcnt(1)
	v_fmac_f32_e32 v14, v23, v18
	v_fmac_f32_e32 v13, v24, v18
	;; [unrolled: 1-line block ×4, first 2 shown]
	global_load_dwordx4 v[15:18], v[7:8], off offset:2064
	global_load_dwordx4 v[23:26], v[7:8], off offset:2080
	global_load_dwordx4 v[31:34], v[7:8], off offset:2096
	s_waitcnt vmcnt(3)
	v_fmac_f32_e32 v14, v19, v27
	v_fmac_f32_e32 v13, v20, v27
	v_fmac_f32_e32 v12, v21, v27
	v_fmac_f32_e32 v10, v22, v27
	s_waitcnt vmcnt(2)
	v_fmac_f32_e32 v14, v15, v28
	v_fmac_f32_e32 v13, v16, v28
	v_fmac_f32_e32 v12, v17, v28
	v_fmac_f32_e32 v10, v18, v28
	;; [unrolled: 5-line block ×4, first 2 shown]
	s_andn2_b64 exec, exec, s[8:9]
	s_cbranch_execnz .LBB3_33
; %bb.34:
	s_or_b64 exec, exec, s[8:9]
.LBB3_35:
	s_or_b64 exec, exec, s[0:1]
.LBB3_36:
	s_or_b64 exec, exec, s[2:3]
.LBB3_37:
	v_mov_b32_dpp v0, v14 row_shr:1 row_mask:0xf bank_mask:0xf
	v_mov_b32_dpp v2, v13 row_shr:1 row_mask:0xf bank_mask:0xf
	v_mov_b32_dpp v5, v12 row_shr:1 row_mask:0xf bank_mask:0xf
	v_mov_b32_dpp v7, v10 row_shr:1 row_mask:0xf bank_mask:0xf
	v_add_f32_e32 v0, v14, v0
	v_add_f32_e32 v2, v13, v2
	v_add_f32_e32 v5, v12, v5
	v_add_f32_e32 v7, v10, v7
	v_mov_b32_dpp v1, v0 row_shr:2 row_mask:0xf bank_mask:0xf
	v_mov_b32_dpp v3, v2 row_shr:2 row_mask:0xf bank_mask:0xf
	v_mov_b32_dpp v6, v5 row_shr:2 row_mask:0xf bank_mask:0xf
	v_mov_b32_dpp v8, v7 row_shr:2 row_mask:0xf bank_mask:0xf
	v_add_f32_e32 v0, v0, v1
	v_add_f32_e32 v2, v2, v3
	v_add_f32_e32 v5, v5, v6
	v_add_f32_e32 v7, v7, v8
	;; [unrolled: 8-line block ×4, first 2 shown]
	v_mov_b32_dpp v1, v0 row_bcast:15 row_mask:0xa bank_mask:0xf
	v_mov_b32_dpp v3, v2 row_bcast:15 row_mask:0xa bank_mask:0xf
	;; [unrolled: 1-line block ×4, first 2 shown]
	v_cmp_eq_u32_e32 vcc, 31, v9
	s_and_b64 exec, exec, vcc
	s_cbranch_execz .LBB3_10
; %bb.38:
	s_load_dwordx2 s[0:1], s[4:5], 0x50
	v_add_f32_e32 v0, v0, v1
	v_add_f32_e32 v1, v2, v3
	;; [unrolled: 1-line block ×4, first 2 shown]
	v_cmp_eq_f32_e64 s[2:3], s16, 0
	s_and_b64 vcc, exec, s[2:3]
	v_mul_f32_e32 v0, s18, v0
	v_mul_f32_e32 v1, s18, v1
	;; [unrolled: 1-line block ×4, first 2 shown]
	v_lshlrev_b32_e32 v4, 2, v4
	s_cbranch_vccz .LBB3_40
; %bb.39:
	v_ashrrev_i32_e32 v5, 31, v4
	v_lshlrev_b64 v[5:6], 2, v[4:5]
	s_waitcnt lgkmcnt(0)
	v_mov_b32_e32 v7, s1
	v_add_co_u32_e32 v5, vcc, s0, v5
	v_addc_co_u32_e32 v6, vcc, v7, v6, vcc
	global_store_dwordx4 v[5:6], v[0:3], off
	s_cbranch_execnz .LBB3_10
	s_branch .LBB3_41
.LBB3_40:
.LBB3_41:
	v_ashrrev_i32_e32 v5, 31, v4
	v_lshlrev_b64 v[4:5], 2, v[4:5]
	s_waitcnt lgkmcnt(0)
	v_mov_b32_e32 v6, s1
	v_add_co_u32_e32 v8, vcc, s0, v4
	v_addc_co_u32_e32 v9, vcc, v6, v5, vcc
	global_load_dwordx4 v[4:7], v[8:9], off
	s_waitcnt vmcnt(0)
	v_fmac_f32_e32 v0, s16, v4
	v_fmac_f32_e32 v1, s16, v5
	;; [unrolled: 1-line block ×4, first 2 shown]
	global_store_dwordx4 v[8:9], v[0:3], off
	s_endpgm
	.section	.rodata,"a",@progbits
	.p2align	6, 0x0
	.amdhsa_kernel _ZN9rocsparseL18bsrxmvn_4x4_kernelILj128ELj32EfiifffEEvT3_20rocsparse_direction_NS_24const_host_device_scalarIT1_EES1_PKS1_PKT2_SA_S7_PKT4_PKT5_S5_PT6_21rocsparse_index_base_b
		.amdhsa_group_segment_fixed_size 0
		.amdhsa_private_segment_fixed_size 0
		.amdhsa_kernarg_size 96
		.amdhsa_user_sgpr_count 6
		.amdhsa_user_sgpr_private_segment_buffer 1
		.amdhsa_user_sgpr_dispatch_ptr 0
		.amdhsa_user_sgpr_queue_ptr 0
		.amdhsa_user_sgpr_kernarg_segment_ptr 1
		.amdhsa_user_sgpr_dispatch_id 0
		.amdhsa_user_sgpr_flat_scratch_init 0
		.amdhsa_user_sgpr_private_segment_size 0
		.amdhsa_uses_dynamic_stack 0
		.amdhsa_system_sgpr_private_segment_wavefront_offset 0
		.amdhsa_system_sgpr_workgroup_id_x 1
		.amdhsa_system_sgpr_workgroup_id_y 0
		.amdhsa_system_sgpr_workgroup_id_z 0
		.amdhsa_system_sgpr_workgroup_info 0
		.amdhsa_system_vgpr_workitem_id 0
		.amdhsa_next_free_vgpr 41
		.amdhsa_next_free_sgpr 22
		.amdhsa_reserve_vcc 1
		.amdhsa_reserve_flat_scratch 0
		.amdhsa_float_round_mode_32 0
		.amdhsa_float_round_mode_16_64 0
		.amdhsa_float_denorm_mode_32 3
		.amdhsa_float_denorm_mode_16_64 3
		.amdhsa_dx10_clamp 1
		.amdhsa_ieee_mode 1
		.amdhsa_fp16_overflow 0
		.amdhsa_exception_fp_ieee_invalid_op 0
		.amdhsa_exception_fp_denorm_src 0
		.amdhsa_exception_fp_ieee_div_zero 0
		.amdhsa_exception_fp_ieee_overflow 0
		.amdhsa_exception_fp_ieee_underflow 0
		.amdhsa_exception_fp_ieee_inexact 0
		.amdhsa_exception_int_div_zero 0
	.end_amdhsa_kernel
	.section	.text._ZN9rocsparseL18bsrxmvn_4x4_kernelILj128ELj32EfiifffEEvT3_20rocsparse_direction_NS_24const_host_device_scalarIT1_EES1_PKS1_PKT2_SA_S7_PKT4_PKT5_S5_PT6_21rocsparse_index_base_b,"axG",@progbits,_ZN9rocsparseL18bsrxmvn_4x4_kernelILj128ELj32EfiifffEEvT3_20rocsparse_direction_NS_24const_host_device_scalarIT1_EES1_PKS1_PKT2_SA_S7_PKT4_PKT5_S5_PT6_21rocsparse_index_base_b,comdat
.Lfunc_end3:
	.size	_ZN9rocsparseL18bsrxmvn_4x4_kernelILj128ELj32EfiifffEEvT3_20rocsparse_direction_NS_24const_host_device_scalarIT1_EES1_PKS1_PKT2_SA_S7_PKT4_PKT5_S5_PT6_21rocsparse_index_base_b, .Lfunc_end3-_ZN9rocsparseL18bsrxmvn_4x4_kernelILj128ELj32EfiifffEEvT3_20rocsparse_direction_NS_24const_host_device_scalarIT1_EES1_PKS1_PKT2_SA_S7_PKT4_PKT5_S5_PT6_21rocsparse_index_base_b
                                        ; -- End function
	.set _ZN9rocsparseL18bsrxmvn_4x4_kernelILj128ELj32EfiifffEEvT3_20rocsparse_direction_NS_24const_host_device_scalarIT1_EES1_PKS1_PKT2_SA_S7_PKT4_PKT5_S5_PT6_21rocsparse_index_base_b.num_vgpr, 41
	.set _ZN9rocsparseL18bsrxmvn_4x4_kernelILj128ELj32EfiifffEEvT3_20rocsparse_direction_NS_24const_host_device_scalarIT1_EES1_PKS1_PKT2_SA_S7_PKT4_PKT5_S5_PT6_21rocsparse_index_base_b.num_agpr, 0
	.set _ZN9rocsparseL18bsrxmvn_4x4_kernelILj128ELj32EfiifffEEvT3_20rocsparse_direction_NS_24const_host_device_scalarIT1_EES1_PKS1_PKT2_SA_S7_PKT4_PKT5_S5_PT6_21rocsparse_index_base_b.numbered_sgpr, 22
	.set _ZN9rocsparseL18bsrxmvn_4x4_kernelILj128ELj32EfiifffEEvT3_20rocsparse_direction_NS_24const_host_device_scalarIT1_EES1_PKS1_PKT2_SA_S7_PKT4_PKT5_S5_PT6_21rocsparse_index_base_b.num_named_barrier, 0
	.set _ZN9rocsparseL18bsrxmvn_4x4_kernelILj128ELj32EfiifffEEvT3_20rocsparse_direction_NS_24const_host_device_scalarIT1_EES1_PKS1_PKT2_SA_S7_PKT4_PKT5_S5_PT6_21rocsparse_index_base_b.private_seg_size, 0
	.set _ZN9rocsparseL18bsrxmvn_4x4_kernelILj128ELj32EfiifffEEvT3_20rocsparse_direction_NS_24const_host_device_scalarIT1_EES1_PKS1_PKT2_SA_S7_PKT4_PKT5_S5_PT6_21rocsparse_index_base_b.uses_vcc, 1
	.set _ZN9rocsparseL18bsrxmvn_4x4_kernelILj128ELj32EfiifffEEvT3_20rocsparse_direction_NS_24const_host_device_scalarIT1_EES1_PKS1_PKT2_SA_S7_PKT4_PKT5_S5_PT6_21rocsparse_index_base_b.uses_flat_scratch, 0
	.set _ZN9rocsparseL18bsrxmvn_4x4_kernelILj128ELj32EfiifffEEvT3_20rocsparse_direction_NS_24const_host_device_scalarIT1_EES1_PKS1_PKT2_SA_S7_PKT4_PKT5_S5_PT6_21rocsparse_index_base_b.has_dyn_sized_stack, 0
	.set _ZN9rocsparseL18bsrxmvn_4x4_kernelILj128ELj32EfiifffEEvT3_20rocsparse_direction_NS_24const_host_device_scalarIT1_EES1_PKS1_PKT2_SA_S7_PKT4_PKT5_S5_PT6_21rocsparse_index_base_b.has_recursion, 0
	.set _ZN9rocsparseL18bsrxmvn_4x4_kernelILj128ELj32EfiifffEEvT3_20rocsparse_direction_NS_24const_host_device_scalarIT1_EES1_PKS1_PKT2_SA_S7_PKT4_PKT5_S5_PT6_21rocsparse_index_base_b.has_indirect_call, 0
	.section	.AMDGPU.csdata,"",@progbits
; Kernel info:
; codeLenInByte = 3056
; TotalNumSgprs: 26
; NumVgprs: 41
; ScratchSize: 0
; MemoryBound: 0
; FloatMode: 240
; IeeeMode: 1
; LDSByteSize: 0 bytes/workgroup (compile time only)
; SGPRBlocks: 3
; VGPRBlocks: 10
; NumSGPRsForWavesPerEU: 26
; NumVGPRsForWavesPerEU: 41
; Occupancy: 5
; WaveLimiterHint : 1
; COMPUTE_PGM_RSRC2:SCRATCH_EN: 0
; COMPUTE_PGM_RSRC2:USER_SGPR: 6
; COMPUTE_PGM_RSRC2:TRAP_HANDLER: 0
; COMPUTE_PGM_RSRC2:TGID_X_EN: 1
; COMPUTE_PGM_RSRC2:TGID_Y_EN: 0
; COMPUTE_PGM_RSRC2:TGID_Z_EN: 0
; COMPUTE_PGM_RSRC2:TIDIG_COMP_CNT: 0
	.section	.text._ZN9rocsparseL18bsrxmvn_4x4_kernelILj128ELj64EfiifffEEvT3_20rocsparse_direction_NS_24const_host_device_scalarIT1_EES1_PKS1_PKT2_SA_S7_PKT4_PKT5_S5_PT6_21rocsparse_index_base_b,"axG",@progbits,_ZN9rocsparseL18bsrxmvn_4x4_kernelILj128ELj64EfiifffEEvT3_20rocsparse_direction_NS_24const_host_device_scalarIT1_EES1_PKS1_PKT2_SA_S7_PKT4_PKT5_S5_PT6_21rocsparse_index_base_b,comdat
	.globl	_ZN9rocsparseL18bsrxmvn_4x4_kernelILj128ELj64EfiifffEEvT3_20rocsparse_direction_NS_24const_host_device_scalarIT1_EES1_PKS1_PKT2_SA_S7_PKT4_PKT5_S5_PT6_21rocsparse_index_base_b ; -- Begin function _ZN9rocsparseL18bsrxmvn_4x4_kernelILj128ELj64EfiifffEEvT3_20rocsparse_direction_NS_24const_host_device_scalarIT1_EES1_PKS1_PKT2_SA_S7_PKT4_PKT5_S5_PT6_21rocsparse_index_base_b
	.p2align	8
	.type	_ZN9rocsparseL18bsrxmvn_4x4_kernelILj128ELj64EfiifffEEvT3_20rocsparse_direction_NS_24const_host_device_scalarIT1_EES1_PKS1_PKT2_SA_S7_PKT4_PKT5_S5_PT6_21rocsparse_index_base_b,@function
_ZN9rocsparseL18bsrxmvn_4x4_kernelILj128ELj64EfiifffEEvT3_20rocsparse_direction_NS_24const_host_device_scalarIT1_EES1_PKS1_PKT2_SA_S7_PKT4_PKT5_S5_PT6_21rocsparse_index_base_b: ; @_ZN9rocsparseL18bsrxmvn_4x4_kernelILj128ELj64EfiifffEEvT3_20rocsparse_direction_NS_24const_host_device_scalarIT1_EES1_PKS1_PKT2_SA_S7_PKT4_PKT5_S5_PT6_21rocsparse_index_base_b
; %bb.0:
	s_load_dwordx2 s[20:21], s[4:5], 0x58
	s_load_dwordx2 s[18:19], s[4:5], 0x8
	;; [unrolled: 1-line block ×3, first 2 shown]
	s_waitcnt lgkmcnt(0)
	s_bitcmp1_b32 s21, 0
	s_cselect_b64 s[2:3], -1, 0
	s_xor_b64 s[0:1], s[2:3], -1
	s_and_b64 vcc, exec, s[2:3]
	s_cbranch_vccnz .LBB4_2
; %bb.1:
	s_load_dword s18, s[18:19], 0x0
.LBB4_2:
	s_andn2_b64 vcc, exec, s[0:1]
	s_cbranch_vccnz .LBB4_4
; %bb.3:
	s_load_dword s16, s[16:17], 0x0
.LBB4_4:
	s_waitcnt lgkmcnt(0)
	v_cmp_neq_f32_e64 s[0:1], s18, 0
	v_cmp_neq_f32_e64 s[2:3], s16, 1.0
	s_or_b64 s[0:1], s[0:1], s[2:3]
	s_andn2_b64 vcc, exec, s[0:1]
	s_cbranch_vccnz .LBB4_10
; %bb.5:
	s_load_dwordx2 s[8:9], s[4:5], 0x18
	s_load_dwordx2 s[0:1], s[4:5], 0x0
	v_lshrrev_b32_e32 v1, 6, v0
	v_lshl_or_b32 v4, s6, 1, v1
	s_mov_b64 s[2:3], 0
	s_waitcnt lgkmcnt(0)
	s_cmp_lg_u64 s[8:9], 0
	s_cbranch_scc0 .LBB4_11
; %bb.6:
	s_load_dword s6, s[4:5], 0x10
                                        ; implicit-def: $vgpr1
	s_waitcnt lgkmcnt(0)
	v_cmp_gt_i32_e32 vcc, s6, v4
	s_and_saveexec_b64 s[6:7], vcc
	s_xor_b64 s[6:7], exec, s[6:7]
	s_cbranch_execz .LBB4_8
; %bb.7:
	v_ashrrev_i32_e32 v5, 31, v4
	v_lshlrev_b64 v[1:2], 2, v[4:5]
	v_mov_b32_e32 v3, s9
	v_add_co_u32_e32 v1, vcc, s8, v1
	v_addc_co_u32_e32 v2, vcc, v3, v2, vcc
	global_load_dword v1, v[1:2], off
	s_mov_b64 s[2:3], exec
	s_waitcnt vmcnt(0)
	v_subrev_u32_e32 v1, s20, v1
.LBB4_8:
	s_or_b64 exec, exec, s[6:7]
	s_branch .LBB4_12
.LBB4_9:
	v_cmp_gt_i32_e32 vcc, s0, v4
	s_andn2_b64 s[2:3], s[2:3], exec
	s_and_b64 s[6:7], vcc, exec
	s_or_b64 s[2:3], s[2:3], s[6:7]
	s_and_saveexec_b64 s[6:7], s[2:3]
	s_cbranch_execnz .LBB4_13
.LBB4_10:
	s_endpgm
.LBB4_11:
                                        ; implicit-def: $vgpr1
	s_cbranch_execnz .LBB4_9
.LBB4_12:
	v_mov_b32_e32 v4, v1
	s_and_saveexec_b64 s[6:7], s[2:3]
	s_cbranch_execz .LBB4_10
.LBB4_13:
	s_load_dwordx8 s[8:15], s[4:5], 0x20
	v_ashrrev_i32_e32 v5, 31, v4
	v_lshlrev_b64 v[1:2], 2, v[4:5]
	v_and_b32_e32 v9, 63, v0
	s_load_dwordx2 s[6:7], s[4:5], 0x40
	s_waitcnt lgkmcnt(0)
	v_mov_b32_e32 v3, s9
	v_add_co_u32_e32 v5, vcc, s8, v1
	v_addc_co_u32_e32 v6, vcc, v3, v2, vcc
	v_add_co_u32_e32 v3, vcc, 4, v5
	global_load_dword v15, v[5:6], off
	v_addc_co_u32_e32 v5, vcc, 0, v6, vcc
	v_mov_b32_e32 v6, s11
	v_add_co_u32_e32 v1, vcc, s10, v1
	s_cmp_eq_u64 s[10:11], 0
	v_addc_co_u32_e32 v2, vcc, v6, v2, vcc
	s_cselect_b64 vcc, -1, 0
	v_cndmask_b32_e32 v2, v2, v5, vcc
	v_cndmask_b32_e32 v1, v1, v3, vcc
	global_load_dword v1, v[1:2], off
	v_mov_b32_e32 v5, s15
	s_cmp_eq_u32 s1, 1
	s_waitcnt vmcnt(1)
	v_subrev_u32_e32 v0, s20, v15
	v_add_u32_e32 v0, v0, v9
	s_waitcnt vmcnt(0)
	v_subrev_u32_e32 v11, s20, v1
	v_ashrrev_i32_e32 v1, 31, v0
	v_lshlrev_b64 v[2:3], 6, v[0:1]
	v_cmp_lt_i32_e64 s[0:1], v0, v11
	v_add_co_u32_e32 v2, vcc, s14, v2
	v_addc_co_u32_e32 v3, vcc, v5, v3, vcc
	s_cbranch_scc1 .LBB4_25
; %bb.14:
	v_mov_b32_e32 v10, 0
	v_mov_b32_e32 v12, 0
	;; [unrolled: 1-line block ×4, first 2 shown]
	s_and_saveexec_b64 s[8:9], s[0:1]
	s_cbranch_execz .LBB4_24
; %bb.15:
	v_add_u32_e32 v1, v15, v9
	v_subrev_u32_e32 v1, s20, v1
	v_add_u32_e32 v1, 64, v1
	v_max_i32_e32 v1, v1, v11
	v_not_b32_e32 v5, v15
	v_add3_u32 v1, s20, v1, v5
	v_sub_u32_e32 v1, v1, v9
	s_movk_i32 s2, 0xc0
	v_and_b32_e32 v5, 0xc0, v1
	v_mov_b32_e32 v8, v3
	v_cmp_ne_u32_e32 vcc, s2, v5
	v_mov_b32_e32 v14, 0
	v_mov_b32_e32 v13, 0
	;; [unrolled: 1-line block ×6, first 2 shown]
	s_and_saveexec_b64 s[10:11], vcc
	s_cbranch_execz .LBB4_19
; %bb.16:
	v_lshrrev_b32_e32 v5, 6, v1
	v_add_u32_e32 v5, 1, v5
	v_and_b32_e32 v5, 3, v5
	v_mov_b32_e32 v8, v3
	v_sub_u32_e32 v16, 0, v5
	v_mov_b32_e32 v10, 0
	s_mov_b64 s[14:15], 0
	v_mov_b32_e32 v17, s13
	v_mov_b32_e32 v18, s7
	;; [unrolled: 1-line block ×7, first 2 shown]
.LBB4_17:                               ; =>This Inner Loop Header: Depth=1
	v_ashrrev_i32_e32 v6, 31, v5
	v_lshlrev_b64 v[19:20], 2, v[5:6]
	v_add_co_u32_e64 v16, s[2:3], 1, v16
	v_add_co_u32_e32 v35, vcc, s12, v19
	v_addc_co_u32_e32 v36, vcc, v17, v20, vcc
	global_load_dword v6, v[35:36], off
	global_load_dwordx4 v[19:22], v[7:8], off
	global_load_dwordx4 v[23:26], v[7:8], off offset:16
	global_load_dwordx4 v[27:30], v[7:8], off offset:32
	;; [unrolled: 1-line block ×3, first 2 shown]
	v_add_u32_e32 v5, 64, v5
	s_or_b64 s[14:15], s[2:3], s[14:15]
	s_waitcnt vmcnt(4)
	v_subrev_u32_e32 v6, s20, v6
	v_lshlrev_b32_e32 v35, 2, v6
	v_ashrrev_i32_e32 v36, 31, v35
	v_lshlrev_b64 v[35:36], 2, v[35:36]
	v_add_co_u32_e32 v35, vcc, s6, v35
	v_addc_co_u32_e32 v36, vcc, v18, v36, vcc
	global_load_dwordx4 v[35:38], v[35:36], off
	v_add_co_u32_e32 v7, vcc, 0x1000, v7
	v_addc_co_u32_e32 v8, vcc, 0, v8, vcc
	s_waitcnt vmcnt(0)
	v_fmac_f32_e32 v14, v19, v35
	v_fmac_f32_e32 v13, v23, v35
	;; [unrolled: 1-line block ×16, first 2 shown]
	s_andn2_b64 exec, exec, s[14:15]
	s_cbranch_execnz .LBB4_17
; %bb.18:
	s_or_b64 exec, exec, s[14:15]
.LBB4_19:
	s_or_b64 exec, exec, s[10:11]
	s_movk_i32 s2, 0xbf
	v_cmp_lt_u32_e32 vcc, s2, v1
	s_and_saveexec_b64 s[10:11], vcc
	s_cbranch_execz .LBB4_23
; %bb.20:
	s_mov_b64 s[14:15], 0
	v_mov_b32_e32 v1, s13
	v_mov_b32_e32 v16, s7
	s_movk_i32 s17, 0x1000
	s_movk_i32 s19, 0x2000
	;; [unrolled: 1-line block ×3, first 2 shown]
.LBB4_21:                               ; =>This Inner Loop Header: Depth=1
	v_ashrrev_i32_e32 v6, 31, v5
	v_add_co_u32_e32 v41, vcc, s19, v7
	v_lshlrev_b64 v[33:34], 2, v[5:6]
	v_addc_co_u32_e32 v42, vcc, 0, v8, vcc
	v_add_co_u32_e32 v33, vcc, s12, v33
	v_addc_co_u32_e32 v34, vcc, v1, v34, vcc
	global_load_dwordx4 v[17:20], v[7:8], off
	global_load_dwordx4 v[21:24], v[7:8], off offset:16
	global_load_dwordx4 v[25:28], v[7:8], off offset:32
	;; [unrolled: 1-line block ×3, first 2 shown]
	global_load_dword v6, v[33:34], off
	global_load_dword v37, v[33:34], off offset:256
	global_load_dword v38, v[33:34], off offset:512
	;; [unrolled: 1-line block ×3, first 2 shown]
	v_add_u32_e32 v5, 0x100, v5
	v_cmp_ge_i32_e64 s[2:3], v5, v11
	s_or_b64 s[14:15], s[2:3], s[14:15]
	s_waitcnt vmcnt(3)
	v_subrev_u32_e32 v6, s20, v6
	v_lshlrev_b32_e32 v33, 2, v6
	v_ashrrev_i32_e32 v34, 31, v33
	v_lshlrev_b64 v[33:34], 2, v[33:34]
	s_waitcnt vmcnt(2)
	v_subrev_u32_e32 v6, s20, v37
	v_add_co_u32_e32 v33, vcc, s6, v33
	v_addc_co_u32_e32 v34, vcc, v16, v34, vcc
	global_load_dwordx4 v[33:36], v[33:34], off
	v_add_co_u32_e32 v43, vcc, s17, v7
	v_addc_co_u32_e32 v44, vcc, 0, v8, vcc
	s_waitcnt vmcnt(0)
	v_fmac_f32_e32 v14, v17, v33
	v_fmac_f32_e32 v14, v18, v34
	;; [unrolled: 1-line block ×4, first 2 shown]
	global_load_dwordx4 v[17:20], v[7:8], off offset:48
	v_fmac_f32_e32 v12, v25, v33
	v_fmac_f32_e32 v12, v26, v34
	v_subrev_u32_e32 v26, s20, v38
	v_lshlrev_b32_e32 v25, 2, v6
	v_fmac_f32_e32 v13, v21, v33
	v_fmac_f32_e32 v12, v27, v35
	v_lshlrev_b32_e32 v27, 2, v26
	v_ashrrev_i32_e32 v26, 31, v25
	v_fmac_f32_e32 v13, v22, v34
	v_lshlrev_b64 v[25:26], 2, v[25:26]
	v_fmac_f32_e32 v13, v23, v35
	v_fmac_f32_e32 v12, v28, v36
	v_ashrrev_i32_e32 v28, 31, v27
	v_fmac_f32_e32 v13, v24, v36
	global_load_dwordx4 v[21:24], v[41:42], off offset:-4096
	v_lshlrev_b64 v[27:28], 2, v[27:28]
	v_add_co_u32_e32 v37, vcc, s6, v25
	v_addc_co_u32_e32 v38, vcc, v16, v26, vcc
	v_add_co_u32_e32 v39, vcc, s6, v27
	v_addc_co_u32_e32 v40, vcc, v16, v28, vcc
	v_subrev_u32_e32 v6, s20, v47
	v_add_co_u32_e32 v45, vcc, s21, v7
	v_addc_co_u32_e32 v46, vcc, 0, v8, vcc
	s_waitcnt vmcnt(1)
	v_fmac_f32_e32 v10, v17, v33
	v_fmac_f32_e32 v10, v18, v34
	v_fmac_f32_e32 v10, v19, v35
	v_fmac_f32_e32 v10, v20, v36
	global_load_dwordx4 v[17:20], v[41:42], off
	global_load_dwordx4 v[25:28], v[37:38], off
	;; [unrolled: 1-line block ×3, first 2 shown]
	s_waitcnt vmcnt(1)
	v_fmac_f32_e32 v14, v21, v25
	v_fmac_f32_e32 v14, v22, v26
	;; [unrolled: 1-line block ×4, first 2 shown]
	global_load_dwordx4 v[21:24], v[43:44], off offset:16
	global_load_dwordx4 v[37:40], v[43:44], off offset:32
	s_waitcnt vmcnt(2)
	v_fmac_f32_e32 v14, v17, v33
	v_fmac_f32_e32 v14, v18, v34
	;; [unrolled: 1-line block ×4, first 2 shown]
	s_waitcnt vmcnt(1)
	v_fmac_f32_e32 v13, v21, v25
	v_fmac_f32_e32 v13, v22, v26
	;; [unrolled: 1-line block ×4, first 2 shown]
	global_load_dwordx4 v[21:24], v[43:44], off offset:48
	s_waitcnt vmcnt(1)
	v_fmac_f32_e32 v12, v37, v25
	v_fmac_f32_e32 v12, v38, v26
	;; [unrolled: 1-line block ×4, first 2 shown]
	s_waitcnt vmcnt(0)
	v_fmac_f32_e32 v10, v21, v25
	v_fmac_f32_e32 v10, v22, v26
	;; [unrolled: 1-line block ×4, first 2 shown]
	global_load_dwordx4 v[21:24], v[41:42], off offset:16
	global_load_dwordx4 v[25:28], v[41:42], off offset:32
	v_fmac_f32_e32 v10, v29, v33
	v_lshlrev_b32_e32 v29, 2, v6
	v_fmac_f32_e32 v10, v30, v34
	v_ashrrev_i32_e32 v30, 31, v29
	v_lshlrev_b64 v[29:30], 2, v[29:30]
	v_fmac_f32_e32 v10, v31, v35
	v_add_co_u32_e32 v29, vcc, s6, v29
	v_addc_co_u32_e32 v30, vcc, v16, v30, vcc
	global_load_dwordx4 v[17:20], v[45:46], off
	v_fmac_f32_e32 v10, v32, v36
	v_add_co_u32_e32 v7, vcc, 0x4000, v7
	v_addc_co_u32_e32 v8, vcc, 0, v8, vcc
	s_waitcnt vmcnt(2)
	v_fmac_f32_e32 v13, v21, v33
	s_waitcnt vmcnt(1)
	v_fmac_f32_e32 v12, v25, v33
	v_fmac_f32_e32 v13, v22, v34
	;; [unrolled: 1-line block ×6, first 2 shown]
	global_load_dwordx4 v[21:24], v[45:46], off offset:16
	v_fmac_f32_e32 v12, v28, v36
	global_load_dwordx4 v[25:28], v[45:46], off offset:32
	global_load_dwordx4 v[37:40], v[45:46], off offset:48
	s_nop 0
	global_load_dwordx4 v[29:32], v[29:30], off
	s_waitcnt vmcnt(0)
	v_fmac_f32_e32 v14, v17, v29
	v_fmac_f32_e32 v13, v21, v29
	;; [unrolled: 1-line block ×16, first 2 shown]
	s_andn2_b64 exec, exec, s[14:15]
	s_cbranch_execnz .LBB4_21
; %bb.22:
	s_or_b64 exec, exec, s[14:15]
.LBB4_23:
	s_or_b64 exec, exec, s[10:11]
.LBB4_24:
	s_or_b64 exec, exec, s[8:9]
	s_cbranch_execz .LBB4_26
	s_branch .LBB4_37
.LBB4_25:
                                        ; implicit-def: $vgpr10
                                        ; implicit-def: $vgpr12
                                        ; implicit-def: $vgpr13
                                        ; implicit-def: $vgpr14
.LBB4_26:
	v_mov_b32_e32 v10, 0
	v_mov_b32_e32 v12, 0
	;; [unrolled: 1-line block ×4, first 2 shown]
	s_and_saveexec_b64 s[2:3], s[0:1]
	s_cbranch_execz .LBB4_36
; %bb.27:
	v_add_u32_e32 v1, v15, v9
	v_subrev_u32_e32 v1, s20, v1
	v_add_u32_e32 v1, 64, v1
	v_max_i32_e32 v1, v1, v11
	v_not_b32_e32 v5, v15
	v_add3_u32 v1, s20, v1, v5
	v_sub_u32_e32 v5, v1, v9
	s_movk_i32 s0, 0xc0
	v_and_b32_e32 v1, 0xc0, v5
	v_cmp_ne_u32_e32 vcc, s0, v1
	v_mov_b32_e32 v14, 0
	v_mov_b32_e32 v13, 0
	;; [unrolled: 1-line block ×4, first 2 shown]
	s_and_saveexec_b64 s[8:9], vcc
	s_cbranch_execz .LBB4_31
; %bb.28:
	v_lshrrev_b32_e32 v1, 6, v5
	v_add_u32_e32 v1, 1, v1
	v_and_b32_e32 v1, 3, v1
	v_sub_u32_e32 v6, 0, v1
	v_mov_b32_e32 v10, 0
	s_mov_b64 s[10:11], 0
	v_mov_b32_e32 v7, s13
	v_mov_b32_e32 v8, s7
	;; [unrolled: 1-line block ×5, first 2 shown]
.LBB4_29:                               ; =>This Inner Loop Header: Depth=1
	v_ashrrev_i32_e32 v1, 31, v0
	v_lshlrev_b64 v[15:16], 2, v[0:1]
	v_add_co_u32_e64 v6, s[0:1], 1, v6
	v_add_co_u32_e32 v27, vcc, s12, v15
	v_addc_co_u32_e32 v28, vcc, v7, v16, vcc
	global_load_dword v1, v[27:28], off
	global_load_dwordx4 v[15:18], v[2:3], off offset:16
	global_load_dwordx4 v[19:22], v[2:3], off
	global_load_dwordx4 v[23:26], v[2:3], off offset:32
	v_add_u32_e32 v0, 64, v0
	s_or_b64 s[10:11], s[0:1], s[10:11]
	s_waitcnt vmcnt(3)
	v_subrev_u32_e32 v1, s20, v1
	v_lshlrev_b32_e32 v27, 2, v1
	v_ashrrev_i32_e32 v28, 31, v27
	v_lshlrev_b64 v[27:28], 2, v[27:28]
	v_add_co_u32_e32 v35, vcc, s6, v27
	v_addc_co_u32_e32 v36, vcc, v8, v28, vcc
	global_load_dwordx4 v[27:30], v[35:36], off
	global_load_dwordx4 v[31:34], v[2:3], off offset:48
	v_add_co_u32_e32 v2, vcc, 0x1000, v2
	v_addc_co_u32_e32 v3, vcc, 0, v3, vcc
	s_waitcnt vmcnt(1)
	v_fmac_f32_e32 v14, v19, v27
	v_fmac_f32_e32 v13, v20, v27
	;; [unrolled: 1-line block ×12, first 2 shown]
	s_waitcnt vmcnt(0)
	v_fmac_f32_e32 v14, v31, v30
	v_fmac_f32_e32 v13, v32, v30
	;; [unrolled: 1-line block ×4, first 2 shown]
	s_andn2_b64 exec, exec, s[10:11]
	s_cbranch_execnz .LBB4_29
; %bb.30:
	s_or_b64 exec, exec, s[10:11]
.LBB4_31:
	s_or_b64 exec, exec, s[8:9]
	s_movk_i32 s0, 0xbf
	v_cmp_lt_u32_e32 vcc, s0, v5
	s_and_saveexec_b64 s[8:9], vcc
	s_cbranch_execz .LBB4_35
; %bb.32:
	s_mov_b64 s[10:11], 0
	v_mov_b32_e32 v5, s13
	v_mov_b32_e32 v6, s7
	s_movk_i32 s7, 0x1000
	s_movk_i32 s13, 0x2000
	s_movk_i32 s14, 0x3000
.LBB4_33:                               ; =>This Inner Loop Header: Depth=1
	v_ashrrev_i32_e32 v1, 31, v0
	v_add_co_u32_e32 v7, vcc, s13, v2
	v_lshlrev_b64 v[31:32], 2, v[0:1]
	v_addc_co_u32_e32 v8, vcc, 0, v3, vcc
	v_add_co_u32_e32 v31, vcc, s12, v31
	v_addc_co_u32_e32 v32, vcc, v5, v32, vcc
	global_load_dwordx4 v[15:18], v[2:3], off
	global_load_dwordx4 v[19:22], v[2:3], off offset:16
	global_load_dwordx4 v[23:26], v[2:3], off offset:32
	;; [unrolled: 1-line block ×3, first 2 shown]
	global_load_dword v1, v[31:32], off
	global_load_dword v35, v[31:32], off offset:256
	global_load_dword v36, v[31:32], off offset:512
	;; [unrolled: 1-line block ×3, first 2 shown]
	v_add_u32_e32 v0, 0x100, v0
	v_cmp_ge_i32_e64 s[0:1], v0, v11
	s_or_b64 s[10:11], s[0:1], s[10:11]
	s_waitcnt vmcnt(3)
	v_subrev_u32_e32 v1, s20, v1
	v_lshlrev_b32_e32 v31, 2, v1
	v_ashrrev_i32_e32 v32, 31, v31
	v_lshlrev_b64 v[31:32], 2, v[31:32]
	s_waitcnt vmcnt(2)
	v_subrev_u32_e32 v1, s20, v35
	v_add_co_u32_e32 v31, vcc, s6, v31
	v_addc_co_u32_e32 v32, vcc, v6, v32, vcc
	global_load_dwordx4 v[31:34], v[31:32], off
	v_add_co_u32_e32 v39, vcc, s7, v2
	v_addc_co_u32_e32 v40, vcc, 0, v3, vcc
	s_waitcnt vmcnt(0)
	v_fmac_f32_e32 v14, v15, v31
	v_fmac_f32_e32 v13, v16, v31
	;; [unrolled: 1-line block ×4, first 2 shown]
	global_load_dwordx4 v[15:18], v[2:3], off offset:48
	v_fmac_f32_e32 v14, v19, v32
	v_fmac_f32_e32 v13, v20, v32
	;; [unrolled: 1-line block ×5, first 2 shown]
	v_subrev_u32_e32 v24, s20, v36
	v_lshlrev_b32_e32 v23, 2, v1
	v_fmac_f32_e32 v12, v25, v33
	v_lshlrev_b32_e32 v25, 2, v24
	v_ashrrev_i32_e32 v24, 31, v23
	v_fmac_f32_e32 v10, v22, v32
	v_lshlrev_b64 v[23:24], 2, v[23:24]
	v_fmac_f32_e32 v10, v26, v33
	v_ashrrev_i32_e32 v26, 31, v25
	v_lshlrev_b64 v[25:26], 2, v[25:26]
	v_add_co_u32_e32 v35, vcc, s6, v23
	v_addc_co_u32_e32 v36, vcc, v6, v24, vcc
	global_load_dwordx4 v[19:22], v[7:8], off offset:-4096
	v_add_co_u32_e32 v37, vcc, s6, v25
	v_addc_co_u32_e32 v38, vcc, v6, v26, vcc
	v_subrev_u32_e32 v1, s20, v41
	s_waitcnt vmcnt(1)
	v_fmac_f32_e32 v14, v15, v34
	v_fmac_f32_e32 v13, v16, v34
	;; [unrolled: 1-line block ×4, first 2 shown]
	global_load_dwordx4 v[15:18], v[7:8], off
	global_load_dwordx4 v[23:26], v[35:36], off
	;; [unrolled: 1-line block ×3, first 2 shown]
	s_waitcnt vmcnt(1)
	v_fmac_f32_e32 v14, v19, v23
	v_fmac_f32_e32 v13, v20, v23
	;; [unrolled: 1-line block ×4, first 2 shown]
	global_load_dwordx4 v[19:22], v[39:40], off offset:16
	global_load_dwordx4 v[35:38], v[39:40], off offset:32
	v_lshlrev_b32_e32 v23, 2, v1
	s_waitcnt vmcnt(1)
	v_fmac_f32_e32 v14, v19, v24
	v_fmac_f32_e32 v13, v20, v24
	v_fmac_f32_e32 v12, v21, v24
	v_fmac_f32_e32 v10, v22, v24
	global_load_dwordx4 v[19:22], v[39:40], off offset:48
	v_ashrrev_i32_e32 v24, 31, v23
	s_waitcnt vmcnt(1)
	v_fmac_f32_e32 v14, v35, v25
	v_add_co_u32_e32 v35, vcc, s14, v2
	v_lshlrev_b64 v[23:24], 2, v[23:24]
	v_fmac_f32_e32 v13, v36, v25
	v_fmac_f32_e32 v12, v37, v25
	;; [unrolled: 1-line block ×3, first 2 shown]
	v_addc_co_u32_e32 v36, vcc, 0, v3, vcc
	v_add_co_u32_e32 v37, vcc, s6, v23
	v_addc_co_u32_e32 v38, vcc, v6, v24, vcc
	v_add_co_u32_e32 v2, vcc, 0x4000, v2
	v_addc_co_u32_e32 v3, vcc, 0, v3, vcc
	s_waitcnt vmcnt(0)
	v_fmac_f32_e32 v14, v19, v26
	v_fmac_f32_e32 v13, v20, v26
	;; [unrolled: 1-line block ×4, first 2 shown]
	global_load_dwordx4 v[19:22], v[7:8], off offset:16
	global_load_dwordx4 v[23:26], v[7:8], off offset:32
	v_fmac_f32_e32 v14, v15, v31
	v_fmac_f32_e32 v13, v16, v31
	;; [unrolled: 1-line block ×4, first 2 shown]
	global_load_dwordx4 v[15:18], v[35:36], off
	s_waitcnt vmcnt(2)
	v_fmac_f32_e32 v14, v19, v32
	v_fmac_f32_e32 v13, v20, v32
	;; [unrolled: 1-line block ×4, first 2 shown]
	s_waitcnt vmcnt(1)
	v_fmac_f32_e32 v14, v23, v33
	v_fmac_f32_e32 v13, v24, v33
	;; [unrolled: 1-line block ×4, first 2 shown]
	global_load_dwordx4 v[19:22], v[35:36], off offset:16
	global_load_dwordx4 v[23:26], v[35:36], off offset:32
	v_fmac_f32_e32 v14, v27, v34
	v_fmac_f32_e32 v13, v28, v34
	;; [unrolled: 1-line block ×4, first 2 shown]
	global_load_dwordx4 v[27:30], v[37:38], off
	global_load_dwordx4 v[31:34], v[35:36], off offset:48
	s_waitcnt vmcnt(1)
	v_fmac_f32_e32 v14, v15, v27
	v_fmac_f32_e32 v13, v16, v27
	;; [unrolled: 1-line block ×12, first 2 shown]
	s_waitcnt vmcnt(0)
	v_fmac_f32_e32 v14, v31, v30
	v_fmac_f32_e32 v13, v32, v30
	v_fmac_f32_e32 v12, v33, v30
	v_fmac_f32_e32 v10, v34, v30
	s_andn2_b64 exec, exec, s[10:11]
	s_cbranch_execnz .LBB4_33
; %bb.34:
	s_or_b64 exec, exec, s[10:11]
.LBB4_35:
	s_or_b64 exec, exec, s[8:9]
.LBB4_36:
	s_or_b64 exec, exec, s[2:3]
.LBB4_37:
	v_mov_b32_dpp v0, v14 row_shr:1 row_mask:0xf bank_mask:0xf
	v_mov_b32_dpp v2, v13 row_shr:1 row_mask:0xf bank_mask:0xf
	v_mov_b32_dpp v5, v12 row_shr:1 row_mask:0xf bank_mask:0xf
	v_mov_b32_dpp v7, v10 row_shr:1 row_mask:0xf bank_mask:0xf
	v_add_f32_e32 v0, v14, v0
	v_add_f32_e32 v2, v13, v2
	v_add_f32_e32 v5, v12, v5
	v_add_f32_e32 v7, v10, v7
	v_mov_b32_dpp v1, v0 row_shr:2 row_mask:0xf bank_mask:0xf
	v_mov_b32_dpp v3, v2 row_shr:2 row_mask:0xf bank_mask:0xf
	v_mov_b32_dpp v6, v5 row_shr:2 row_mask:0xf bank_mask:0xf
	v_mov_b32_dpp v8, v7 row_shr:2 row_mask:0xf bank_mask:0xf
	v_add_f32_e32 v0, v0, v1
	v_add_f32_e32 v2, v2, v3
	v_add_f32_e32 v5, v5, v6
	v_add_f32_e32 v7, v7, v8
	;; [unrolled: 8-line block ×4, first 2 shown]
	v_mov_b32_dpp v1, v0 row_bcast:15 row_mask:0xa bank_mask:0xf
	v_mov_b32_dpp v3, v2 row_bcast:15 row_mask:0xa bank_mask:0xf
	v_mov_b32_dpp v6, v5 row_bcast:15 row_mask:0xa bank_mask:0xf
	v_mov_b32_dpp v8, v7 row_bcast:15 row_mask:0xa bank_mask:0xf
	v_add_f32_e32 v0, v0, v1
	v_add_f32_e32 v2, v2, v3
	;; [unrolled: 1-line block ×4, first 2 shown]
	v_mov_b32_dpp v1, v0 row_bcast:31 row_mask:0xc bank_mask:0xf
	v_mov_b32_dpp v3, v2 row_bcast:31 row_mask:0xc bank_mask:0xf
	;; [unrolled: 1-line block ×4, first 2 shown]
	v_cmp_eq_u32_e32 vcc, 63, v9
	s_and_b64 exec, exec, vcc
	s_cbranch_execz .LBB4_10
; %bb.38:
	s_load_dwordx2 s[0:1], s[4:5], 0x50
	v_add_f32_e32 v0, v0, v1
	v_add_f32_e32 v1, v2, v3
	;; [unrolled: 1-line block ×4, first 2 shown]
	v_cmp_eq_f32_e64 s[2:3], s16, 0
	s_and_b64 vcc, exec, s[2:3]
	v_mul_f32_e32 v0, s18, v0
	v_mul_f32_e32 v1, s18, v1
	;; [unrolled: 1-line block ×4, first 2 shown]
	v_lshlrev_b32_e32 v4, 2, v4
	s_cbranch_vccz .LBB4_40
; %bb.39:
	v_ashrrev_i32_e32 v5, 31, v4
	v_lshlrev_b64 v[5:6], 2, v[4:5]
	s_waitcnt lgkmcnt(0)
	v_mov_b32_e32 v7, s1
	v_add_co_u32_e32 v5, vcc, s0, v5
	v_addc_co_u32_e32 v6, vcc, v7, v6, vcc
	global_store_dwordx4 v[5:6], v[0:3], off
	s_cbranch_execnz .LBB4_10
	s_branch .LBB4_41
.LBB4_40:
.LBB4_41:
	v_ashrrev_i32_e32 v5, 31, v4
	v_lshlrev_b64 v[4:5], 2, v[4:5]
	s_waitcnt lgkmcnt(0)
	v_mov_b32_e32 v6, s1
	v_add_co_u32_e32 v8, vcc, s0, v4
	v_addc_co_u32_e32 v9, vcc, v6, v5, vcc
	global_load_dwordx4 v[4:7], v[8:9], off
	s_waitcnt vmcnt(0)
	v_fmac_f32_e32 v0, s16, v4
	v_fmac_f32_e32 v1, s16, v5
	;; [unrolled: 1-line block ×4, first 2 shown]
	global_store_dwordx4 v[8:9], v[0:3], off
	s_endpgm
	.section	.rodata,"a",@progbits
	.p2align	6, 0x0
	.amdhsa_kernel _ZN9rocsparseL18bsrxmvn_4x4_kernelILj128ELj64EfiifffEEvT3_20rocsparse_direction_NS_24const_host_device_scalarIT1_EES1_PKS1_PKT2_SA_S7_PKT4_PKT5_S5_PT6_21rocsparse_index_base_b
		.amdhsa_group_segment_fixed_size 0
		.amdhsa_private_segment_fixed_size 0
		.amdhsa_kernarg_size 96
		.amdhsa_user_sgpr_count 6
		.amdhsa_user_sgpr_private_segment_buffer 1
		.amdhsa_user_sgpr_dispatch_ptr 0
		.amdhsa_user_sgpr_queue_ptr 0
		.amdhsa_user_sgpr_kernarg_segment_ptr 1
		.amdhsa_user_sgpr_dispatch_id 0
		.amdhsa_user_sgpr_flat_scratch_init 0
		.amdhsa_user_sgpr_private_segment_size 0
		.amdhsa_uses_dynamic_stack 0
		.amdhsa_system_sgpr_private_segment_wavefront_offset 0
		.amdhsa_system_sgpr_workgroup_id_x 1
		.amdhsa_system_sgpr_workgroup_id_y 0
		.amdhsa_system_sgpr_workgroup_id_z 0
		.amdhsa_system_sgpr_workgroup_info 0
		.amdhsa_system_vgpr_workitem_id 0
		.amdhsa_next_free_vgpr 48
		.amdhsa_next_free_sgpr 22
		.amdhsa_reserve_vcc 1
		.amdhsa_reserve_flat_scratch 0
		.amdhsa_float_round_mode_32 0
		.amdhsa_float_round_mode_16_64 0
		.amdhsa_float_denorm_mode_32 3
		.amdhsa_float_denorm_mode_16_64 3
		.amdhsa_dx10_clamp 1
		.amdhsa_ieee_mode 1
		.amdhsa_fp16_overflow 0
		.amdhsa_exception_fp_ieee_invalid_op 0
		.amdhsa_exception_fp_denorm_src 0
		.amdhsa_exception_fp_ieee_div_zero 0
		.amdhsa_exception_fp_ieee_overflow 0
		.amdhsa_exception_fp_ieee_underflow 0
		.amdhsa_exception_fp_ieee_inexact 0
		.amdhsa_exception_int_div_zero 0
	.end_amdhsa_kernel
	.section	.text._ZN9rocsparseL18bsrxmvn_4x4_kernelILj128ELj64EfiifffEEvT3_20rocsparse_direction_NS_24const_host_device_scalarIT1_EES1_PKS1_PKT2_SA_S7_PKT4_PKT5_S5_PT6_21rocsparse_index_base_b,"axG",@progbits,_ZN9rocsparseL18bsrxmvn_4x4_kernelILj128ELj64EfiifffEEvT3_20rocsparse_direction_NS_24const_host_device_scalarIT1_EES1_PKS1_PKT2_SA_S7_PKT4_PKT5_S5_PT6_21rocsparse_index_base_b,comdat
.Lfunc_end4:
	.size	_ZN9rocsparseL18bsrxmvn_4x4_kernelILj128ELj64EfiifffEEvT3_20rocsparse_direction_NS_24const_host_device_scalarIT1_EES1_PKS1_PKT2_SA_S7_PKT4_PKT5_S5_PT6_21rocsparse_index_base_b, .Lfunc_end4-_ZN9rocsparseL18bsrxmvn_4x4_kernelILj128ELj64EfiifffEEvT3_20rocsparse_direction_NS_24const_host_device_scalarIT1_EES1_PKS1_PKT2_SA_S7_PKT4_PKT5_S5_PT6_21rocsparse_index_base_b
                                        ; -- End function
	.set _ZN9rocsparseL18bsrxmvn_4x4_kernelILj128ELj64EfiifffEEvT3_20rocsparse_direction_NS_24const_host_device_scalarIT1_EES1_PKS1_PKT2_SA_S7_PKT4_PKT5_S5_PT6_21rocsparse_index_base_b.num_vgpr, 48
	.set _ZN9rocsparseL18bsrxmvn_4x4_kernelILj128ELj64EfiifffEEvT3_20rocsparse_direction_NS_24const_host_device_scalarIT1_EES1_PKS1_PKT2_SA_S7_PKT4_PKT5_S5_PT6_21rocsparse_index_base_b.num_agpr, 0
	.set _ZN9rocsparseL18bsrxmvn_4x4_kernelILj128ELj64EfiifffEEvT3_20rocsparse_direction_NS_24const_host_device_scalarIT1_EES1_PKS1_PKT2_SA_S7_PKT4_PKT5_S5_PT6_21rocsparse_index_base_b.numbered_sgpr, 22
	.set _ZN9rocsparseL18bsrxmvn_4x4_kernelILj128ELj64EfiifffEEvT3_20rocsparse_direction_NS_24const_host_device_scalarIT1_EES1_PKS1_PKT2_SA_S7_PKT4_PKT5_S5_PT6_21rocsparse_index_base_b.num_named_barrier, 0
	.set _ZN9rocsparseL18bsrxmvn_4x4_kernelILj128ELj64EfiifffEEvT3_20rocsparse_direction_NS_24const_host_device_scalarIT1_EES1_PKS1_PKT2_SA_S7_PKT4_PKT5_S5_PT6_21rocsparse_index_base_b.private_seg_size, 0
	.set _ZN9rocsparseL18bsrxmvn_4x4_kernelILj128ELj64EfiifffEEvT3_20rocsparse_direction_NS_24const_host_device_scalarIT1_EES1_PKS1_PKT2_SA_S7_PKT4_PKT5_S5_PT6_21rocsparse_index_base_b.uses_vcc, 1
	.set _ZN9rocsparseL18bsrxmvn_4x4_kernelILj128ELj64EfiifffEEvT3_20rocsparse_direction_NS_24const_host_device_scalarIT1_EES1_PKS1_PKT2_SA_S7_PKT4_PKT5_S5_PT6_21rocsparse_index_base_b.uses_flat_scratch, 0
	.set _ZN9rocsparseL18bsrxmvn_4x4_kernelILj128ELj64EfiifffEEvT3_20rocsparse_direction_NS_24const_host_device_scalarIT1_EES1_PKS1_PKT2_SA_S7_PKT4_PKT5_S5_PT6_21rocsparse_index_base_b.has_dyn_sized_stack, 0
	.set _ZN9rocsparseL18bsrxmvn_4x4_kernelILj128ELj64EfiifffEEvT3_20rocsparse_direction_NS_24const_host_device_scalarIT1_EES1_PKS1_PKT2_SA_S7_PKT4_PKT5_S5_PT6_21rocsparse_index_base_b.has_recursion, 0
	.set _ZN9rocsparseL18bsrxmvn_4x4_kernelILj128ELj64EfiifffEEvT3_20rocsparse_direction_NS_24const_host_device_scalarIT1_EES1_PKS1_PKT2_SA_S7_PKT4_PKT5_S5_PT6_21rocsparse_index_base_b.has_indirect_call, 0
	.section	.AMDGPU.csdata,"",@progbits
; Kernel info:
; codeLenInByte = 3120
; TotalNumSgprs: 26
; NumVgprs: 48
; ScratchSize: 0
; MemoryBound: 0
; FloatMode: 240
; IeeeMode: 1
; LDSByteSize: 0 bytes/workgroup (compile time only)
; SGPRBlocks: 3
; VGPRBlocks: 11
; NumSGPRsForWavesPerEU: 26
; NumVGPRsForWavesPerEU: 48
; Occupancy: 5
; WaveLimiterHint : 1
; COMPUTE_PGM_RSRC2:SCRATCH_EN: 0
; COMPUTE_PGM_RSRC2:USER_SGPR: 6
; COMPUTE_PGM_RSRC2:TRAP_HANDLER: 0
; COMPUTE_PGM_RSRC2:TGID_X_EN: 1
; COMPUTE_PGM_RSRC2:TGID_Y_EN: 0
; COMPUTE_PGM_RSRC2:TGID_Z_EN: 0
; COMPUTE_PGM_RSRC2:TIDIG_COMP_CNT: 0
	.section	.text._ZN9rocsparseL18bsrxmvn_4x4_kernelILj128ELj4EdiidddEEvT3_20rocsparse_direction_NS_24const_host_device_scalarIT1_EES1_PKS1_PKT2_SA_S7_PKT4_PKT5_S5_PT6_21rocsparse_index_base_b,"axG",@progbits,_ZN9rocsparseL18bsrxmvn_4x4_kernelILj128ELj4EdiidddEEvT3_20rocsparse_direction_NS_24const_host_device_scalarIT1_EES1_PKS1_PKT2_SA_S7_PKT4_PKT5_S5_PT6_21rocsparse_index_base_b,comdat
	.globl	_ZN9rocsparseL18bsrxmvn_4x4_kernelILj128ELj4EdiidddEEvT3_20rocsparse_direction_NS_24const_host_device_scalarIT1_EES1_PKS1_PKT2_SA_S7_PKT4_PKT5_S5_PT6_21rocsparse_index_base_b ; -- Begin function _ZN9rocsparseL18bsrxmvn_4x4_kernelILj128ELj4EdiidddEEvT3_20rocsparse_direction_NS_24const_host_device_scalarIT1_EES1_PKS1_PKT2_SA_S7_PKT4_PKT5_S5_PT6_21rocsparse_index_base_b
	.p2align	8
	.type	_ZN9rocsparseL18bsrxmvn_4x4_kernelILj128ELj4EdiidddEEvT3_20rocsparse_direction_NS_24const_host_device_scalarIT1_EES1_PKS1_PKT2_SA_S7_PKT4_PKT5_S5_PT6_21rocsparse_index_base_b,@function
_ZN9rocsparseL18bsrxmvn_4x4_kernelILj128ELj4EdiidddEEvT3_20rocsparse_direction_NS_24const_host_device_scalarIT1_EES1_PKS1_PKT2_SA_S7_PKT4_PKT5_S5_PT6_21rocsparse_index_base_b: ; @_ZN9rocsparseL18bsrxmvn_4x4_kernelILj128ELj4EdiidddEEvT3_20rocsparse_direction_NS_24const_host_device_scalarIT1_EES1_PKS1_PKT2_SA_S7_PKT4_PKT5_S5_PT6_21rocsparse_index_base_b
; %bb.0:
	s_load_dwordx2 s[16:17], s[4:5], 0x58
	s_load_dwordx2 s[8:9], s[4:5], 0x8
	;; [unrolled: 1-line block ×3, first 2 shown]
	s_waitcnt lgkmcnt(0)
	s_bitcmp1_b32 s17, 0
	s_cselect_b64 s[10:11], -1, 0
	v_mov_b32_e32 v2, s8
	s_xor_b64 s[2:3], s[10:11], -1
	s_and_b64 vcc, exec, s[10:11]
	v_mov_b32_e32 v3, s9
	s_cbranch_vccnz .LBB5_2
; %bb.1:
	v_mov_b32_e32 v1, s8
	v_mov_b32_e32 v2, s9
	flat_load_dwordx2 v[2:3], v[1:2]
.LBB5_2:
	v_mov_b32_e32 v9, s1
	s_andn2_b64 vcc, exec, s[2:3]
	v_mov_b32_e32 v8, s0
	s_cbranch_vccnz .LBB5_4
; %bb.3:
	v_mov_b32_e32 v5, s1
	v_mov_b32_e32 v4, s0
	flat_load_dwordx2 v[8:9], v[4:5]
.LBB5_4:
	s_waitcnt vmcnt(0) lgkmcnt(0)
	v_cmp_neq_f64_e32 vcc, 0, v[2:3]
	v_cmp_neq_f64_e64 s[0:1], 1.0, v[8:9]
	s_mov_b64 s[2:3], 0
	s_or_b64 s[0:1], vcc, s[0:1]
	s_and_saveexec_b64 s[8:9], s[0:1]
	s_cbranch_execz .LBB5_10
; %bb.5:
	s_load_dwordx2 s[8:9], s[4:5], 0x18
	s_load_dwordx2 s[0:1], s[4:5], 0x0
	v_lshrrev_b32_e32 v1, 2, v0
	v_lshl_or_b32 v10, s6, 5, v1
	s_mov_b64 s[6:7], 0
	s_waitcnt lgkmcnt(0)
	s_cmp_lg_u64 s[8:9], 0
	s_cbranch_scc0 .LBB5_11
; %bb.6:
	s_load_dword s2, s[4:5], 0x10
                                        ; implicit-def: $vgpr1
	s_waitcnt lgkmcnt(0)
	v_cmp_gt_i32_e32 vcc, s2, v10
	s_and_saveexec_b64 s[2:3], vcc
	s_xor_b64 s[2:3], exec, s[2:3]
	s_cbranch_execz .LBB5_8
; %bb.7:
	v_ashrrev_i32_e32 v11, 31, v10
	v_lshlrev_b64 v[4:5], 2, v[10:11]
	v_mov_b32_e32 v1, s9
	v_add_co_u32_e32 v4, vcc, s8, v4
	v_addc_co_u32_e32 v5, vcc, v1, v5, vcc
	global_load_dword v1, v[4:5], off
	s_mov_b64 s[6:7], exec
	s_waitcnt vmcnt(0)
	v_subrev_u32_e32 v1, s16, v1
.LBB5_8:
	s_or_b64 exec, exec, s[2:3]
	s_mov_b64 s[2:3], s[6:7]
	s_branch .LBB5_12
.LBB5_9:
	v_cmp_gt_i32_e32 vcc, s0, v10
	s_andn2_b64 s[2:3], s[2:3], exec
	s_and_b64 s[6:7], vcc, exec
	s_or_b64 s[2:3], s[2:3], s[6:7]
	s_and_b64 exec, exec, s[2:3]
	s_cbranch_execnz .LBB5_13
.LBB5_10:
	s_endpgm
.LBB5_11:
                                        ; implicit-def: $vgpr1
	s_cbranch_execnz .LBB5_9
.LBB5_12:
	v_mov_b32_e32 v10, v1
	s_and_b64 exec, exec, s[2:3]
	s_cbranch_execz .LBB5_10
.LBB5_13:
	s_load_dwordx8 s[8:15], s[4:5], 0x20
	v_ashrrev_i32_e32 v11, 31, v10
	v_lshlrev_b64 v[4:5], 2, v[10:11]
	v_and_b32_e32 v23, 3, v0
	s_load_dwordx2 s[6:7], s[4:5], 0x40
	s_waitcnt lgkmcnt(0)
	v_mov_b32_e32 v1, s9
	v_add_co_u32_e32 v6, vcc, s8, v4
	v_addc_co_u32_e32 v7, vcc, v1, v5, vcc
	v_add_co_u32_e32 v1, vcc, 4, v6
	global_load_dword v25, v[6:7], off
	v_addc_co_u32_e32 v6, vcc, 0, v7, vcc
	v_mov_b32_e32 v7, s11
	v_add_co_u32_e32 v4, vcc, s10, v4
	s_cmp_eq_u64 s[10:11], 0
	v_addc_co_u32_e32 v5, vcc, v7, v5, vcc
	s_cselect_b64 vcc, -1, 0
	v_cndmask_b32_e32 v5, v5, v6, vcc
	v_cndmask_b32_e32 v4, v4, v1, vcc
	global_load_dword v1, v[4:5], off
	v_mov_b32_e32 v6, s15
	s_cmp_eq_u32 s1, 1
	s_waitcnt vmcnt(1)
	v_subrev_u32_e32 v0, s16, v25
	v_add_u32_e32 v0, v0, v23
	s_waitcnt vmcnt(0)
	v_subrev_u32_e32 v24, s16, v1
	v_ashrrev_i32_e32 v1, 31, v0
	v_lshlrev_b64 v[4:5], 7, v[0:1]
	v_cmp_lt_i32_e64 s[0:1], v0, v24
	v_add_co_u32_e32 v4, vcc, s14, v4
	v_addc_co_u32_e32 v5, vcc, v6, v5, vcc
	s_cbranch_scc1 .LBB5_25
; %bb.14:
	v_mov_b32_e32 v13, 0
	v_mov_b32_e32 v15, 0
	;; [unrolled: 1-line block ×8, first 2 shown]
	s_and_saveexec_b64 s[8:9], s[0:1]
	s_cbranch_execz .LBB5_24
; %bb.15:
	v_add_u32_e32 v1, v25, v23
	v_subrev_u32_e32 v1, s16, v1
	v_add_u32_e32 v1, 4, v1
	v_max_i32_e32 v1, v1, v24
	v_not_b32_e32 v6, v25
	v_add3_u32 v1, s16, v1, v6
	v_sub_u32_e32 v1, v1, v23
	v_and_b32_e32 v6, 12, v1
	v_cmp_ne_u32_e32 vcc, 12, v6
	v_mov_b32_e32 v21, 0
	v_mov_b32_e32 v19, 0
	;; [unrolled: 1-line block ×11, first 2 shown]
	s_and_saveexec_b64 s[10:11], vcc
	s_cbranch_execz .LBB5_19
; %bb.16:
	v_lshrrev_b32_e32 v6, 2, v1
	v_add_u32_e32 v6, 1, v6
	v_and_b32_e32 v6, 3, v6
	v_sub_u32_e32 v17, 0, v6
	v_mov_b32_e32 v13, 0
	v_mov_b32_e32 v7, v5
	;; [unrolled: 1-line block ×6, first 2 shown]
	s_mov_b64 s[14:15], 0
	v_mov_b32_e32 v18, s13
	v_mov_b32_e32 v26, s7
	;; [unrolled: 1-line block ×7, first 2 shown]
.LBB5_17:                               ; =>This Inner Loop Header: Depth=1
	v_ashrrev_i32_e32 v12, 31, v11
	v_lshlrev_b64 v[47:48], 2, v[11:12]
	global_load_dwordx4 v[27:30], v[6:7], off offset:32
	global_load_dwordx4 v[31:34], v[6:7], off offset:64
	;; [unrolled: 1-line block ×3, first 2 shown]
	global_load_dwordx4 v[39:42], v[6:7], off
	global_load_dwordx4 v[43:46], v[6:7], off offset:16
	v_add_co_u32_e32 v47, vcc, s12, v47
	v_addc_co_u32_e32 v48, vcc, v18, v48, vcc
	global_load_dword v12, v[47:48], off
	v_add_co_u32_e64 v17, s[2:3], 1, v17
	s_or_b64 s[14:15], s[2:3], s[14:15]
	v_add_u32_e32 v11, 4, v11
	s_waitcnt vmcnt(0)
	v_subrev_u32_e32 v12, s16, v12
	v_lshlrev_b32_e32 v47, 2, v12
	v_ashrrev_i32_e32 v48, 31, v47
	v_lshlrev_b64 v[47:48], 3, v[47:48]
	v_add_co_u32_e32 v55, vcc, s6, v47
	v_addc_co_u32_e32 v56, vcc, v26, v48, vcc
	global_load_dwordx4 v[47:50], v[55:56], off
	global_load_dwordx4 v[51:54], v[55:56], off offset:16
	s_waitcnt vmcnt(1)
	v_fma_f64 v[21:22], v[39:40], v[47:48], v[21:22]
	v_fma_f64 v[19:20], v[27:28], v[47:48], v[19:20]
	;; [unrolled: 1-line block ×5, first 2 shown]
	global_load_dwordx4 v[39:42], v[6:7], off offset:48
	v_fma_f64 v[19:20], v[29:30], v[49:50], v[19:20]
	global_load_dwordx4 v[27:30], v[6:7], off offset:80
	v_fma_f64 v[15:16], v[33:34], v[49:50], v[15:16]
	;; [unrolled: 2-line block ×3, first 2 shown]
	v_add_co_u32_e32 v6, vcc, 0x200, v6
	s_waitcnt vmcnt(3)
	v_fma_f64 v[21:22], v[43:44], v[51:52], v[21:22]
	v_addc_co_u32_e32 v7, vcc, 0, v7, vcc
	v_fma_f64 v[21:22], v[45:46], v[53:54], v[21:22]
	s_waitcnt vmcnt(2)
	v_fma_f64 v[19:20], v[39:40], v[51:52], v[19:20]
	s_waitcnt vmcnt(1)
	;; [unrolled: 2-line block ×3, first 2 shown]
	v_fma_f64 v[12:13], v[31:32], v[51:52], v[12:13]
	v_fma_f64 v[19:20], v[41:42], v[53:54], v[19:20]
	;; [unrolled: 1-line block ×4, first 2 shown]
	s_andn2_b64 exec, exec, s[14:15]
	s_cbranch_execnz .LBB5_17
; %bb.18:
	s_or_b64 exec, exec, s[14:15]
.LBB5_19:
	s_or_b64 exec, exec, s[10:11]
	v_cmp_lt_u32_e32 vcc, 11, v1
	s_and_saveexec_b64 s[10:11], vcc
	s_cbranch_execz .LBB5_23
; %bb.20:
	s_mov_b64 s[14:15], 0
	v_mov_b32_e32 v1, s13
	v_mov_b32_e32 v26, s7
.LBB5_21:                               ; =>This Inner Loop Header: Depth=1
	v_ashrrev_i32_e32 v12, 31, v11
	v_lshlrev_b64 v[17:18], 2, v[11:12]
	global_load_dwordx4 v[27:30], v[6:7], off offset:32
	global_load_dwordx4 v[31:34], v[6:7], off
	global_load_dwordx4 v[35:38], v[6:7], off offset:64
	v_add_co_u32_e32 v17, vcc, s12, v17
	v_addc_co_u32_e32 v18, vcc, v1, v18, vcc
	global_load_dword v12, v[17:18], off
	v_add_u32_e32 v11, 16, v11
	v_cmp_ge_i32_e64 s[2:3], v11, v24
	s_or_b64 s[14:15], s[2:3], s[14:15]
	s_waitcnt vmcnt(0)
	v_subrev_u32_e32 v12, s16, v12
	v_lshlrev_b32_e32 v39, 2, v12
	v_ashrrev_i32_e32 v40, 31, v39
	v_lshlrev_b64 v[39:40], 3, v[39:40]
	v_add_co_u32_e32 v43, vcc, s6, v39
	v_addc_co_u32_e32 v44, vcc, v26, v40, vcc
	global_load_dwordx4 v[39:42], v[43:44], off
	s_waitcnt vmcnt(0)
	v_fma_f64 v[21:22], v[31:32], v[39:40], v[21:22]
	v_fma_f64 v[19:20], v[27:28], v[39:40], v[19:20]
	;; [unrolled: 1-line block ×4, first 2 shown]
	global_load_dwordx4 v[31:34], v[6:7], off offset:96
	v_fma_f64 v[47:48], v[29:30], v[41:42], v[19:20]
	global_load_dwordx4 v[19:22], v[6:7], off offset:48
	global_load_dwordx4 v[27:30], v[6:7], off offset:16
	v_fma_f64 v[49:50], v[37:38], v[41:42], v[15:16]
	s_waitcnt vmcnt(2)
	v_fma_f64 v[12:13], v[31:32], v[39:40], v[13:14]
	v_fma_f64 v[39:40], v[33:34], v[41:42], v[12:13]
	global_load_dwordx4 v[12:15], v[6:7], off offset:112
	global_load_dwordx4 v[31:34], v[6:7], off offset:80
	;; [unrolled: 1-line block ×3, first 2 shown]
	s_waitcnt vmcnt(0)
	v_fma_f64 v[12:13], v[12:13], v[35:36], v[39:40]
	v_fma_f64 v[27:28], v[27:28], v[35:36], v[45:46]
	;; [unrolled: 1-line block ×5, first 2 shown]
	global_load_dword v12, v[17:18], off offset:16
	v_fma_f64 v[41:42], v[29:30], v[37:38], v[27:28]
	global_load_dwordx4 v[27:30], v[6:7], off offset:544
	v_fma_f64 v[45:46], v[33:34], v[37:38], v[31:32]
	global_load_dwordx4 v[31:34], v[6:7], off offset:576
	;; [unrolled: 2-line block ×3, first 2 shown]
	s_waitcnt vmcnt(3)
	v_subrev_u32_e32 v12, s16, v12
	v_lshlrev_b32_e32 v12, 2, v12
	v_ashrrev_i32_e32 v13, 31, v12
	v_lshlrev_b64 v[12:13], 3, v[12:13]
	v_add_co_u32_e32 v39, vcc, s6, v12
	v_addc_co_u32_e32 v40, vcc, v26, v13, vcc
	global_load_dwordx4 v[12:15], v[39:40], off
	s_waitcnt vmcnt(0)
	v_fma_f64 v[31:32], v[31:32], v[12:13], v[45:46]
	v_fma_f64 v[27:28], v[27:28], v[12:13], v[43:44]
	;; [unrolled: 1-line block ×3, first 2 shown]
	global_load_dwordx4 v[31:34], v[6:7], off offset:528
	v_fma_f64 v[19:20], v[19:20], v[12:13], v[41:42]
	v_fma_f64 v[43:44], v[29:30], v[14:15], v[27:28]
	global_load_dwordx4 v[27:30], v[6:7], off offset:560
	v_fma_f64 v[41:42], v[21:22], v[14:15], v[19:20]
	global_load_dwordx4 v[19:22], v[6:7], off offset:608
	s_waitcnt vmcnt(0)
	v_fma_f64 v[12:13], v[19:20], v[12:13], v[35:36]
	v_fma_f64 v[47:48], v[21:22], v[14:15], v[12:13]
	global_load_dwordx4 v[12:15], v[6:7], off offset:624
	global_load_dwordx4 v[19:22], v[6:7], off offset:592
	;; [unrolled: 1-line block ×3, first 2 shown]
	s_waitcnt vmcnt(0)
	v_fma_f64 v[12:13], v[12:13], v[35:36], v[47:48]
	v_fma_f64 v[31:32], v[31:32], v[35:36], v[41:42]
	;; [unrolled: 1-line block ×5, first 2 shown]
	global_load_dword v12, v[17:18], off offset:32
	v_fma_f64 v[39:40], v[33:34], v[37:38], v[31:32]
	global_load_dwordx4 v[31:34], v[6:7], off offset:1056
	v_fma_f64 v[43:44], v[21:22], v[37:38], v[19:20]
	global_load_dwordx4 v[19:22], v[6:7], off offset:1088
	;; [unrolled: 2-line block ×3, first 2 shown]
	s_waitcnt vmcnt(3)
	v_subrev_u32_e32 v12, s16, v12
	v_lshlrev_b32_e32 v12, 2, v12
	v_ashrrev_i32_e32 v13, 31, v12
	v_lshlrev_b64 v[12:13], 3, v[12:13]
	v_add_co_u32_e32 v45, vcc, s6, v12
	v_addc_co_u32_e32 v46, vcc, v26, v13, vcc
	global_load_dwordx4 v[12:15], v[45:46], off
	s_waitcnt vmcnt(0)
	v_fma_f64 v[19:20], v[19:20], v[12:13], v[43:44]
	v_fma_f64 v[31:32], v[31:32], v[12:13], v[41:42]
	;; [unrolled: 1-line block ×3, first 2 shown]
	global_load_dwordx4 v[19:22], v[6:7], off offset:1040
	v_fma_f64 v[27:28], v[27:28], v[12:13], v[39:40]
	v_fma_f64 v[41:42], v[33:34], v[14:15], v[31:32]
	global_load_dwordx4 v[31:34], v[6:7], off offset:1072
	v_fma_f64 v[39:40], v[29:30], v[14:15], v[27:28]
	global_load_dwordx4 v[27:30], v[6:7], off offset:1120
	s_waitcnt vmcnt(0)
	v_fma_f64 v[12:13], v[27:28], v[12:13], v[35:36]
	v_fma_f64 v[47:48], v[29:30], v[14:15], v[12:13]
	global_load_dwordx4 v[12:15], v[6:7], off offset:1136
	global_load_dwordx4 v[27:30], v[6:7], off offset:1104
	;; [unrolled: 1-line block ×3, first 2 shown]
	s_waitcnt vmcnt(0)
	v_fma_f64 v[19:20], v[19:20], v[35:36], v[39:40]
	v_fma_f64 v[31:32], v[31:32], v[35:36], v[41:42]
	;; [unrolled: 1-line block ×5, first 2 shown]
	global_load_dwordx4 v[19:22], v[6:7], off offset:1568
	v_fma_f64 v[41:42], v[33:34], v[37:38], v[31:32]
	global_load_dwordx4 v[31:34], v[6:7], off offset:1536
	v_fma_f64 v[43:44], v[29:30], v[37:38], v[27:28]
	;; [unrolled: 2-line block ×3, first 2 shown]
	global_load_dwordx4 v[12:15], v[6:7], off offset:1600
	global_load_dword v16, v[17:18], off offset:48
	s_waitcnt vmcnt(0)
	v_subrev_u32_e32 v16, s16, v16
	v_lshlrev_b32_e32 v16, 2, v16
	v_ashrrev_i32_e32 v17, 31, v16
	v_lshlrev_b64 v[16:17], 3, v[16:17]
	v_add_co_u32_e32 v47, vcc, s6, v16
	v_addc_co_u32_e32 v48, vcc, v26, v17, vcc
	global_load_dwordx4 v[35:38], v[47:48], off
	s_waitcnt vmcnt(0)
	v_fma_f64 v[16:17], v[31:32], v[35:36], v[39:40]
	v_fma_f64 v[12:13], v[12:13], v[35:36], v[43:44]
	v_fma_f64 v[49:50], v[33:34], v[37:38], v[16:17]
	v_fma_f64 v[16:17], v[19:20], v[35:36], v[41:42]
	v_fma_f64 v[43:44], v[14:15], v[37:38], v[12:13]
	v_fma_f64 v[12:13], v[27:28], v[35:36], v[45:46]
	global_load_dwordx4 v[31:34], v[6:7], off offset:1584
	global_load_dwordx4 v[39:42], v[6:7], off offset:1648
	v_fma_f64 v[20:21], v[21:22], v[37:38], v[16:17]
	global_load_dwordx4 v[16:19], v[6:7], off offset:1552
	v_fma_f64 v[35:36], v[29:30], v[37:38], v[12:13]
	global_load_dwordx4 v[12:15], v[6:7], off offset:1616
	global_load_dwordx4 v[27:30], v[47:48], off offset:16
	v_add_co_u32_e32 v6, vcc, 0x800, v6
	v_addc_co_u32_e32 v7, vcc, 0, v7, vcc
	s_waitcnt vmcnt(0)
	v_fma_f64 v[16:17], v[16:17], v[27:28], v[49:50]
	v_fma_f64 v[31:32], v[31:32], v[27:28], v[20:21]
	v_fma_f64 v[12:13], v[12:13], v[27:28], v[43:44]
	v_fma_f64 v[27:28], v[39:40], v[27:28], v[35:36]
	v_fma_f64 v[21:22], v[18:19], v[29:30], v[16:17]
	v_fma_f64 v[19:20], v[33:34], v[29:30], v[31:32]
	v_fma_f64 v[15:16], v[14:15], v[29:30], v[12:13]
	v_fma_f64 v[13:14], v[41:42], v[29:30], v[27:28]
	s_andn2_b64 exec, exec, s[14:15]
	s_cbranch_execnz .LBB5_21
; %bb.22:
	s_or_b64 exec, exec, s[14:15]
.LBB5_23:
	s_or_b64 exec, exec, s[10:11]
.LBB5_24:
	s_or_b64 exec, exec, s[8:9]
	s_cbranch_execz .LBB5_26
	s_branch .LBB5_37
.LBB5_25:
                                        ; implicit-def: $vgpr13_vgpr14
                                        ; implicit-def: $vgpr15_vgpr16
                                        ; implicit-def: $vgpr19_vgpr20
                                        ; implicit-def: $vgpr21_vgpr22
.LBB5_26:
	v_mov_b32_e32 v13, 0
	v_mov_b32_e32 v15, 0
	;; [unrolled: 1-line block ×8, first 2 shown]
	s_and_saveexec_b64 s[2:3], s[0:1]
	s_cbranch_execz .LBB5_36
; %bb.27:
	v_add_u32_e32 v1, v25, v23
	v_subrev_u32_e32 v1, s16, v1
	v_add_u32_e32 v1, 4, v1
	v_max_i32_e32 v1, v1, v24
	v_not_b32_e32 v6, v25
	v_add3_u32 v1, s16, v1, v6
	v_sub_u32_e32 v6, v1, v23
	v_and_b32_e32 v1, 12, v6
	v_mov_b32_e32 v21, 0
	v_mov_b32_e32 v19, 0
	;; [unrolled: 1-line block ×8, first 2 shown]
	v_cmp_ne_u32_e32 vcc, 12, v1
	s_and_saveexec_b64 s[8:9], vcc
	s_cbranch_execz .LBB5_31
; %bb.28:
	v_lshrrev_b32_e32 v1, 2, v6
	v_add_u32_e32 v1, 1, v1
	v_and_b32_e32 v1, 3, v1
	v_mov_b32_e32 v13, 0
	v_mov_b32_e32 v15, 0
	;; [unrolled: 1-line block ×4, first 2 shown]
	v_sub_u32_e32 v7, 0, v1
	v_mov_b32_e32 v14, 0
	s_mov_b64 s[10:11], 0
	v_mov_b32_e32 v11, s13
	v_mov_b32_e32 v16, 0
	;; [unrolled: 1-line block ×5, first 2 shown]
.LBB5_29:                               ; =>This Inner Loop Header: Depth=1
	v_ashrrev_i32_e32 v1, 31, v0
	v_lshlrev_b64 v[17:18], 2, v[0:1]
	v_add_co_u32_e64 v7, s[0:1], 1, v7
	v_add_co_u32_e32 v17, vcc, s12, v17
	v_addc_co_u32_e32 v18, vcc, v11, v18, vcc
	global_load_dword v1, v[17:18], off
	global_load_dwordx4 v[25:28], v[4:5], off offset:16
	global_load_dwordx4 v[29:32], v[4:5], off
	s_or_b64 s[10:11], s[0:1], s[10:11]
	v_add_u32_e32 v0, 4, v0
	s_waitcnt vmcnt(2)
	v_subrev_u32_e32 v1, s16, v1
	v_lshlrev_b32_e32 v17, 2, v1
	v_ashrrev_i32_e32 v18, 31, v17
	v_lshlrev_b64 v[17:18], 3, v[17:18]
	v_add_co_u32_e32 v17, vcc, s6, v17
	v_addc_co_u32_e32 v18, vcc, v12, v18, vcc
	global_load_dwordx4 v[33:36], v[17:18], off
	global_load_dwordx4 v[37:40], v[4:5], off offset:32
	global_load_dwordx4 v[41:44], v[4:5], off offset:48
	;; [unrolled: 1-line block ×7, first 2 shown]
	v_add_co_u32_e32 v4, vcc, 0x200, v4
	v_addc_co_u32_e32 v5, vcc, 0, v5, vcc
	s_waitcnt vmcnt(7)
	v_fma_f64 v[17:18], v[29:30], v[33:34], v[21:22]
	v_fma_f64 v[19:20], v[31:32], v[33:34], v[19:20]
	;; [unrolled: 1-line block ×4, first 2 shown]
	s_waitcnt vmcnt(6)
	v_fma_f64 v[17:18], v[37:38], v[35:36], v[17:18]
	v_fma_f64 v[19:20], v[39:40], v[35:36], v[19:20]
	s_waitcnt vmcnt(5)
	v_fma_f64 v[15:16], v[41:42], v[35:36], v[15:16]
	v_fma_f64 v[13:14], v[43:44], v[35:36], v[13:14]
	;; [unrolled: 3-line block ×3, first 2 shown]
	v_fma_f64 v[15:16], v[49:50], v[53:54], v[15:16]
	v_fma_f64 v[13:14], v[51:52], v[53:54], v[13:14]
	s_waitcnt vmcnt(1)
	v_fma_f64 v[21:22], v[57:58], v[55:56], v[17:18]
	v_fma_f64 v[19:20], v[59:60], v[55:56], v[19:20]
	s_waitcnt vmcnt(0)
	v_fma_f64 v[15:16], v[61:62], v[55:56], v[15:16]
	v_fma_f64 v[13:14], v[63:64], v[55:56], v[13:14]
	s_andn2_b64 exec, exec, s[10:11]
	s_cbranch_execnz .LBB5_29
; %bb.30:
	s_or_b64 exec, exec, s[10:11]
.LBB5_31:
	s_or_b64 exec, exec, s[8:9]
	v_cmp_lt_u32_e32 vcc, 11, v6
	s_and_saveexec_b64 s[8:9], vcc
	s_cbranch_execz .LBB5_35
; %bb.32:
	s_mov_b64 s[10:11], 0
	v_mov_b32_e32 v6, s13
	v_mov_b32_e32 v7, s7
.LBB5_33:                               ; =>This Inner Loop Header: Depth=1
	v_ashrrev_i32_e32 v1, 31, v0
	v_lshlrev_b64 v[11:12], 2, v[0:1]
	global_load_dwordx4 v[25:28], v[4:5], off offset:32
	global_load_dwordx4 v[29:32], v[4:5], off offset:16
	global_load_dwordx4 v[33:36], v[4:5], off
	v_add_co_u32_e32 v41, vcc, s12, v11
	v_addc_co_u32_e32 v42, vcc, v6, v12, vcc
	global_load_dword v1, v[41:42], off
	v_add_u32_e32 v0, 16, v0
	v_cmp_ge_i32_e64 s[0:1], v0, v24
	s_or_b64 s[10:11], s[0:1], s[10:11]
	s_waitcnt vmcnt(0)
	v_subrev_u32_e32 v1, s16, v1
	v_lshlrev_b32_e32 v11, 2, v1
	v_ashrrev_i32_e32 v12, 31, v11
	v_lshlrev_b64 v[11:12], 3, v[11:12]
	v_add_co_u32_e32 v43, vcc, s6, v11
	v_addc_co_u32_e32 v44, vcc, v7, v12, vcc
	global_load_dwordx4 v[37:40], v[43:44], off
	s_waitcnt vmcnt(0)
	v_fma_f64 v[21:22], v[33:34], v[37:38], v[21:22]
	v_fma_f64 v[33:34], v[35:36], v[37:38], v[19:20]
	global_load_dwordx4 v[17:20], v[4:5], off offset:48
	v_fma_f64 v[15:16], v[29:30], v[37:38], v[15:16]
	v_fma_f64 v[29:30], v[31:32], v[37:38], v[13:14]
	global_load_dwordx4 v[11:14], v[4:5], off offset:112
	;; [unrolled: 3-line block ×3, first 2 shown]
	s_waitcnt vmcnt(2)
	v_fma_f64 v[37:38], v[17:18], v[39:40], v[15:16]
	v_fma_f64 v[39:40], v[19:20], v[39:40], v[29:30]
	global_load_dwordx4 v[15:18], v[4:5], off offset:80
	global_load_dwordx4 v[19:22], v[4:5], off offset:64
	;; [unrolled: 1-line block ×3, first 2 shown]
	global_load_dword v1, v[41:42], off offset:16
	s_waitcnt vmcnt(1)
	v_fma_f64 v[37:38], v[15:16], v[29:30], v[37:38]
	v_fma_f64 v[35:36], v[19:20], v[29:30], v[35:36]
	;; [unrolled: 1-line block ×4, first 2 shown]
	s_waitcnt vmcnt(0)
	v_subrev_u32_e32 v1, s16, v1
	global_load_dwordx4 v[15:18], v[4:5], off offset:528
	global_load_dwordx4 v[19:22], v[4:5], off offset:544
	v_fma_f64 v[37:38], v[11:12], v[31:32], v[37:38]
	v_lshlrev_b32_e32 v11, 2, v1
	v_ashrrev_i32_e32 v12, 31, v11
	v_lshlrev_b64 v[11:12], 3, v[11:12]
	v_fma_f64 v[35:36], v[25:26], v[31:32], v[35:36]
	v_add_co_u32_e32 v39, vcc, s6, v11
	v_addc_co_u32_e32 v40, vcc, v7, v12, vcc
	v_fma_f64 v[33:34], v[27:28], v[31:32], v[33:34]
	global_load_dwordx4 v[25:28], v[4:5], off offset:512
	v_fma_f64 v[29:30], v[13:14], v[31:32], v[29:30]
	global_load_dwordx4 v[11:14], v[39:40], off
	s_waitcnt vmcnt(0)
	v_fma_f64 v[31:32], v[25:26], v[11:12], v[35:36]
	v_fma_f64 v[33:34], v[27:28], v[11:12], v[33:34]
	global_load_dwordx4 v[25:28], v[4:5], off offset:560
	v_fma_f64 v[35:36], v[15:16], v[11:12], v[37:38]
	v_fma_f64 v[11:12], v[17:18], v[11:12], v[29:30]
	global_load_dwordx4 v[15:18], v[4:5], off offset:624
	;; [unrolled: 3-line block ×3, first 2 shown]
	s_waitcnt vmcnt(2)
	v_fma_f64 v[35:36], v[25:26], v[13:14], v[35:36]
	v_fma_f64 v[43:44], v[27:28], v[13:14], v[11:12]
	global_load_dwordx4 v[11:14], v[4:5], off offset:592
	global_load_dwordx4 v[25:28], v[4:5], off offset:576
	;; [unrolled: 1-line block ×3, first 2 shown]
	global_load_dword v1, v[41:42], off offset:32
	s_waitcnt vmcnt(1)
	v_fma_f64 v[35:36], v[11:12], v[29:30], v[35:36]
	v_fma_f64 v[37:38], v[25:26], v[29:30], v[37:38]
	v_fma_f64 v[33:34], v[27:28], v[29:30], v[33:34]
	v_fma_f64 v[29:30], v[13:14], v[29:30], v[43:44]
	s_waitcnt vmcnt(0)
	v_subrev_u32_e32 v1, s16, v1
	global_load_dwordx4 v[11:14], v[4:5], off offset:1040
	global_load_dwordx4 v[25:28], v[4:5], off offset:1056
	v_fma_f64 v[35:36], v[15:16], v[31:32], v[35:36]
	v_lshlrev_b32_e32 v15, 2, v1
	v_ashrrev_i32_e32 v16, 31, v15
	v_lshlrev_b64 v[15:16], 3, v[15:16]
	v_fma_f64 v[37:38], v[19:20], v[31:32], v[37:38]
	v_fma_f64 v[33:34], v[21:22], v[31:32], v[33:34]
	;; [unrolled: 1-line block ×3, first 2 shown]
	v_add_co_u32_e32 v31, vcc, s6, v15
	v_addc_co_u32_e32 v32, vcc, v7, v16, vcc
	global_load_dwordx4 v[19:22], v[4:5], off offset:1024
	global_load_dwordx4 v[15:18], v[31:32], off
	s_waitcnt vmcnt(0)
	v_fma_f64 v[37:38], v[19:20], v[15:16], v[37:38]
	v_fma_f64 v[33:34], v[21:22], v[15:16], v[33:34]
	global_load_dwordx4 v[19:22], v[4:5], off offset:1072
	v_fma_f64 v[35:36], v[11:12], v[15:16], v[35:36]
	v_fma_f64 v[15:16], v[13:14], v[15:16], v[29:30]
	global_load_dwordx4 v[11:14], v[4:5], off offset:1136
	;; [unrolled: 3-line block ×3, first 2 shown]
	s_waitcnt vmcnt(2)
	v_fma_f64 v[35:36], v[19:20], v[17:18], v[35:36]
	v_fma_f64 v[39:40], v[21:22], v[17:18], v[15:16]
	global_load_dwordx4 v[15:18], v[4:5], off offset:1104
	global_load_dwordx4 v[19:22], v[4:5], off offset:1088
	global_load_dword v1, v[41:42], off offset:48
	s_waitcnt vmcnt(0)
	v_subrev_u32_e32 v1, s16, v1
	v_lshlrev_b32_e32 v29, 2, v1
	v_ashrrev_i32_e32 v30, 31, v29
	v_lshlrev_b64 v[29:30], 3, v[29:30]
	v_add_co_u32_e32 v41, vcc, s6, v29
	v_addc_co_u32_e32 v42, vcc, v7, v30, vcc
	global_load_dwordx4 v[29:32], v[31:32], off offset:16
	s_waitcnt vmcnt(0)
	v_fma_f64 v[37:38], v[19:20], v[29:30], v[37:38]
	v_fma_f64 v[33:34], v[21:22], v[29:30], v[33:34]
	;; [unrolled: 1-line block ×4, first 2 shown]
	global_load_dwordx4 v[19:22], v[4:5], off offset:1552
	global_load_dwordx4 v[15:18], v[4:5], off offset:1536
	v_fma_f64 v[37:38], v[25:26], v[31:32], v[37:38]
	v_fma_f64 v[33:34], v[27:28], v[31:32], v[33:34]
	global_load_dwordx4 v[25:28], v[4:5], off offset:1568
	v_fma_f64 v[35:36], v[11:12], v[31:32], v[35:36]
	v_fma_f64 v[39:40], v[13:14], v[31:32], v[29:30]
	global_load_dwordx4 v[11:14], v[41:42], off
	global_load_dwordx4 v[29:32], v[4:5], off offset:1584
	s_waitcnt vmcnt(1)
	v_fma_f64 v[37:38], v[15:16], v[11:12], v[37:38]
	v_fma_f64 v[33:34], v[17:18], v[11:12], v[33:34]
	global_load_dwordx4 v[15:18], v[4:5], off offset:1600
	v_fma_f64 v[35:36], v[19:20], v[11:12], v[35:36]
	v_fma_f64 v[11:12], v[21:22], v[11:12], v[39:40]
	global_load_dwordx4 v[19:22], v[4:5], off offset:1616
	;; [unrolled: 3-line block ×3, first 2 shown]
	s_waitcnt vmcnt(3)
	v_fma_f64 v[35:36], v[29:30], v[13:14], v[35:36]
	v_fma_f64 v[39:40], v[31:32], v[13:14], v[11:12]
	global_load_dwordx4 v[11:14], v[4:5], off offset:1632
	global_load_dwordx4 v[29:32], v[4:5], off offset:1648
	v_add_co_u32_e32 v4, vcc, 0x800, v4
	v_addc_co_u32_e32 v5, vcc, 0, v5, vcc
	s_waitcnt vmcnt(2)
	v_fma_f64 v[15:16], v[15:16], v[25:26], v[37:38]
	v_fma_f64 v[17:18], v[17:18], v[25:26], v[33:34]
	;; [unrolled: 1-line block ×4, first 2 shown]
	s_waitcnt vmcnt(1)
	v_fma_f64 v[21:22], v[11:12], v[27:28], v[15:16]
	v_fma_f64 v[19:20], v[13:14], v[27:28], v[17:18]
	s_waitcnt vmcnt(0)
	v_fma_f64 v[15:16], v[29:30], v[27:28], v[33:34]
	v_fma_f64 v[13:14], v[31:32], v[27:28], v[25:26]
	s_andn2_b64 exec, exec, s[10:11]
	s_cbranch_execnz .LBB5_33
; %bb.34:
	s_or_b64 exec, exec, s[10:11]
.LBB5_35:
	s_or_b64 exec, exec, s[8:9]
.LBB5_36:
	s_or_b64 exec, exec, s[2:3]
.LBB5_37:
	v_mov_b32_dpp v0, v21 row_shr:1 row_mask:0xf bank_mask:0xf
	v_mov_b32_dpp v1, v22 row_shr:1 row_mask:0xf bank_mask:0xf
	;; [unrolled: 1-line block ×8, first 2 shown]
	v_add_f64 v[0:1], v[21:22], v[0:1]
	v_add_f64 v[4:5], v[19:20], v[4:5]
	;; [unrolled: 1-line block ×4, first 2 shown]
	v_cmp_eq_u32_e32 vcc, 3, v23
	v_mov_b32_dpp v19, v0 row_shr:2 row_mask:0xf bank_mask:0xf
	v_mov_b32_dpp v20, v1 row_shr:2 row_mask:0xf bank_mask:0xf
	;; [unrolled: 1-line block ×8, first 2 shown]
	s_and_b64 exec, exec, vcc
	s_cbranch_execz .LBB5_10
; %bb.38:
	v_add_f64 v[0:1], v[0:1], v[19:20]
	v_add_f64 v[17:18], v[4:5], v[17:18]
	;; [unrolled: 1-line block ×4, first 2 shown]
	v_cmp_eq_f64_e32 vcc, 0, v[8:9]
	s_load_dwordx2 s[0:1], s[4:5], 0x50
	v_lshlrev_b32_e32 v10, 2, v10
	v_mul_f64 v[4:5], v[2:3], v[0:1]
	v_mul_f64 v[6:7], v[2:3], v[17:18]
	;; [unrolled: 1-line block ×4, first 2 shown]
	s_and_saveexec_b64 s[2:3], vcc
	s_xor_b64 s[2:3], exec, s[2:3]
	s_cbranch_execz .LBB5_40
; %bb.39:
	v_ashrrev_i32_e32 v11, 31, v10
	v_lshlrev_b64 v[8:9], 3, v[10:11]
	s_waitcnt lgkmcnt(0)
	v_mov_b32_e32 v10, s1
	v_add_co_u32_e32 v8, vcc, s0, v8
	v_addc_co_u32_e32 v9, vcc, v10, v9, vcc
	global_store_dwordx4 v[8:9], v[4:7], off
	global_store_dwordx4 v[8:9], v[0:3], off offset:16
                                        ; implicit-def: $vgpr10
                                        ; implicit-def: $vgpr8_vgpr9
                                        ; implicit-def: $vgpr4_vgpr5
                                        ; implicit-def: $vgpr0_vgpr1
.LBB5_40:
	s_andn2_saveexec_b64 s[2:3], s[2:3]
	s_cbranch_execz .LBB5_10
; %bb.41:
	v_ashrrev_i32_e32 v11, 31, v10
	v_lshlrev_b64 v[10:11], 3, v[10:11]
	s_waitcnt lgkmcnt(0)
	v_mov_b32_e32 v12, s1
	v_add_co_u32_e32 v18, vcc, s0, v10
	v_addc_co_u32_e32 v19, vcc, v12, v11, vcc
	global_load_dwordx4 v[10:13], v[18:19], off
	global_load_dwordx4 v[14:17], v[18:19], off offset:16
	s_waitcnt vmcnt(1)
	v_fma_f64 v[4:5], v[8:9], v[10:11], v[4:5]
	v_fma_f64 v[6:7], v[8:9], v[12:13], v[6:7]
	s_waitcnt vmcnt(0)
	v_fma_f64 v[0:1], v[8:9], v[14:15], v[0:1]
	v_fma_f64 v[2:3], v[8:9], v[16:17], v[2:3]
	global_store_dwordx4 v[18:19], v[4:7], off
	global_store_dwordx4 v[18:19], v[0:3], off offset:16
	s_endpgm
	.section	.rodata,"a",@progbits
	.p2align	6, 0x0
	.amdhsa_kernel _ZN9rocsparseL18bsrxmvn_4x4_kernelILj128ELj4EdiidddEEvT3_20rocsparse_direction_NS_24const_host_device_scalarIT1_EES1_PKS1_PKT2_SA_S7_PKT4_PKT5_S5_PT6_21rocsparse_index_base_b
		.amdhsa_group_segment_fixed_size 0
		.amdhsa_private_segment_fixed_size 0
		.amdhsa_kernarg_size 96
		.amdhsa_user_sgpr_count 6
		.amdhsa_user_sgpr_private_segment_buffer 1
		.amdhsa_user_sgpr_dispatch_ptr 0
		.amdhsa_user_sgpr_queue_ptr 0
		.amdhsa_user_sgpr_kernarg_segment_ptr 1
		.amdhsa_user_sgpr_dispatch_id 0
		.amdhsa_user_sgpr_flat_scratch_init 0
		.amdhsa_user_sgpr_private_segment_size 0
		.amdhsa_uses_dynamic_stack 0
		.amdhsa_system_sgpr_private_segment_wavefront_offset 0
		.amdhsa_system_sgpr_workgroup_id_x 1
		.amdhsa_system_sgpr_workgroup_id_y 0
		.amdhsa_system_sgpr_workgroup_id_z 0
		.amdhsa_system_sgpr_workgroup_info 0
		.amdhsa_system_vgpr_workitem_id 0
		.amdhsa_next_free_vgpr 65
		.amdhsa_next_free_sgpr 18
		.amdhsa_reserve_vcc 1
		.amdhsa_reserve_flat_scratch 0
		.amdhsa_float_round_mode_32 0
		.amdhsa_float_round_mode_16_64 0
		.amdhsa_float_denorm_mode_32 3
		.amdhsa_float_denorm_mode_16_64 3
		.amdhsa_dx10_clamp 1
		.amdhsa_ieee_mode 1
		.amdhsa_fp16_overflow 0
		.amdhsa_exception_fp_ieee_invalid_op 0
		.amdhsa_exception_fp_denorm_src 0
		.amdhsa_exception_fp_ieee_div_zero 0
		.amdhsa_exception_fp_ieee_overflow 0
		.amdhsa_exception_fp_ieee_underflow 0
		.amdhsa_exception_fp_ieee_inexact 0
		.amdhsa_exception_int_div_zero 0
	.end_amdhsa_kernel
	.section	.text._ZN9rocsparseL18bsrxmvn_4x4_kernelILj128ELj4EdiidddEEvT3_20rocsparse_direction_NS_24const_host_device_scalarIT1_EES1_PKS1_PKT2_SA_S7_PKT4_PKT5_S5_PT6_21rocsparse_index_base_b,"axG",@progbits,_ZN9rocsparseL18bsrxmvn_4x4_kernelILj128ELj4EdiidddEEvT3_20rocsparse_direction_NS_24const_host_device_scalarIT1_EES1_PKS1_PKT2_SA_S7_PKT4_PKT5_S5_PT6_21rocsparse_index_base_b,comdat
.Lfunc_end5:
	.size	_ZN9rocsparseL18bsrxmvn_4x4_kernelILj128ELj4EdiidddEEvT3_20rocsparse_direction_NS_24const_host_device_scalarIT1_EES1_PKS1_PKT2_SA_S7_PKT4_PKT5_S5_PT6_21rocsparse_index_base_b, .Lfunc_end5-_ZN9rocsparseL18bsrxmvn_4x4_kernelILj128ELj4EdiidddEEvT3_20rocsparse_direction_NS_24const_host_device_scalarIT1_EES1_PKS1_PKT2_SA_S7_PKT4_PKT5_S5_PT6_21rocsparse_index_base_b
                                        ; -- End function
	.set _ZN9rocsparseL18bsrxmvn_4x4_kernelILj128ELj4EdiidddEEvT3_20rocsparse_direction_NS_24const_host_device_scalarIT1_EES1_PKS1_PKT2_SA_S7_PKT4_PKT5_S5_PT6_21rocsparse_index_base_b.num_vgpr, 65
	.set _ZN9rocsparseL18bsrxmvn_4x4_kernelILj128ELj4EdiidddEEvT3_20rocsparse_direction_NS_24const_host_device_scalarIT1_EES1_PKS1_PKT2_SA_S7_PKT4_PKT5_S5_PT6_21rocsparse_index_base_b.num_agpr, 0
	.set _ZN9rocsparseL18bsrxmvn_4x4_kernelILj128ELj4EdiidddEEvT3_20rocsparse_direction_NS_24const_host_device_scalarIT1_EES1_PKS1_PKT2_SA_S7_PKT4_PKT5_S5_PT6_21rocsparse_index_base_b.numbered_sgpr, 18
	.set _ZN9rocsparseL18bsrxmvn_4x4_kernelILj128ELj4EdiidddEEvT3_20rocsparse_direction_NS_24const_host_device_scalarIT1_EES1_PKS1_PKT2_SA_S7_PKT4_PKT5_S5_PT6_21rocsparse_index_base_b.num_named_barrier, 0
	.set _ZN9rocsparseL18bsrxmvn_4x4_kernelILj128ELj4EdiidddEEvT3_20rocsparse_direction_NS_24const_host_device_scalarIT1_EES1_PKS1_PKT2_SA_S7_PKT4_PKT5_S5_PT6_21rocsparse_index_base_b.private_seg_size, 0
	.set _ZN9rocsparseL18bsrxmvn_4x4_kernelILj128ELj4EdiidddEEvT3_20rocsparse_direction_NS_24const_host_device_scalarIT1_EES1_PKS1_PKT2_SA_S7_PKT4_PKT5_S5_PT6_21rocsparse_index_base_b.uses_vcc, 1
	.set _ZN9rocsparseL18bsrxmvn_4x4_kernelILj128ELj4EdiidddEEvT3_20rocsparse_direction_NS_24const_host_device_scalarIT1_EES1_PKS1_PKT2_SA_S7_PKT4_PKT5_S5_PT6_21rocsparse_index_base_b.uses_flat_scratch, 0
	.set _ZN9rocsparseL18bsrxmvn_4x4_kernelILj128ELj4EdiidddEEvT3_20rocsparse_direction_NS_24const_host_device_scalarIT1_EES1_PKS1_PKT2_SA_S7_PKT4_PKT5_S5_PT6_21rocsparse_index_base_b.has_dyn_sized_stack, 0
	.set _ZN9rocsparseL18bsrxmvn_4x4_kernelILj128ELj4EdiidddEEvT3_20rocsparse_direction_NS_24const_host_device_scalarIT1_EES1_PKS1_PKT2_SA_S7_PKT4_PKT5_S5_PT6_21rocsparse_index_base_b.has_recursion, 0
	.set _ZN9rocsparseL18bsrxmvn_4x4_kernelILj128ELj4EdiidddEEvT3_20rocsparse_direction_NS_24const_host_device_scalarIT1_EES1_PKS1_PKT2_SA_S7_PKT4_PKT5_S5_PT6_21rocsparse_index_base_b.has_indirect_call, 0
	.section	.AMDGPU.csdata,"",@progbits
; Kernel info:
; codeLenInByte = 4216
; TotalNumSgprs: 22
; NumVgprs: 65
; ScratchSize: 0
; MemoryBound: 1
; FloatMode: 240
; IeeeMode: 1
; LDSByteSize: 0 bytes/workgroup (compile time only)
; SGPRBlocks: 2
; VGPRBlocks: 16
; NumSGPRsForWavesPerEU: 22
; NumVGPRsForWavesPerEU: 65
; Occupancy: 3
; WaveLimiterHint : 1
; COMPUTE_PGM_RSRC2:SCRATCH_EN: 0
; COMPUTE_PGM_RSRC2:USER_SGPR: 6
; COMPUTE_PGM_RSRC2:TRAP_HANDLER: 0
; COMPUTE_PGM_RSRC2:TGID_X_EN: 1
; COMPUTE_PGM_RSRC2:TGID_Y_EN: 0
; COMPUTE_PGM_RSRC2:TGID_Z_EN: 0
; COMPUTE_PGM_RSRC2:TIDIG_COMP_CNT: 0
	.section	.text._ZN9rocsparseL18bsrxmvn_4x4_kernelILj128ELj8EdiidddEEvT3_20rocsparse_direction_NS_24const_host_device_scalarIT1_EES1_PKS1_PKT2_SA_S7_PKT4_PKT5_S5_PT6_21rocsparse_index_base_b,"axG",@progbits,_ZN9rocsparseL18bsrxmvn_4x4_kernelILj128ELj8EdiidddEEvT3_20rocsparse_direction_NS_24const_host_device_scalarIT1_EES1_PKS1_PKT2_SA_S7_PKT4_PKT5_S5_PT6_21rocsparse_index_base_b,comdat
	.globl	_ZN9rocsparseL18bsrxmvn_4x4_kernelILj128ELj8EdiidddEEvT3_20rocsparse_direction_NS_24const_host_device_scalarIT1_EES1_PKS1_PKT2_SA_S7_PKT4_PKT5_S5_PT6_21rocsparse_index_base_b ; -- Begin function _ZN9rocsparseL18bsrxmvn_4x4_kernelILj128ELj8EdiidddEEvT3_20rocsparse_direction_NS_24const_host_device_scalarIT1_EES1_PKS1_PKT2_SA_S7_PKT4_PKT5_S5_PT6_21rocsparse_index_base_b
	.p2align	8
	.type	_ZN9rocsparseL18bsrxmvn_4x4_kernelILj128ELj8EdiidddEEvT3_20rocsparse_direction_NS_24const_host_device_scalarIT1_EES1_PKS1_PKT2_SA_S7_PKT4_PKT5_S5_PT6_21rocsparse_index_base_b,@function
_ZN9rocsparseL18bsrxmvn_4x4_kernelILj128ELj8EdiidddEEvT3_20rocsparse_direction_NS_24const_host_device_scalarIT1_EES1_PKS1_PKT2_SA_S7_PKT4_PKT5_S5_PT6_21rocsparse_index_base_b: ; @_ZN9rocsparseL18bsrxmvn_4x4_kernelILj128ELj8EdiidddEEvT3_20rocsparse_direction_NS_24const_host_device_scalarIT1_EES1_PKS1_PKT2_SA_S7_PKT4_PKT5_S5_PT6_21rocsparse_index_base_b
; %bb.0:
	s_load_dwordx2 s[16:17], s[4:5], 0x58
	s_load_dwordx2 s[8:9], s[4:5], 0x8
	;; [unrolled: 1-line block ×3, first 2 shown]
	s_waitcnt lgkmcnt(0)
	s_bitcmp1_b32 s17, 0
	s_cselect_b64 s[10:11], -1, 0
	v_mov_b32_e32 v2, s8
	s_xor_b64 s[2:3], s[10:11], -1
	s_and_b64 vcc, exec, s[10:11]
	v_mov_b32_e32 v3, s9
	s_cbranch_vccnz .LBB6_2
; %bb.1:
	v_mov_b32_e32 v1, s8
	v_mov_b32_e32 v2, s9
	flat_load_dwordx2 v[2:3], v[1:2]
.LBB6_2:
	v_mov_b32_e32 v9, s1
	s_andn2_b64 vcc, exec, s[2:3]
	v_mov_b32_e32 v8, s0
	s_cbranch_vccnz .LBB6_4
; %bb.3:
	v_mov_b32_e32 v5, s1
	v_mov_b32_e32 v4, s0
	flat_load_dwordx2 v[8:9], v[4:5]
.LBB6_4:
	s_waitcnt vmcnt(0) lgkmcnt(0)
	v_cmp_neq_f64_e32 vcc, 0, v[2:3]
	v_cmp_neq_f64_e64 s[0:1], 1.0, v[8:9]
	s_mov_b64 s[2:3], 0
	s_or_b64 s[0:1], vcc, s[0:1]
	s_and_saveexec_b64 s[8:9], s[0:1]
	s_cbranch_execz .LBB6_10
; %bb.5:
	s_load_dwordx2 s[8:9], s[4:5], 0x18
	s_load_dwordx2 s[0:1], s[4:5], 0x0
	v_lshrrev_b32_e32 v1, 3, v0
	v_lshl_or_b32 v10, s6, 4, v1
	s_mov_b64 s[6:7], 0
	s_waitcnt lgkmcnt(0)
	s_cmp_lg_u64 s[8:9], 0
	s_cbranch_scc0 .LBB6_11
; %bb.6:
	s_load_dword s2, s[4:5], 0x10
                                        ; implicit-def: $vgpr1
	s_waitcnt lgkmcnt(0)
	v_cmp_gt_i32_e32 vcc, s2, v10
	s_and_saveexec_b64 s[2:3], vcc
	s_xor_b64 s[2:3], exec, s[2:3]
	s_cbranch_execz .LBB6_8
; %bb.7:
	v_ashrrev_i32_e32 v11, 31, v10
	v_lshlrev_b64 v[4:5], 2, v[10:11]
	v_mov_b32_e32 v1, s9
	v_add_co_u32_e32 v4, vcc, s8, v4
	v_addc_co_u32_e32 v5, vcc, v1, v5, vcc
	global_load_dword v1, v[4:5], off
	s_mov_b64 s[6:7], exec
	s_waitcnt vmcnt(0)
	v_subrev_u32_e32 v1, s16, v1
.LBB6_8:
	s_or_b64 exec, exec, s[2:3]
	s_mov_b64 s[2:3], s[6:7]
	s_branch .LBB6_12
.LBB6_9:
	v_cmp_gt_i32_e32 vcc, s0, v10
	s_andn2_b64 s[2:3], s[2:3], exec
	s_and_b64 s[6:7], vcc, exec
	s_or_b64 s[2:3], s[2:3], s[6:7]
	s_and_b64 exec, exec, s[2:3]
	s_cbranch_execnz .LBB6_13
.LBB6_10:
	s_endpgm
.LBB6_11:
                                        ; implicit-def: $vgpr1
	s_cbranch_execnz .LBB6_9
.LBB6_12:
	v_mov_b32_e32 v10, v1
	s_and_b64 exec, exec, s[2:3]
	s_cbranch_execz .LBB6_10
.LBB6_13:
	s_load_dwordx8 s[8:15], s[4:5], 0x20
	v_ashrrev_i32_e32 v11, 31, v10
	v_lshlrev_b64 v[4:5], 2, v[10:11]
	v_and_b32_e32 v23, 7, v0
	s_load_dwordx2 s[6:7], s[4:5], 0x40
	s_waitcnt lgkmcnt(0)
	v_mov_b32_e32 v1, s9
	v_add_co_u32_e32 v6, vcc, s8, v4
	v_addc_co_u32_e32 v7, vcc, v1, v5, vcc
	v_add_co_u32_e32 v1, vcc, 4, v6
	global_load_dword v25, v[6:7], off
	v_addc_co_u32_e32 v6, vcc, 0, v7, vcc
	v_mov_b32_e32 v7, s11
	v_add_co_u32_e32 v4, vcc, s10, v4
	s_cmp_eq_u64 s[10:11], 0
	v_addc_co_u32_e32 v5, vcc, v7, v5, vcc
	s_cselect_b64 vcc, -1, 0
	v_cndmask_b32_e32 v5, v5, v6, vcc
	v_cndmask_b32_e32 v4, v4, v1, vcc
	global_load_dword v1, v[4:5], off
	v_mov_b32_e32 v6, s15
	s_cmp_eq_u32 s1, 1
	s_waitcnt vmcnt(1)
	v_subrev_u32_e32 v0, s16, v25
	v_add_u32_e32 v0, v0, v23
	s_waitcnt vmcnt(0)
	v_subrev_u32_e32 v24, s16, v1
	v_ashrrev_i32_e32 v1, 31, v0
	v_lshlrev_b64 v[4:5], 7, v[0:1]
	v_cmp_lt_i32_e64 s[0:1], v0, v24
	v_add_co_u32_e32 v4, vcc, s14, v4
	v_addc_co_u32_e32 v5, vcc, v6, v5, vcc
	s_cbranch_scc1 .LBB6_25
; %bb.14:
	v_mov_b32_e32 v13, 0
	v_mov_b32_e32 v15, 0
	;; [unrolled: 1-line block ×8, first 2 shown]
	s_and_saveexec_b64 s[8:9], s[0:1]
	s_cbranch_execz .LBB6_24
; %bb.15:
	v_add_u32_e32 v1, v25, v23
	v_subrev_u32_e32 v1, s16, v1
	v_add_u32_e32 v1, 8, v1
	v_max_i32_e32 v1, v1, v24
	v_not_b32_e32 v6, v25
	v_add3_u32 v1, s16, v1, v6
	v_sub_u32_e32 v1, v1, v23
	v_and_b32_e32 v6, 24, v1
	v_cmp_ne_u32_e32 vcc, 24, v6
	v_mov_b32_e32 v21, 0
	v_mov_b32_e32 v19, 0
	;; [unrolled: 1-line block ×11, first 2 shown]
	s_and_saveexec_b64 s[10:11], vcc
	s_cbranch_execz .LBB6_19
; %bb.16:
	v_lshrrev_b32_e32 v6, 3, v1
	v_add_u32_e32 v6, 1, v6
	v_and_b32_e32 v6, 3, v6
	v_sub_u32_e32 v17, 0, v6
	v_mov_b32_e32 v13, 0
	v_mov_b32_e32 v7, v5
	v_mov_b32_e32 v15, 0
	v_mov_b32_e32 v19, 0
	v_mov_b32_e32 v21, 0
	v_mov_b32_e32 v14, 0
	s_mov_b64 s[14:15], 0
	v_mov_b32_e32 v18, s13
	v_mov_b32_e32 v26, s7
	;; [unrolled: 1-line block ×7, first 2 shown]
.LBB6_17:                               ; =>This Inner Loop Header: Depth=1
	v_ashrrev_i32_e32 v12, 31, v11
	v_lshlrev_b64 v[47:48], 2, v[11:12]
	global_load_dwordx4 v[27:30], v[6:7], off offset:32
	global_load_dwordx4 v[31:34], v[6:7], off offset:64
	;; [unrolled: 1-line block ×3, first 2 shown]
	global_load_dwordx4 v[39:42], v[6:7], off
	global_load_dwordx4 v[43:46], v[6:7], off offset:16
	v_add_co_u32_e32 v47, vcc, s12, v47
	v_addc_co_u32_e32 v48, vcc, v18, v48, vcc
	global_load_dword v12, v[47:48], off
	v_add_co_u32_e64 v17, s[2:3], 1, v17
	s_or_b64 s[14:15], s[2:3], s[14:15]
	v_add_u32_e32 v11, 8, v11
	s_waitcnt vmcnt(0)
	v_subrev_u32_e32 v12, s16, v12
	v_lshlrev_b32_e32 v47, 2, v12
	v_ashrrev_i32_e32 v48, 31, v47
	v_lshlrev_b64 v[47:48], 3, v[47:48]
	v_add_co_u32_e32 v55, vcc, s6, v47
	v_addc_co_u32_e32 v56, vcc, v26, v48, vcc
	global_load_dwordx4 v[47:50], v[55:56], off
	global_load_dwordx4 v[51:54], v[55:56], off offset:16
	s_waitcnt vmcnt(1)
	v_fma_f64 v[21:22], v[39:40], v[47:48], v[21:22]
	v_fma_f64 v[19:20], v[27:28], v[47:48], v[19:20]
	;; [unrolled: 1-line block ×5, first 2 shown]
	global_load_dwordx4 v[39:42], v[6:7], off offset:48
	v_fma_f64 v[19:20], v[29:30], v[49:50], v[19:20]
	global_load_dwordx4 v[27:30], v[6:7], off offset:80
	v_fma_f64 v[15:16], v[33:34], v[49:50], v[15:16]
	;; [unrolled: 2-line block ×3, first 2 shown]
	v_add_co_u32_e32 v6, vcc, 0x400, v6
	s_waitcnt vmcnt(3)
	v_fma_f64 v[21:22], v[43:44], v[51:52], v[21:22]
	v_addc_co_u32_e32 v7, vcc, 0, v7, vcc
	v_fma_f64 v[21:22], v[45:46], v[53:54], v[21:22]
	s_waitcnt vmcnt(2)
	v_fma_f64 v[19:20], v[39:40], v[51:52], v[19:20]
	s_waitcnt vmcnt(1)
	;; [unrolled: 2-line block ×3, first 2 shown]
	v_fma_f64 v[12:13], v[31:32], v[51:52], v[12:13]
	v_fma_f64 v[19:20], v[41:42], v[53:54], v[19:20]
	;; [unrolled: 1-line block ×4, first 2 shown]
	s_andn2_b64 exec, exec, s[14:15]
	s_cbranch_execnz .LBB6_17
; %bb.18:
	s_or_b64 exec, exec, s[14:15]
.LBB6_19:
	s_or_b64 exec, exec, s[10:11]
	v_cmp_lt_u32_e32 vcc, 23, v1
	s_and_saveexec_b64 s[10:11], vcc
	s_cbranch_execz .LBB6_23
; %bb.20:
	s_mov_b64 s[14:15], 0
	v_mov_b32_e32 v1, s13
	v_mov_b32_e32 v26, s7
.LBB6_21:                               ; =>This Inner Loop Header: Depth=1
	v_ashrrev_i32_e32 v12, 31, v11
	v_lshlrev_b64 v[17:18], 2, v[11:12]
	global_load_dwordx4 v[27:30], v[6:7], off offset:32
	global_load_dwordx4 v[31:34], v[6:7], off
	global_load_dwordx4 v[35:38], v[6:7], off offset:64
	v_add_co_u32_e32 v17, vcc, s12, v17
	v_addc_co_u32_e32 v18, vcc, v1, v18, vcc
	global_load_dword v12, v[17:18], off
	v_add_u32_e32 v11, 32, v11
	v_cmp_ge_i32_e64 s[2:3], v11, v24
	s_or_b64 s[14:15], s[2:3], s[14:15]
	s_waitcnt vmcnt(0)
	v_subrev_u32_e32 v12, s16, v12
	v_lshlrev_b32_e32 v39, 2, v12
	v_ashrrev_i32_e32 v40, 31, v39
	v_lshlrev_b64 v[39:40], 3, v[39:40]
	v_add_co_u32_e32 v43, vcc, s6, v39
	v_addc_co_u32_e32 v44, vcc, v26, v40, vcc
	global_load_dwordx4 v[39:42], v[43:44], off
	s_waitcnt vmcnt(0)
	v_fma_f64 v[21:22], v[31:32], v[39:40], v[21:22]
	v_fma_f64 v[19:20], v[27:28], v[39:40], v[19:20]
	;; [unrolled: 1-line block ×4, first 2 shown]
	global_load_dwordx4 v[31:34], v[6:7], off offset:96
	v_fma_f64 v[47:48], v[29:30], v[41:42], v[19:20]
	global_load_dwordx4 v[19:22], v[6:7], off offset:48
	global_load_dwordx4 v[27:30], v[6:7], off offset:16
	v_fma_f64 v[49:50], v[37:38], v[41:42], v[15:16]
	s_waitcnt vmcnt(2)
	v_fma_f64 v[12:13], v[31:32], v[39:40], v[13:14]
	v_fma_f64 v[39:40], v[33:34], v[41:42], v[12:13]
	global_load_dwordx4 v[12:15], v[6:7], off offset:112
	global_load_dwordx4 v[31:34], v[6:7], off offset:80
	;; [unrolled: 1-line block ×3, first 2 shown]
	s_waitcnt vmcnt(0)
	v_fma_f64 v[12:13], v[12:13], v[35:36], v[39:40]
	v_fma_f64 v[27:28], v[27:28], v[35:36], v[45:46]
	;; [unrolled: 1-line block ×5, first 2 shown]
	global_load_dword v12, v[17:18], off offset:32
	v_fma_f64 v[41:42], v[29:30], v[37:38], v[27:28]
	global_load_dwordx4 v[27:30], v[6:7], off offset:1056
	v_fma_f64 v[45:46], v[33:34], v[37:38], v[31:32]
	global_load_dwordx4 v[31:34], v[6:7], off offset:1088
	;; [unrolled: 2-line block ×3, first 2 shown]
	s_waitcnt vmcnt(3)
	v_subrev_u32_e32 v12, s16, v12
	v_lshlrev_b32_e32 v12, 2, v12
	v_ashrrev_i32_e32 v13, 31, v12
	v_lshlrev_b64 v[12:13], 3, v[12:13]
	v_add_co_u32_e32 v39, vcc, s6, v12
	v_addc_co_u32_e32 v40, vcc, v26, v13, vcc
	global_load_dwordx4 v[12:15], v[39:40], off
	s_waitcnt vmcnt(0)
	v_fma_f64 v[31:32], v[31:32], v[12:13], v[45:46]
	v_fma_f64 v[27:28], v[27:28], v[12:13], v[43:44]
	v_fma_f64 v[45:46], v[33:34], v[14:15], v[31:32]
	global_load_dwordx4 v[31:34], v[6:7], off offset:1040
	v_fma_f64 v[19:20], v[19:20], v[12:13], v[41:42]
	v_fma_f64 v[43:44], v[29:30], v[14:15], v[27:28]
	global_load_dwordx4 v[27:30], v[6:7], off offset:1072
	v_fma_f64 v[41:42], v[21:22], v[14:15], v[19:20]
	global_load_dwordx4 v[19:22], v[6:7], off offset:1120
	s_waitcnt vmcnt(0)
	v_fma_f64 v[12:13], v[19:20], v[12:13], v[35:36]
	v_fma_f64 v[47:48], v[21:22], v[14:15], v[12:13]
	global_load_dwordx4 v[12:15], v[6:7], off offset:1136
	global_load_dwordx4 v[19:22], v[6:7], off offset:1104
	global_load_dwordx4 v[35:38], v[39:40], off offset:16
	s_waitcnt vmcnt(0)
	v_fma_f64 v[12:13], v[12:13], v[35:36], v[47:48]
	v_fma_f64 v[31:32], v[31:32], v[35:36], v[41:42]
	;; [unrolled: 1-line block ×5, first 2 shown]
	global_load_dword v12, v[17:18], off offset:64
	v_fma_f64 v[39:40], v[33:34], v[37:38], v[31:32]
	global_load_dwordx4 v[31:34], v[6:7], off offset:2080
	v_fma_f64 v[43:44], v[21:22], v[37:38], v[19:20]
	global_load_dwordx4 v[19:22], v[6:7], off offset:2112
	;; [unrolled: 2-line block ×3, first 2 shown]
	s_waitcnt vmcnt(3)
	v_subrev_u32_e32 v12, s16, v12
	v_lshlrev_b32_e32 v12, 2, v12
	v_ashrrev_i32_e32 v13, 31, v12
	v_lshlrev_b64 v[12:13], 3, v[12:13]
	v_add_co_u32_e32 v45, vcc, s6, v12
	v_addc_co_u32_e32 v46, vcc, v26, v13, vcc
	global_load_dwordx4 v[12:15], v[45:46], off
	s_waitcnt vmcnt(0)
	v_fma_f64 v[19:20], v[19:20], v[12:13], v[43:44]
	v_fma_f64 v[31:32], v[31:32], v[12:13], v[41:42]
	;; [unrolled: 1-line block ×3, first 2 shown]
	global_load_dwordx4 v[19:22], v[6:7], off offset:2064
	v_fma_f64 v[27:28], v[27:28], v[12:13], v[39:40]
	v_fma_f64 v[41:42], v[33:34], v[14:15], v[31:32]
	global_load_dwordx4 v[31:34], v[6:7], off offset:2096
	v_fma_f64 v[39:40], v[29:30], v[14:15], v[27:28]
	global_load_dwordx4 v[27:30], v[6:7], off offset:2144
	s_waitcnt vmcnt(0)
	v_fma_f64 v[12:13], v[27:28], v[12:13], v[35:36]
	v_fma_f64 v[47:48], v[29:30], v[14:15], v[12:13]
	global_load_dwordx4 v[12:15], v[6:7], off offset:2160
	global_load_dwordx4 v[27:30], v[6:7], off offset:2128
	;; [unrolled: 1-line block ×3, first 2 shown]
	s_waitcnt vmcnt(0)
	v_fma_f64 v[19:20], v[19:20], v[35:36], v[39:40]
	v_fma_f64 v[31:32], v[31:32], v[35:36], v[41:42]
	;; [unrolled: 1-line block ×5, first 2 shown]
	global_load_dwordx4 v[19:22], v[6:7], off offset:3104
	v_fma_f64 v[41:42], v[33:34], v[37:38], v[31:32]
	global_load_dwordx4 v[31:34], v[6:7], off offset:3072
	v_fma_f64 v[43:44], v[29:30], v[37:38], v[27:28]
	;; [unrolled: 2-line block ×3, first 2 shown]
	global_load_dwordx4 v[12:15], v[6:7], off offset:3136
	global_load_dword v16, v[17:18], off offset:96
	s_waitcnt vmcnt(0)
	v_subrev_u32_e32 v16, s16, v16
	v_lshlrev_b32_e32 v16, 2, v16
	v_ashrrev_i32_e32 v17, 31, v16
	v_lshlrev_b64 v[16:17], 3, v[16:17]
	v_add_co_u32_e32 v47, vcc, s6, v16
	v_addc_co_u32_e32 v48, vcc, v26, v17, vcc
	global_load_dwordx4 v[35:38], v[47:48], off
	s_waitcnt vmcnt(0)
	v_fma_f64 v[16:17], v[31:32], v[35:36], v[39:40]
	v_fma_f64 v[12:13], v[12:13], v[35:36], v[43:44]
	;; [unrolled: 1-line block ×6, first 2 shown]
	global_load_dwordx4 v[31:34], v[6:7], off offset:3120
	global_load_dwordx4 v[39:42], v[6:7], off offset:3184
	v_fma_f64 v[20:21], v[21:22], v[37:38], v[16:17]
	global_load_dwordx4 v[16:19], v[6:7], off offset:3088
	v_fma_f64 v[35:36], v[29:30], v[37:38], v[12:13]
	global_load_dwordx4 v[12:15], v[6:7], off offset:3152
	global_load_dwordx4 v[27:30], v[47:48], off offset:16
	v_add_co_u32_e32 v6, vcc, 0x1000, v6
	v_addc_co_u32_e32 v7, vcc, 0, v7, vcc
	s_waitcnt vmcnt(0)
	v_fma_f64 v[16:17], v[16:17], v[27:28], v[49:50]
	v_fma_f64 v[31:32], v[31:32], v[27:28], v[20:21]
	;; [unrolled: 1-line block ×8, first 2 shown]
	s_andn2_b64 exec, exec, s[14:15]
	s_cbranch_execnz .LBB6_21
; %bb.22:
	s_or_b64 exec, exec, s[14:15]
.LBB6_23:
	s_or_b64 exec, exec, s[10:11]
.LBB6_24:
	s_or_b64 exec, exec, s[8:9]
	s_cbranch_execz .LBB6_26
	s_branch .LBB6_37
.LBB6_25:
                                        ; implicit-def: $vgpr13_vgpr14
                                        ; implicit-def: $vgpr15_vgpr16
                                        ; implicit-def: $vgpr19_vgpr20
                                        ; implicit-def: $vgpr21_vgpr22
.LBB6_26:
	v_mov_b32_e32 v13, 0
	v_mov_b32_e32 v15, 0
	;; [unrolled: 1-line block ×8, first 2 shown]
	s_and_saveexec_b64 s[2:3], s[0:1]
	s_cbranch_execz .LBB6_36
; %bb.27:
	v_add_u32_e32 v1, v25, v23
	v_subrev_u32_e32 v1, s16, v1
	v_add_u32_e32 v1, 8, v1
	v_max_i32_e32 v1, v1, v24
	v_not_b32_e32 v6, v25
	v_add3_u32 v1, s16, v1, v6
	v_sub_u32_e32 v6, v1, v23
	v_and_b32_e32 v1, 24, v6
	v_mov_b32_e32 v21, 0
	v_mov_b32_e32 v19, 0
	v_mov_b32_e32 v15, 0
	v_mov_b32_e32 v13, 0
	v_mov_b32_e32 v22, 0
	v_mov_b32_e32 v20, 0
	v_mov_b32_e32 v16, 0
	v_mov_b32_e32 v14, 0
	v_cmp_ne_u32_e32 vcc, 24, v1
	s_and_saveexec_b64 s[8:9], vcc
	s_cbranch_execz .LBB6_31
; %bb.28:
	v_lshrrev_b32_e32 v1, 3, v6
	v_add_u32_e32 v1, 1, v1
	v_and_b32_e32 v1, 3, v1
	v_mov_b32_e32 v13, 0
	v_mov_b32_e32 v15, 0
	;; [unrolled: 1-line block ×4, first 2 shown]
	v_sub_u32_e32 v7, 0, v1
	v_mov_b32_e32 v14, 0
	s_mov_b64 s[10:11], 0
	v_mov_b32_e32 v11, s13
	v_mov_b32_e32 v16, 0
	;; [unrolled: 1-line block ×5, first 2 shown]
.LBB6_29:                               ; =>This Inner Loop Header: Depth=1
	v_ashrrev_i32_e32 v1, 31, v0
	v_lshlrev_b64 v[17:18], 2, v[0:1]
	v_add_co_u32_e64 v7, s[0:1], 1, v7
	v_add_co_u32_e32 v17, vcc, s12, v17
	v_addc_co_u32_e32 v18, vcc, v11, v18, vcc
	global_load_dword v1, v[17:18], off
	global_load_dwordx4 v[25:28], v[4:5], off offset:16
	global_load_dwordx4 v[29:32], v[4:5], off
	s_or_b64 s[10:11], s[0:1], s[10:11]
	v_add_u32_e32 v0, 8, v0
	s_waitcnt vmcnt(2)
	v_subrev_u32_e32 v1, s16, v1
	v_lshlrev_b32_e32 v17, 2, v1
	v_ashrrev_i32_e32 v18, 31, v17
	v_lshlrev_b64 v[17:18], 3, v[17:18]
	v_add_co_u32_e32 v17, vcc, s6, v17
	v_addc_co_u32_e32 v18, vcc, v12, v18, vcc
	global_load_dwordx4 v[33:36], v[17:18], off
	global_load_dwordx4 v[37:40], v[4:5], off offset:32
	global_load_dwordx4 v[41:44], v[4:5], off offset:48
	;; [unrolled: 1-line block ×7, first 2 shown]
	v_add_co_u32_e32 v4, vcc, 0x400, v4
	v_addc_co_u32_e32 v5, vcc, 0, v5, vcc
	s_waitcnt vmcnt(7)
	v_fma_f64 v[17:18], v[29:30], v[33:34], v[21:22]
	v_fma_f64 v[19:20], v[31:32], v[33:34], v[19:20]
	;; [unrolled: 1-line block ×4, first 2 shown]
	s_waitcnt vmcnt(6)
	v_fma_f64 v[17:18], v[37:38], v[35:36], v[17:18]
	v_fma_f64 v[19:20], v[39:40], v[35:36], v[19:20]
	s_waitcnt vmcnt(5)
	v_fma_f64 v[15:16], v[41:42], v[35:36], v[15:16]
	v_fma_f64 v[13:14], v[43:44], v[35:36], v[13:14]
	;; [unrolled: 3-line block ×3, first 2 shown]
	v_fma_f64 v[15:16], v[49:50], v[53:54], v[15:16]
	v_fma_f64 v[13:14], v[51:52], v[53:54], v[13:14]
	s_waitcnt vmcnt(1)
	v_fma_f64 v[21:22], v[57:58], v[55:56], v[17:18]
	v_fma_f64 v[19:20], v[59:60], v[55:56], v[19:20]
	s_waitcnt vmcnt(0)
	v_fma_f64 v[15:16], v[61:62], v[55:56], v[15:16]
	v_fma_f64 v[13:14], v[63:64], v[55:56], v[13:14]
	s_andn2_b64 exec, exec, s[10:11]
	s_cbranch_execnz .LBB6_29
; %bb.30:
	s_or_b64 exec, exec, s[10:11]
.LBB6_31:
	s_or_b64 exec, exec, s[8:9]
	v_cmp_lt_u32_e32 vcc, 23, v6
	s_and_saveexec_b64 s[8:9], vcc
	s_cbranch_execz .LBB6_35
; %bb.32:
	s_mov_b64 s[10:11], 0
	v_mov_b32_e32 v6, s13
	v_mov_b32_e32 v7, s7
.LBB6_33:                               ; =>This Inner Loop Header: Depth=1
	v_ashrrev_i32_e32 v1, 31, v0
	v_lshlrev_b64 v[11:12], 2, v[0:1]
	global_load_dwordx4 v[25:28], v[4:5], off offset:32
	global_load_dwordx4 v[29:32], v[4:5], off offset:16
	global_load_dwordx4 v[33:36], v[4:5], off
	v_add_co_u32_e32 v41, vcc, s12, v11
	v_addc_co_u32_e32 v42, vcc, v6, v12, vcc
	global_load_dword v1, v[41:42], off
	v_add_u32_e32 v0, 32, v0
	v_cmp_ge_i32_e64 s[0:1], v0, v24
	s_or_b64 s[10:11], s[0:1], s[10:11]
	s_waitcnt vmcnt(0)
	v_subrev_u32_e32 v1, s16, v1
	v_lshlrev_b32_e32 v11, 2, v1
	v_ashrrev_i32_e32 v12, 31, v11
	v_lshlrev_b64 v[11:12], 3, v[11:12]
	v_add_co_u32_e32 v43, vcc, s6, v11
	v_addc_co_u32_e32 v44, vcc, v7, v12, vcc
	global_load_dwordx4 v[37:40], v[43:44], off
	s_waitcnt vmcnt(0)
	v_fma_f64 v[21:22], v[33:34], v[37:38], v[21:22]
	v_fma_f64 v[33:34], v[35:36], v[37:38], v[19:20]
	global_load_dwordx4 v[17:20], v[4:5], off offset:48
	v_fma_f64 v[15:16], v[29:30], v[37:38], v[15:16]
	v_fma_f64 v[29:30], v[31:32], v[37:38], v[13:14]
	global_load_dwordx4 v[11:14], v[4:5], off offset:112
	;; [unrolled: 3-line block ×3, first 2 shown]
	s_waitcnt vmcnt(2)
	v_fma_f64 v[37:38], v[17:18], v[39:40], v[15:16]
	v_fma_f64 v[39:40], v[19:20], v[39:40], v[29:30]
	global_load_dwordx4 v[15:18], v[4:5], off offset:80
	global_load_dwordx4 v[19:22], v[4:5], off offset:64
	;; [unrolled: 1-line block ×3, first 2 shown]
	global_load_dword v1, v[41:42], off offset:32
	s_waitcnt vmcnt(1)
	v_fma_f64 v[37:38], v[15:16], v[29:30], v[37:38]
	v_fma_f64 v[35:36], v[19:20], v[29:30], v[35:36]
	;; [unrolled: 1-line block ×4, first 2 shown]
	s_waitcnt vmcnt(0)
	v_subrev_u32_e32 v1, s16, v1
	global_load_dwordx4 v[15:18], v[4:5], off offset:1040
	global_load_dwordx4 v[19:22], v[4:5], off offset:1056
	v_fma_f64 v[37:38], v[11:12], v[31:32], v[37:38]
	v_lshlrev_b32_e32 v11, 2, v1
	v_ashrrev_i32_e32 v12, 31, v11
	v_lshlrev_b64 v[11:12], 3, v[11:12]
	v_fma_f64 v[35:36], v[25:26], v[31:32], v[35:36]
	v_add_co_u32_e32 v39, vcc, s6, v11
	v_addc_co_u32_e32 v40, vcc, v7, v12, vcc
	v_fma_f64 v[33:34], v[27:28], v[31:32], v[33:34]
	global_load_dwordx4 v[25:28], v[4:5], off offset:1024
	v_fma_f64 v[29:30], v[13:14], v[31:32], v[29:30]
	global_load_dwordx4 v[11:14], v[39:40], off
	s_waitcnt vmcnt(0)
	v_fma_f64 v[31:32], v[25:26], v[11:12], v[35:36]
	v_fma_f64 v[33:34], v[27:28], v[11:12], v[33:34]
	global_load_dwordx4 v[25:28], v[4:5], off offset:1072
	v_fma_f64 v[35:36], v[15:16], v[11:12], v[37:38]
	v_fma_f64 v[11:12], v[17:18], v[11:12], v[29:30]
	global_load_dwordx4 v[15:18], v[4:5], off offset:1136
	;; [unrolled: 3-line block ×3, first 2 shown]
	s_waitcnt vmcnt(2)
	v_fma_f64 v[35:36], v[25:26], v[13:14], v[35:36]
	v_fma_f64 v[43:44], v[27:28], v[13:14], v[11:12]
	global_load_dwordx4 v[11:14], v[4:5], off offset:1104
	global_load_dwordx4 v[25:28], v[4:5], off offset:1088
	;; [unrolled: 1-line block ×3, first 2 shown]
	global_load_dword v1, v[41:42], off offset:64
	s_waitcnt vmcnt(1)
	v_fma_f64 v[35:36], v[11:12], v[29:30], v[35:36]
	v_fma_f64 v[37:38], v[25:26], v[29:30], v[37:38]
	;; [unrolled: 1-line block ×4, first 2 shown]
	s_waitcnt vmcnt(0)
	v_subrev_u32_e32 v1, s16, v1
	global_load_dwordx4 v[11:14], v[4:5], off offset:2064
	global_load_dwordx4 v[25:28], v[4:5], off offset:2080
	v_fma_f64 v[35:36], v[15:16], v[31:32], v[35:36]
	v_lshlrev_b32_e32 v15, 2, v1
	v_ashrrev_i32_e32 v16, 31, v15
	v_lshlrev_b64 v[15:16], 3, v[15:16]
	v_fma_f64 v[37:38], v[19:20], v[31:32], v[37:38]
	v_fma_f64 v[33:34], v[21:22], v[31:32], v[33:34]
	;; [unrolled: 1-line block ×3, first 2 shown]
	v_add_co_u32_e32 v31, vcc, s6, v15
	v_addc_co_u32_e32 v32, vcc, v7, v16, vcc
	global_load_dwordx4 v[19:22], v[4:5], off offset:2048
	global_load_dwordx4 v[15:18], v[31:32], off
	s_waitcnt vmcnt(0)
	v_fma_f64 v[37:38], v[19:20], v[15:16], v[37:38]
	v_fma_f64 v[33:34], v[21:22], v[15:16], v[33:34]
	global_load_dwordx4 v[19:22], v[4:5], off offset:2096
	v_fma_f64 v[35:36], v[11:12], v[15:16], v[35:36]
	v_fma_f64 v[15:16], v[13:14], v[15:16], v[29:30]
	global_load_dwordx4 v[11:14], v[4:5], off offset:2160
	;; [unrolled: 3-line block ×3, first 2 shown]
	s_waitcnt vmcnt(2)
	v_fma_f64 v[35:36], v[19:20], v[17:18], v[35:36]
	v_fma_f64 v[39:40], v[21:22], v[17:18], v[15:16]
	global_load_dwordx4 v[15:18], v[4:5], off offset:2128
	global_load_dwordx4 v[19:22], v[4:5], off offset:2112
	global_load_dword v1, v[41:42], off offset:96
	s_waitcnt vmcnt(0)
	v_subrev_u32_e32 v1, s16, v1
	v_lshlrev_b32_e32 v29, 2, v1
	v_ashrrev_i32_e32 v30, 31, v29
	v_lshlrev_b64 v[29:30], 3, v[29:30]
	v_add_co_u32_e32 v41, vcc, s6, v29
	v_addc_co_u32_e32 v42, vcc, v7, v30, vcc
	global_load_dwordx4 v[29:32], v[31:32], off offset:16
	s_waitcnt vmcnt(0)
	v_fma_f64 v[37:38], v[19:20], v[29:30], v[37:38]
	v_fma_f64 v[33:34], v[21:22], v[29:30], v[33:34]
	;; [unrolled: 1-line block ×4, first 2 shown]
	global_load_dwordx4 v[19:22], v[4:5], off offset:3088
	global_load_dwordx4 v[15:18], v[4:5], off offset:3072
	v_fma_f64 v[37:38], v[25:26], v[31:32], v[37:38]
	v_fma_f64 v[33:34], v[27:28], v[31:32], v[33:34]
	global_load_dwordx4 v[25:28], v[4:5], off offset:3104
	v_fma_f64 v[35:36], v[11:12], v[31:32], v[35:36]
	v_fma_f64 v[39:40], v[13:14], v[31:32], v[29:30]
	global_load_dwordx4 v[11:14], v[41:42], off
	global_load_dwordx4 v[29:32], v[4:5], off offset:3120
	s_waitcnt vmcnt(1)
	v_fma_f64 v[37:38], v[15:16], v[11:12], v[37:38]
	v_fma_f64 v[33:34], v[17:18], v[11:12], v[33:34]
	global_load_dwordx4 v[15:18], v[4:5], off offset:3136
	v_fma_f64 v[35:36], v[19:20], v[11:12], v[35:36]
	v_fma_f64 v[11:12], v[21:22], v[11:12], v[39:40]
	global_load_dwordx4 v[19:22], v[4:5], off offset:3152
	;; [unrolled: 3-line block ×3, first 2 shown]
	s_waitcnt vmcnt(3)
	v_fma_f64 v[35:36], v[29:30], v[13:14], v[35:36]
	v_fma_f64 v[39:40], v[31:32], v[13:14], v[11:12]
	global_load_dwordx4 v[11:14], v[4:5], off offset:3168
	global_load_dwordx4 v[29:32], v[4:5], off offset:3184
	v_add_co_u32_e32 v4, vcc, 0x1000, v4
	v_addc_co_u32_e32 v5, vcc, 0, v5, vcc
	s_waitcnt vmcnt(2)
	v_fma_f64 v[15:16], v[15:16], v[25:26], v[37:38]
	v_fma_f64 v[17:18], v[17:18], v[25:26], v[33:34]
	;; [unrolled: 1-line block ×4, first 2 shown]
	s_waitcnt vmcnt(1)
	v_fma_f64 v[21:22], v[11:12], v[27:28], v[15:16]
	v_fma_f64 v[19:20], v[13:14], v[27:28], v[17:18]
	s_waitcnt vmcnt(0)
	v_fma_f64 v[15:16], v[29:30], v[27:28], v[33:34]
	v_fma_f64 v[13:14], v[31:32], v[27:28], v[25:26]
	s_andn2_b64 exec, exec, s[10:11]
	s_cbranch_execnz .LBB6_33
; %bb.34:
	s_or_b64 exec, exec, s[10:11]
.LBB6_35:
	s_or_b64 exec, exec, s[8:9]
.LBB6_36:
	s_or_b64 exec, exec, s[2:3]
.LBB6_37:
	v_mov_b32_dpp v0, v21 row_shr:1 row_mask:0xf bank_mask:0xf
	v_mov_b32_dpp v1, v22 row_shr:1 row_mask:0xf bank_mask:0xf
	v_add_f64 v[0:1], v[21:22], v[0:1]
	v_mov_b32_dpp v4, v19 row_shr:1 row_mask:0xf bank_mask:0xf
	v_mov_b32_dpp v5, v20 row_shr:1 row_mask:0xf bank_mask:0xf
	;; [unrolled: 1-line block ×4, first 2 shown]
	v_add_f64 v[4:5], v[19:20], v[4:5]
	v_add_f64 v[6:7], v[15:16], v[6:7]
	v_mov_b32_dpp v15, v13 row_shr:1 row_mask:0xf bank_mask:0xf
	v_mov_b32_dpp v16, v14 row_shr:1 row_mask:0xf bank_mask:0xf
	v_add_f64 v[13:14], v[13:14], v[15:16]
	v_mov_b32_dpp v11, v0 row_shr:2 row_mask:0xf bank_mask:0xf
	v_mov_b32_dpp v12, v1 row_shr:2 row_mask:0xf bank_mask:0xf
	;; [unrolled: 3-line block ×6, first 2 shown]
	v_mov_b32_dpp v17, v4 row_shr:4 row_mask:0xf bank_mask:0xe
	v_mov_b32_dpp v18, v5 row_shr:4 row_mask:0xf bank_mask:0xe
	;; [unrolled: 1-line block ×4, first 2 shown]
	v_cmp_eq_u32_e32 vcc, 7, v23
	v_mov_b32_dpp v13, v11 row_shr:4 row_mask:0xf bank_mask:0xe
	v_mov_b32_dpp v14, v12 row_shr:4 row_mask:0xf bank_mask:0xe
	s_and_b64 exec, exec, vcc
	s_cbranch_execz .LBB6_10
; %bb.38:
	v_add_f64 v[0:1], v[0:1], v[19:20]
	v_add_f64 v[17:18], v[4:5], v[17:18]
	;; [unrolled: 1-line block ×4, first 2 shown]
	v_cmp_eq_f64_e32 vcc, 0, v[8:9]
	s_load_dwordx2 s[0:1], s[4:5], 0x50
	v_lshlrev_b32_e32 v10, 2, v10
	v_mul_f64 v[4:5], v[2:3], v[0:1]
	v_mul_f64 v[6:7], v[2:3], v[17:18]
	;; [unrolled: 1-line block ×4, first 2 shown]
	s_and_saveexec_b64 s[2:3], vcc
	s_xor_b64 s[2:3], exec, s[2:3]
	s_cbranch_execz .LBB6_40
; %bb.39:
	v_ashrrev_i32_e32 v11, 31, v10
	v_lshlrev_b64 v[8:9], 3, v[10:11]
	s_waitcnt lgkmcnt(0)
	v_mov_b32_e32 v10, s1
	v_add_co_u32_e32 v8, vcc, s0, v8
	v_addc_co_u32_e32 v9, vcc, v10, v9, vcc
	global_store_dwordx4 v[8:9], v[4:7], off
	global_store_dwordx4 v[8:9], v[0:3], off offset:16
                                        ; implicit-def: $vgpr10
                                        ; implicit-def: $vgpr8_vgpr9
                                        ; implicit-def: $vgpr4_vgpr5
                                        ; implicit-def: $vgpr0_vgpr1
.LBB6_40:
	s_andn2_saveexec_b64 s[2:3], s[2:3]
	s_cbranch_execz .LBB6_10
; %bb.41:
	v_ashrrev_i32_e32 v11, 31, v10
	v_lshlrev_b64 v[10:11], 3, v[10:11]
	s_waitcnt lgkmcnt(0)
	v_mov_b32_e32 v12, s1
	v_add_co_u32_e32 v18, vcc, s0, v10
	v_addc_co_u32_e32 v19, vcc, v12, v11, vcc
	global_load_dwordx4 v[10:13], v[18:19], off
	global_load_dwordx4 v[14:17], v[18:19], off offset:16
	s_waitcnt vmcnt(1)
	v_fma_f64 v[4:5], v[8:9], v[10:11], v[4:5]
	v_fma_f64 v[6:7], v[8:9], v[12:13], v[6:7]
	s_waitcnt vmcnt(0)
	v_fma_f64 v[0:1], v[8:9], v[14:15], v[0:1]
	v_fma_f64 v[2:3], v[8:9], v[16:17], v[2:3]
	global_store_dwordx4 v[18:19], v[4:7], off
	global_store_dwordx4 v[18:19], v[0:3], off offset:16
	s_endpgm
	.section	.rodata,"a",@progbits
	.p2align	6, 0x0
	.amdhsa_kernel _ZN9rocsparseL18bsrxmvn_4x4_kernelILj128ELj8EdiidddEEvT3_20rocsparse_direction_NS_24const_host_device_scalarIT1_EES1_PKS1_PKT2_SA_S7_PKT4_PKT5_S5_PT6_21rocsparse_index_base_b
		.amdhsa_group_segment_fixed_size 0
		.amdhsa_private_segment_fixed_size 0
		.amdhsa_kernarg_size 96
		.amdhsa_user_sgpr_count 6
		.amdhsa_user_sgpr_private_segment_buffer 1
		.amdhsa_user_sgpr_dispatch_ptr 0
		.amdhsa_user_sgpr_queue_ptr 0
		.amdhsa_user_sgpr_kernarg_segment_ptr 1
		.amdhsa_user_sgpr_dispatch_id 0
		.amdhsa_user_sgpr_flat_scratch_init 0
		.amdhsa_user_sgpr_private_segment_size 0
		.amdhsa_uses_dynamic_stack 0
		.amdhsa_system_sgpr_private_segment_wavefront_offset 0
		.amdhsa_system_sgpr_workgroup_id_x 1
		.amdhsa_system_sgpr_workgroup_id_y 0
		.amdhsa_system_sgpr_workgroup_id_z 0
		.amdhsa_system_sgpr_workgroup_info 0
		.amdhsa_system_vgpr_workitem_id 0
		.amdhsa_next_free_vgpr 65
		.amdhsa_next_free_sgpr 18
		.amdhsa_reserve_vcc 1
		.amdhsa_reserve_flat_scratch 0
		.amdhsa_float_round_mode_32 0
		.amdhsa_float_round_mode_16_64 0
		.amdhsa_float_denorm_mode_32 3
		.amdhsa_float_denorm_mode_16_64 3
		.amdhsa_dx10_clamp 1
		.amdhsa_ieee_mode 1
		.amdhsa_fp16_overflow 0
		.amdhsa_exception_fp_ieee_invalid_op 0
		.amdhsa_exception_fp_denorm_src 0
		.amdhsa_exception_fp_ieee_div_zero 0
		.amdhsa_exception_fp_ieee_overflow 0
		.amdhsa_exception_fp_ieee_underflow 0
		.amdhsa_exception_fp_ieee_inexact 0
		.amdhsa_exception_int_div_zero 0
	.end_amdhsa_kernel
	.section	.text._ZN9rocsparseL18bsrxmvn_4x4_kernelILj128ELj8EdiidddEEvT3_20rocsparse_direction_NS_24const_host_device_scalarIT1_EES1_PKS1_PKT2_SA_S7_PKT4_PKT5_S5_PT6_21rocsparse_index_base_b,"axG",@progbits,_ZN9rocsparseL18bsrxmvn_4x4_kernelILj128ELj8EdiidddEEvT3_20rocsparse_direction_NS_24const_host_device_scalarIT1_EES1_PKS1_PKT2_SA_S7_PKT4_PKT5_S5_PT6_21rocsparse_index_base_b,comdat
.Lfunc_end6:
	.size	_ZN9rocsparseL18bsrxmvn_4x4_kernelILj128ELj8EdiidddEEvT3_20rocsparse_direction_NS_24const_host_device_scalarIT1_EES1_PKS1_PKT2_SA_S7_PKT4_PKT5_S5_PT6_21rocsparse_index_base_b, .Lfunc_end6-_ZN9rocsparseL18bsrxmvn_4x4_kernelILj128ELj8EdiidddEEvT3_20rocsparse_direction_NS_24const_host_device_scalarIT1_EES1_PKS1_PKT2_SA_S7_PKT4_PKT5_S5_PT6_21rocsparse_index_base_b
                                        ; -- End function
	.set _ZN9rocsparseL18bsrxmvn_4x4_kernelILj128ELj8EdiidddEEvT3_20rocsparse_direction_NS_24const_host_device_scalarIT1_EES1_PKS1_PKT2_SA_S7_PKT4_PKT5_S5_PT6_21rocsparse_index_base_b.num_vgpr, 65
	.set _ZN9rocsparseL18bsrxmvn_4x4_kernelILj128ELj8EdiidddEEvT3_20rocsparse_direction_NS_24const_host_device_scalarIT1_EES1_PKS1_PKT2_SA_S7_PKT4_PKT5_S5_PT6_21rocsparse_index_base_b.num_agpr, 0
	.set _ZN9rocsparseL18bsrxmvn_4x4_kernelILj128ELj8EdiidddEEvT3_20rocsparse_direction_NS_24const_host_device_scalarIT1_EES1_PKS1_PKT2_SA_S7_PKT4_PKT5_S5_PT6_21rocsparse_index_base_b.numbered_sgpr, 18
	.set _ZN9rocsparseL18bsrxmvn_4x4_kernelILj128ELj8EdiidddEEvT3_20rocsparse_direction_NS_24const_host_device_scalarIT1_EES1_PKS1_PKT2_SA_S7_PKT4_PKT5_S5_PT6_21rocsparse_index_base_b.num_named_barrier, 0
	.set _ZN9rocsparseL18bsrxmvn_4x4_kernelILj128ELj8EdiidddEEvT3_20rocsparse_direction_NS_24const_host_device_scalarIT1_EES1_PKS1_PKT2_SA_S7_PKT4_PKT5_S5_PT6_21rocsparse_index_base_b.private_seg_size, 0
	.set _ZN9rocsparseL18bsrxmvn_4x4_kernelILj128ELj8EdiidddEEvT3_20rocsparse_direction_NS_24const_host_device_scalarIT1_EES1_PKS1_PKT2_SA_S7_PKT4_PKT5_S5_PT6_21rocsparse_index_base_b.uses_vcc, 1
	.set _ZN9rocsparseL18bsrxmvn_4x4_kernelILj128ELj8EdiidddEEvT3_20rocsparse_direction_NS_24const_host_device_scalarIT1_EES1_PKS1_PKT2_SA_S7_PKT4_PKT5_S5_PT6_21rocsparse_index_base_b.uses_flat_scratch, 0
	.set _ZN9rocsparseL18bsrxmvn_4x4_kernelILj128ELj8EdiidddEEvT3_20rocsparse_direction_NS_24const_host_device_scalarIT1_EES1_PKS1_PKT2_SA_S7_PKT4_PKT5_S5_PT6_21rocsparse_index_base_b.has_dyn_sized_stack, 0
	.set _ZN9rocsparseL18bsrxmvn_4x4_kernelILj128ELj8EdiidddEEvT3_20rocsparse_direction_NS_24const_host_device_scalarIT1_EES1_PKS1_PKT2_SA_S7_PKT4_PKT5_S5_PT6_21rocsparse_index_base_b.has_recursion, 0
	.set _ZN9rocsparseL18bsrxmvn_4x4_kernelILj128ELj8EdiidddEEvT3_20rocsparse_direction_NS_24const_host_device_scalarIT1_EES1_PKS1_PKT2_SA_S7_PKT4_PKT5_S5_PT6_21rocsparse_index_base_b.has_indirect_call, 0
	.section	.AMDGPU.csdata,"",@progbits
; Kernel info:
; codeLenInByte = 4312
; TotalNumSgprs: 22
; NumVgprs: 65
; ScratchSize: 0
; MemoryBound: 1
; FloatMode: 240
; IeeeMode: 1
; LDSByteSize: 0 bytes/workgroup (compile time only)
; SGPRBlocks: 2
; VGPRBlocks: 16
; NumSGPRsForWavesPerEU: 22
; NumVGPRsForWavesPerEU: 65
; Occupancy: 3
; WaveLimiterHint : 1
; COMPUTE_PGM_RSRC2:SCRATCH_EN: 0
; COMPUTE_PGM_RSRC2:USER_SGPR: 6
; COMPUTE_PGM_RSRC2:TRAP_HANDLER: 0
; COMPUTE_PGM_RSRC2:TGID_X_EN: 1
; COMPUTE_PGM_RSRC2:TGID_Y_EN: 0
; COMPUTE_PGM_RSRC2:TGID_Z_EN: 0
; COMPUTE_PGM_RSRC2:TIDIG_COMP_CNT: 0
	.section	.text._ZN9rocsparseL18bsrxmvn_4x4_kernelILj128ELj16EdiidddEEvT3_20rocsparse_direction_NS_24const_host_device_scalarIT1_EES1_PKS1_PKT2_SA_S7_PKT4_PKT5_S5_PT6_21rocsparse_index_base_b,"axG",@progbits,_ZN9rocsparseL18bsrxmvn_4x4_kernelILj128ELj16EdiidddEEvT3_20rocsparse_direction_NS_24const_host_device_scalarIT1_EES1_PKS1_PKT2_SA_S7_PKT4_PKT5_S5_PT6_21rocsparse_index_base_b,comdat
	.globl	_ZN9rocsparseL18bsrxmvn_4x4_kernelILj128ELj16EdiidddEEvT3_20rocsparse_direction_NS_24const_host_device_scalarIT1_EES1_PKS1_PKT2_SA_S7_PKT4_PKT5_S5_PT6_21rocsparse_index_base_b ; -- Begin function _ZN9rocsparseL18bsrxmvn_4x4_kernelILj128ELj16EdiidddEEvT3_20rocsparse_direction_NS_24const_host_device_scalarIT1_EES1_PKS1_PKT2_SA_S7_PKT4_PKT5_S5_PT6_21rocsparse_index_base_b
	.p2align	8
	.type	_ZN9rocsparseL18bsrxmvn_4x4_kernelILj128ELj16EdiidddEEvT3_20rocsparse_direction_NS_24const_host_device_scalarIT1_EES1_PKS1_PKT2_SA_S7_PKT4_PKT5_S5_PT6_21rocsparse_index_base_b,@function
_ZN9rocsparseL18bsrxmvn_4x4_kernelILj128ELj16EdiidddEEvT3_20rocsparse_direction_NS_24const_host_device_scalarIT1_EES1_PKS1_PKT2_SA_S7_PKT4_PKT5_S5_PT6_21rocsparse_index_base_b: ; @_ZN9rocsparseL18bsrxmvn_4x4_kernelILj128ELj16EdiidddEEvT3_20rocsparse_direction_NS_24const_host_device_scalarIT1_EES1_PKS1_PKT2_SA_S7_PKT4_PKT5_S5_PT6_21rocsparse_index_base_b
; %bb.0:
	s_load_dwordx2 s[16:17], s[4:5], 0x58
	s_load_dwordx2 s[8:9], s[4:5], 0x8
	;; [unrolled: 1-line block ×3, first 2 shown]
	s_waitcnt lgkmcnt(0)
	s_bitcmp1_b32 s17, 0
	s_cselect_b64 s[10:11], -1, 0
	v_mov_b32_e32 v2, s8
	s_xor_b64 s[2:3], s[10:11], -1
	s_and_b64 vcc, exec, s[10:11]
	v_mov_b32_e32 v3, s9
	s_cbranch_vccnz .LBB7_2
; %bb.1:
	v_mov_b32_e32 v1, s8
	v_mov_b32_e32 v2, s9
	flat_load_dwordx2 v[2:3], v[1:2]
.LBB7_2:
	v_mov_b32_e32 v9, s1
	s_andn2_b64 vcc, exec, s[2:3]
	v_mov_b32_e32 v8, s0
	s_cbranch_vccnz .LBB7_4
; %bb.3:
	v_mov_b32_e32 v5, s1
	v_mov_b32_e32 v4, s0
	flat_load_dwordx2 v[8:9], v[4:5]
.LBB7_4:
	s_waitcnt vmcnt(0) lgkmcnt(0)
	v_cmp_neq_f64_e32 vcc, 0, v[2:3]
	v_cmp_neq_f64_e64 s[0:1], 1.0, v[8:9]
	s_mov_b64 s[2:3], 0
	s_or_b64 s[0:1], vcc, s[0:1]
	s_and_saveexec_b64 s[8:9], s[0:1]
	s_cbranch_execz .LBB7_10
; %bb.5:
	s_load_dwordx2 s[8:9], s[4:5], 0x18
	s_load_dwordx2 s[0:1], s[4:5], 0x0
	v_lshrrev_b32_e32 v1, 4, v0
	v_lshl_or_b32 v10, s6, 3, v1
	s_mov_b64 s[6:7], 0
	s_waitcnt lgkmcnt(0)
	s_cmp_lg_u64 s[8:9], 0
	s_cbranch_scc0 .LBB7_11
; %bb.6:
	s_load_dword s2, s[4:5], 0x10
                                        ; implicit-def: $vgpr1
	s_waitcnt lgkmcnt(0)
	v_cmp_gt_i32_e32 vcc, s2, v10
	s_and_saveexec_b64 s[2:3], vcc
	s_xor_b64 s[2:3], exec, s[2:3]
	s_cbranch_execz .LBB7_8
; %bb.7:
	v_ashrrev_i32_e32 v11, 31, v10
	v_lshlrev_b64 v[4:5], 2, v[10:11]
	v_mov_b32_e32 v1, s9
	v_add_co_u32_e32 v4, vcc, s8, v4
	v_addc_co_u32_e32 v5, vcc, v1, v5, vcc
	global_load_dword v1, v[4:5], off
	s_mov_b64 s[6:7], exec
	s_waitcnt vmcnt(0)
	v_subrev_u32_e32 v1, s16, v1
.LBB7_8:
	s_or_b64 exec, exec, s[2:3]
	s_mov_b64 s[2:3], s[6:7]
	s_branch .LBB7_12
.LBB7_9:
	v_cmp_gt_i32_e32 vcc, s0, v10
	s_andn2_b64 s[2:3], s[2:3], exec
	s_and_b64 s[6:7], vcc, exec
	s_or_b64 s[2:3], s[2:3], s[6:7]
	s_and_b64 exec, exec, s[2:3]
	s_cbranch_execnz .LBB7_13
.LBB7_10:
	s_endpgm
.LBB7_11:
                                        ; implicit-def: $vgpr1
	s_cbranch_execnz .LBB7_9
.LBB7_12:
	v_mov_b32_e32 v10, v1
	s_and_b64 exec, exec, s[2:3]
	s_cbranch_execz .LBB7_10
.LBB7_13:
	s_load_dwordx8 s[8:15], s[4:5], 0x20
	v_ashrrev_i32_e32 v11, 31, v10
	v_lshlrev_b64 v[4:5], 2, v[10:11]
	v_and_b32_e32 v23, 15, v0
	s_load_dwordx2 s[6:7], s[4:5], 0x40
	s_waitcnt lgkmcnt(0)
	v_mov_b32_e32 v1, s9
	v_add_co_u32_e32 v6, vcc, s8, v4
	v_addc_co_u32_e32 v7, vcc, v1, v5, vcc
	v_add_co_u32_e32 v1, vcc, 4, v6
	global_load_dword v25, v[6:7], off
	v_addc_co_u32_e32 v6, vcc, 0, v7, vcc
	v_mov_b32_e32 v7, s11
	v_add_co_u32_e32 v4, vcc, s10, v4
	s_cmp_eq_u64 s[10:11], 0
	v_addc_co_u32_e32 v5, vcc, v7, v5, vcc
	s_cselect_b64 vcc, -1, 0
	v_cndmask_b32_e32 v5, v5, v6, vcc
	v_cndmask_b32_e32 v4, v4, v1, vcc
	global_load_dword v1, v[4:5], off
	v_mov_b32_e32 v6, s15
	s_cmp_eq_u32 s1, 1
	s_waitcnt vmcnt(1)
	v_subrev_u32_e32 v0, s16, v25
	v_add_u32_e32 v0, v0, v23
	s_waitcnt vmcnt(0)
	v_subrev_u32_e32 v24, s16, v1
	v_ashrrev_i32_e32 v1, 31, v0
	v_lshlrev_b64 v[4:5], 7, v[0:1]
	v_cmp_lt_i32_e64 s[0:1], v0, v24
	v_add_co_u32_e32 v4, vcc, s14, v4
	v_addc_co_u32_e32 v5, vcc, v6, v5, vcc
	s_cbranch_scc1 .LBB7_25
; %bb.14:
	v_mov_b32_e32 v13, 0
	v_mov_b32_e32 v15, 0
	;; [unrolled: 1-line block ×8, first 2 shown]
	s_and_saveexec_b64 s[8:9], s[0:1]
	s_cbranch_execz .LBB7_24
; %bb.15:
	v_add_u32_e32 v1, v25, v23
	v_subrev_u32_e32 v1, s16, v1
	v_add_u32_e32 v1, 16, v1
	v_max_i32_e32 v1, v1, v24
	v_not_b32_e32 v6, v25
	v_add3_u32 v1, s16, v1, v6
	v_sub_u32_e32 v1, v1, v23
	v_and_b32_e32 v6, 48, v1
	v_cmp_ne_u32_e32 vcc, 48, v6
	v_mov_b32_e32 v21, 0
	v_mov_b32_e32 v17, 0
	;; [unrolled: 1-line block ×11, first 2 shown]
	s_and_saveexec_b64 s[10:11], vcc
	s_cbranch_execz .LBB7_19
; %bb.16:
	v_lshrrev_b32_e32 v6, 4, v1
	v_add_u32_e32 v6, 1, v6
	v_and_b32_e32 v6, 3, v6
	v_sub_u32_e32 v19, 0, v6
	v_mov_b32_e32 v13, 0
	v_mov_b32_e32 v7, v5
	;; [unrolled: 1-line block ×6, first 2 shown]
	s_mov_b64 s[14:15], 0
	v_mov_b32_e32 v20, s13
	v_mov_b32_e32 v26, s7
	;; [unrolled: 1-line block ×7, first 2 shown]
.LBB7_17:                               ; =>This Inner Loop Header: Depth=1
	v_ashrrev_i32_e32 v12, 31, v11
	v_lshlrev_b64 v[47:48], 2, v[11:12]
	global_load_dwordx4 v[27:30], v[6:7], off offset:32
	global_load_dwordx4 v[31:34], v[6:7], off offset:64
	global_load_dwordx4 v[35:38], v[6:7], off offset:96
	global_load_dwordx4 v[39:42], v[6:7], off
	global_load_dwordx4 v[43:46], v[6:7], off offset:16
	v_add_co_u32_e32 v47, vcc, s12, v47
	v_addc_co_u32_e32 v48, vcc, v20, v48, vcc
	global_load_dword v12, v[47:48], off
	v_add_co_u32_e64 v19, s[2:3], 1, v19
	s_or_b64 s[14:15], s[2:3], s[14:15]
	v_add_u32_e32 v11, 16, v11
	s_waitcnt vmcnt(0)
	v_subrev_u32_e32 v12, s16, v12
	v_lshlrev_b32_e32 v47, 2, v12
	v_ashrrev_i32_e32 v48, 31, v47
	v_lshlrev_b64 v[47:48], 3, v[47:48]
	v_add_co_u32_e32 v55, vcc, s6, v47
	v_addc_co_u32_e32 v56, vcc, v26, v48, vcc
	global_load_dwordx4 v[47:50], v[55:56], off
	global_load_dwordx4 v[51:54], v[55:56], off offset:16
	s_waitcnt vmcnt(1)
	v_fma_f64 v[21:22], v[39:40], v[47:48], v[21:22]
	v_fma_f64 v[17:18], v[27:28], v[47:48], v[17:18]
	;; [unrolled: 1-line block ×5, first 2 shown]
	global_load_dwordx4 v[39:42], v[6:7], off offset:48
	v_fma_f64 v[17:18], v[29:30], v[49:50], v[17:18]
	global_load_dwordx4 v[27:30], v[6:7], off offset:80
	v_fma_f64 v[15:16], v[33:34], v[49:50], v[15:16]
	;; [unrolled: 2-line block ×3, first 2 shown]
	v_add_co_u32_e32 v6, vcc, 0x800, v6
	s_waitcnt vmcnt(3)
	v_fma_f64 v[21:22], v[43:44], v[51:52], v[21:22]
	v_addc_co_u32_e32 v7, vcc, 0, v7, vcc
	v_fma_f64 v[21:22], v[45:46], v[53:54], v[21:22]
	s_waitcnt vmcnt(2)
	v_fma_f64 v[17:18], v[39:40], v[51:52], v[17:18]
	s_waitcnt vmcnt(1)
	;; [unrolled: 2-line block ×3, first 2 shown]
	v_fma_f64 v[12:13], v[31:32], v[51:52], v[12:13]
	v_fma_f64 v[17:18], v[41:42], v[53:54], v[17:18]
	;; [unrolled: 1-line block ×4, first 2 shown]
	s_andn2_b64 exec, exec, s[14:15]
	s_cbranch_execnz .LBB7_17
; %bb.18:
	s_or_b64 exec, exec, s[14:15]
.LBB7_19:
	s_or_b64 exec, exec, s[10:11]
	v_cmp_lt_u32_e32 vcc, 47, v1
	s_and_saveexec_b64 s[10:11], vcc
	s_cbranch_execz .LBB7_23
; %bb.20:
	s_mov_b64 s[14:15], 0
	v_mov_b32_e32 v1, s13
	v_mov_b32_e32 v26, s7
	s_movk_i32 s17, 0x1000
.LBB7_21:                               ; =>This Inner Loop Header: Depth=1
	v_ashrrev_i32_e32 v12, 31, v11
	v_lshlrev_b64 v[19:20], 2, v[11:12]
	global_load_dwordx4 v[27:30], v[6:7], off offset:32
	global_load_dwordx4 v[31:34], v[6:7], off
	global_load_dwordx4 v[35:38], v[6:7], off offset:64
	v_add_co_u32_e32 v19, vcc, s12, v19
	v_addc_co_u32_e32 v20, vcc, v1, v20, vcc
	global_load_dword v12, v[19:20], off
	v_add_u32_e32 v11, 64, v11
	v_cmp_ge_i32_e64 s[2:3], v11, v24
	s_or_b64 s[14:15], s[2:3], s[14:15]
	s_waitcnt vmcnt(0)
	v_subrev_u32_e32 v12, s16, v12
	v_lshlrev_b32_e32 v39, 2, v12
	v_ashrrev_i32_e32 v40, 31, v39
	v_lshlrev_b64 v[39:40], 3, v[39:40]
	v_add_co_u32_e32 v43, vcc, s6, v39
	v_addc_co_u32_e32 v44, vcc, v26, v40, vcc
	global_load_dwordx4 v[39:42], v[43:44], off
	s_waitcnt vmcnt(0)
	v_fma_f64 v[21:22], v[31:32], v[39:40], v[21:22]
	v_fma_f64 v[17:18], v[27:28], v[39:40], v[17:18]
	;; [unrolled: 1-line block ×4, first 2 shown]
	global_load_dwordx4 v[31:34], v[6:7], off offset:96
	v_fma_f64 v[45:46], v[29:30], v[41:42], v[17:18]
	global_load_dwordx4 v[27:30], v[6:7], off offset:48
	v_fma_f64 v[47:48], v[37:38], v[41:42], v[15:16]
	global_load_dwordx4 v[15:18], v[6:7], off offset:16
	s_waitcnt vmcnt(2)
	v_fma_f64 v[12:13], v[31:32], v[39:40], v[13:14]
	v_fma_f64 v[49:50], v[33:34], v[41:42], v[12:13]
	global_load_dwordx4 v[31:34], v[6:7], off offset:112
	global_load_dwordx4 v[35:38], v[6:7], off offset:80
	global_load_dwordx4 v[39:42], v[43:44], off offset:16
	s_waitcnt vmcnt(0)
	v_fma_f64 v[12:13], v[15:16], v[39:40], v[21:22]
	v_fma_f64 v[31:32], v[31:32], v[39:40], v[49:50]
	;; [unrolled: 1-line block ×5, first 2 shown]
	global_load_dword v18, v[19:20], off offset:64
	v_fma_f64 v[39:40], v[33:34], v[41:42], v[31:32]
	global_load_dwordx4 v[12:15], v[6:7], off offset:2080
	v_fma_f64 v[43:44], v[37:38], v[41:42], v[35:36]
	global_load_dwordx4 v[35:38], v[6:7], off offset:2112
	;; [unrolled: 2-line block ×3, first 2 shown]
	s_waitcnt vmcnt(3)
	v_subrev_u32_e32 v18, s16, v18
	v_lshlrev_b32_e32 v31, 2, v18
	v_ashrrev_i32_e32 v32, 31, v31
	v_lshlrev_b64 v[31:32], 3, v[31:32]
	v_add_co_u32_e32 v45, vcc, s6, v31
	v_addc_co_u32_e32 v46, vcc, v26, v32, vcc
	global_load_dwordx4 v[31:34], v[45:46], off
	s_waitcnt vmcnt(0)
	v_fma_f64 v[12:13], v[12:13], v[31:32], v[21:22]
	v_fma_f64 v[21:22], v[14:15], v[33:34], v[12:13]
	;; [unrolled: 1-line block ×4, first 2 shown]
	global_load_dwordx4 v[35:38], v[6:7], off offset:2064
	v_fma_f64 v[16:17], v[27:28], v[31:32], v[16:17]
	v_fma_f64 v[47:48], v[29:30], v[33:34], v[16:17]
	global_load_dwordx4 v[27:30], v[6:7], off offset:2144
	global_load_dwordx4 v[14:17], v[6:7], off offset:2096
	s_waitcnt vmcnt(1)
	v_fma_f64 v[12:13], v[27:28], v[31:32], v[39:40]
	v_fma_f64 v[49:50], v[29:30], v[33:34], v[12:13]
	global_load_dwordx4 v[27:30], v[6:7], off offset:2160
	global_load_dwordx4 v[31:34], v[6:7], off offset:2128
	;; [unrolled: 1-line block ×3, first 2 shown]
	s_waitcnt vmcnt(0)
	v_fma_f64 v[12:13], v[35:36], v[39:40], v[47:48]
	v_fma_f64 v[14:15], v[14:15], v[39:40], v[21:22]
	v_fma_f64 v[31:32], v[31:32], v[39:40], v[43:44]
	v_fma_f64 v[27:28], v[27:28], v[39:40], v[49:50]
	v_fma_f64 v[45:46], v[37:38], v[41:42], v[12:13]
	v_add_co_u32_e32 v12, vcc, s17, v6
	v_addc_co_u32_e32 v13, vcc, 0, v7, vcc
	v_fma_f64 v[21:22], v[16:17], v[41:42], v[14:15]
	global_load_dwordx4 v[14:17], v[12:13], off
	v_fma_f64 v[43:44], v[33:34], v[41:42], v[31:32]
	global_load_dwordx4 v[31:34], v[12:13], off offset:32
	v_fma_f64 v[39:40], v[29:30], v[41:42], v[27:28]
	global_load_dwordx4 v[27:30], v[12:13], off offset:64
	global_load_dword v18, v[19:20], off offset:128
	s_waitcnt vmcnt(0)
	v_subrev_u32_e32 v18, s16, v18
	v_lshlrev_b32_e32 v35, 2, v18
	v_ashrrev_i32_e32 v36, 31, v35
	v_lshlrev_b64 v[35:36], 3, v[35:36]
	v_add_co_u32_e32 v41, vcc, s6, v35
	v_addc_co_u32_e32 v42, vcc, v26, v36, vcc
	global_load_dwordx4 v[35:38], v[41:42], off
	s_waitcnt vmcnt(0)
	v_fma_f64 v[14:15], v[14:15], v[35:36], v[45:46]
	v_fma_f64 v[21:22], v[31:32], v[35:36], v[21:22]
	;; [unrolled: 1-line block ×4, first 2 shown]
	global_load_dwordx4 v[14:17], v[12:13], off offset:96
	v_fma_f64 v[21:22], v[33:34], v[37:38], v[21:22]
	global_load_dwordx4 v[31:34], v[12:13], off offset:48
	v_fma_f64 v[43:44], v[29:30], v[37:38], v[27:28]
	global_load_dwordx4 v[27:30], v[12:13], off offset:16
	s_waitcnt vmcnt(2)
	v_fma_f64 v[14:15], v[14:15], v[35:36], v[39:40]
	v_fma_f64 v[39:40], v[16:17], v[37:38], v[14:15]
	global_load_dwordx4 v[14:17], v[12:13], off offset:80
	global_load_dwordx4 v[35:38], v[41:42], off offset:16
	s_waitcnt vmcnt(0)
	v_fma_f64 v[27:28], v[27:28], v[35:36], v[45:46]
	v_fma_f64 v[21:22], v[31:32], v[35:36], v[21:22]
	;; [unrolled: 1-line block ×4, first 2 shown]
	global_load_dwordx4 v[27:30], v[12:13], off offset:112
	v_fma_f64 v[45:46], v[33:34], v[37:38], v[21:22]
	v_fma_f64 v[43:44], v[16:17], v[37:38], v[14:15]
	global_load_dwordx4 v[14:17], v[12:13], off offset:2048
	global_load_dwordx4 v[31:34], v[12:13], off offset:2080
	s_waitcnt vmcnt(2)
	v_fma_f64 v[21:22], v[27:28], v[35:36], v[39:40]
	v_fma_f64 v[35:36], v[29:30], v[37:38], v[21:22]
	global_load_dwordx4 v[27:30], v[12:13], off offset:2112
	global_load_dword v18, v[19:20], off offset:192
	s_waitcnt vmcnt(0)
	v_subrev_u32_e32 v18, s16, v18
	v_lshlrev_b32_e32 v18, 2, v18
	v_ashrrev_i32_e32 v19, 31, v18
	v_lshlrev_b64 v[18:19], 3, v[18:19]
	v_add_co_u32_e32 v47, vcc, s6, v18
	v_addc_co_u32_e32 v48, vcc, v26, v19, vcc
	global_load_dwordx4 v[18:21], v[47:48], off
	v_add_co_u32_e32 v6, vcc, 0x2000, v6
	v_addc_co_u32_e32 v7, vcc, 0, v7, vcc
	s_waitcnt vmcnt(0)
	v_fma_f64 v[14:15], v[14:15], v[18:19], v[41:42]
	v_fma_f64 v[31:32], v[31:32], v[18:19], v[45:46]
	;; [unrolled: 1-line block ×4, first 2 shown]
	global_load_dwordx4 v[14:17], v[12:13], off offset:2144
	v_fma_f64 v[45:46], v[33:34], v[20:21], v[31:32]
	global_load_dwordx4 v[31:34], v[12:13], off offset:2096
	v_fma_f64 v[43:44], v[29:30], v[20:21], v[27:28]
	global_load_dwordx4 v[27:30], v[12:13], off offset:2064
	s_waitcnt vmcnt(2)
	v_fma_f64 v[14:15], v[14:15], v[18:19], v[35:36]
	v_fma_f64 v[14:15], v[16:17], v[20:21], v[14:15]
	global_load_dwordx4 v[17:20], v[12:13], off offset:2160
	global_load_dwordx4 v[35:38], v[12:13], off offset:2128
	;; [unrolled: 1-line block ×3, first 2 shown]
	s_waitcnt vmcnt(0)
	v_fma_f64 v[12:13], v[27:28], v[39:40], v[49:50]
	v_fma_f64 v[27:28], v[31:32], v[39:40], v[45:46]
	;; [unrolled: 1-line block ×8, first 2 shown]
	s_andn2_b64 exec, exec, s[14:15]
	s_cbranch_execnz .LBB7_21
; %bb.22:
	s_or_b64 exec, exec, s[14:15]
.LBB7_23:
	s_or_b64 exec, exec, s[10:11]
.LBB7_24:
	s_or_b64 exec, exec, s[8:9]
	s_cbranch_execz .LBB7_26
	s_branch .LBB7_37
.LBB7_25:
                                        ; implicit-def: $vgpr13_vgpr14
                                        ; implicit-def: $vgpr15_vgpr16
                                        ; implicit-def: $vgpr17_vgpr18
                                        ; implicit-def: $vgpr21_vgpr22
.LBB7_26:
	v_mov_b32_e32 v13, 0
	v_mov_b32_e32 v15, 0
	;; [unrolled: 1-line block ×8, first 2 shown]
	s_and_saveexec_b64 s[2:3], s[0:1]
	s_cbranch_execz .LBB7_36
; %bb.27:
	v_add_u32_e32 v1, v25, v23
	v_subrev_u32_e32 v1, s16, v1
	v_add_u32_e32 v1, 16, v1
	v_max_i32_e32 v1, v1, v24
	v_not_b32_e32 v6, v25
	v_add3_u32 v1, s16, v1, v6
	v_sub_u32_e32 v6, v1, v23
	v_and_b32_e32 v1, 48, v6
	v_mov_b32_e32 v21, 0
	v_mov_b32_e32 v17, 0
	;; [unrolled: 1-line block ×8, first 2 shown]
	v_cmp_ne_u32_e32 vcc, 48, v1
	s_and_saveexec_b64 s[8:9], vcc
	s_cbranch_execz .LBB7_31
; %bb.28:
	v_lshrrev_b32_e32 v1, 4, v6
	v_add_u32_e32 v1, 1, v1
	v_and_b32_e32 v1, 3, v1
	v_mov_b32_e32 v13, 0
	v_mov_b32_e32 v15, 0
	;; [unrolled: 1-line block ×4, first 2 shown]
	v_sub_u32_e32 v7, 0, v1
	v_mov_b32_e32 v14, 0
	s_mov_b64 s[10:11], 0
	v_mov_b32_e32 v11, s13
	v_mov_b32_e32 v16, 0
	;; [unrolled: 1-line block ×5, first 2 shown]
.LBB7_29:                               ; =>This Inner Loop Header: Depth=1
	v_ashrrev_i32_e32 v1, 31, v0
	v_lshlrev_b64 v[19:20], 2, v[0:1]
	v_add_co_u32_e64 v7, s[0:1], 1, v7
	v_add_co_u32_e32 v19, vcc, s12, v19
	v_addc_co_u32_e32 v20, vcc, v11, v20, vcc
	global_load_dword v1, v[19:20], off
	global_load_dwordx4 v[25:28], v[4:5], off offset:16
	global_load_dwordx4 v[29:32], v[4:5], off
	s_or_b64 s[10:11], s[0:1], s[10:11]
	v_add_u32_e32 v0, 16, v0
	s_waitcnt vmcnt(2)
	v_subrev_u32_e32 v1, s16, v1
	v_lshlrev_b32_e32 v19, 2, v1
	v_ashrrev_i32_e32 v20, 31, v19
	v_lshlrev_b64 v[19:20], 3, v[19:20]
	v_add_co_u32_e32 v19, vcc, s6, v19
	v_addc_co_u32_e32 v20, vcc, v12, v20, vcc
	global_load_dwordx4 v[33:36], v[19:20], off
	global_load_dwordx4 v[37:40], v[4:5], off offset:32
	global_load_dwordx4 v[41:44], v[4:5], off offset:48
	;; [unrolled: 1-line block ×7, first 2 shown]
	v_add_co_u32_e32 v4, vcc, 0x800, v4
	v_addc_co_u32_e32 v5, vcc, 0, v5, vcc
	s_waitcnt vmcnt(7)
	v_fma_f64 v[19:20], v[29:30], v[33:34], v[21:22]
	v_fma_f64 v[17:18], v[31:32], v[33:34], v[17:18]
	;; [unrolled: 1-line block ×4, first 2 shown]
	s_waitcnt vmcnt(6)
	v_fma_f64 v[19:20], v[37:38], v[35:36], v[19:20]
	v_fma_f64 v[17:18], v[39:40], v[35:36], v[17:18]
	s_waitcnt vmcnt(5)
	v_fma_f64 v[15:16], v[41:42], v[35:36], v[15:16]
	v_fma_f64 v[13:14], v[43:44], v[35:36], v[13:14]
	;; [unrolled: 3-line block ×3, first 2 shown]
	v_fma_f64 v[15:16], v[49:50], v[53:54], v[15:16]
	v_fma_f64 v[13:14], v[51:52], v[53:54], v[13:14]
	s_waitcnt vmcnt(1)
	v_fma_f64 v[21:22], v[57:58], v[55:56], v[19:20]
	v_fma_f64 v[17:18], v[59:60], v[55:56], v[17:18]
	s_waitcnt vmcnt(0)
	v_fma_f64 v[15:16], v[61:62], v[55:56], v[15:16]
	v_fma_f64 v[13:14], v[63:64], v[55:56], v[13:14]
	s_andn2_b64 exec, exec, s[10:11]
	s_cbranch_execnz .LBB7_29
; %bb.30:
	s_or_b64 exec, exec, s[10:11]
.LBB7_31:
	s_or_b64 exec, exec, s[8:9]
	v_cmp_lt_u32_e32 vcc, 47, v6
	s_and_saveexec_b64 s[8:9], vcc
	s_cbranch_execz .LBB7_35
; %bb.32:
	s_mov_b64 s[10:11], 0
	v_mov_b32_e32 v6, s13
	v_mov_b32_e32 v7, s7
	s_movk_i32 s7, 0x1000
.LBB7_33:                               ; =>This Inner Loop Header: Depth=1
	v_ashrrev_i32_e32 v1, 31, v0
	v_lshlrev_b64 v[11:12], 2, v[0:1]
	global_load_dwordx4 v[25:28], v[4:5], off offset:32
	global_load_dwordx4 v[29:32], v[4:5], off offset:16
	global_load_dwordx4 v[33:36], v[4:5], off
	v_add_co_u32_e32 v41, vcc, s12, v11
	v_addc_co_u32_e32 v42, vcc, v6, v12, vcc
	global_load_dword v1, v[41:42], off
	v_add_u32_e32 v0, 64, v0
	v_cmp_ge_i32_e64 s[0:1], v0, v24
	s_or_b64 s[10:11], s[0:1], s[10:11]
	s_waitcnt vmcnt(0)
	v_subrev_u32_e32 v1, s16, v1
	v_lshlrev_b32_e32 v11, 2, v1
	v_ashrrev_i32_e32 v12, 31, v11
	v_lshlrev_b64 v[11:12], 3, v[11:12]
	v_add_co_u32_e32 v43, vcc, s6, v11
	v_addc_co_u32_e32 v44, vcc, v7, v12, vcc
	global_load_dwordx4 v[37:40], v[43:44], off
	s_waitcnt vmcnt(0)
	v_fma_f64 v[21:22], v[33:34], v[37:38], v[21:22]
	v_fma_f64 v[33:34], v[35:36], v[37:38], v[17:18]
	global_load_dwordx4 v[17:20], v[4:5], off offset:48
	v_fma_f64 v[15:16], v[29:30], v[37:38], v[15:16]
	v_fma_f64 v[29:30], v[31:32], v[37:38], v[13:14]
	global_load_dwordx4 v[11:14], v[4:5], off offset:112
	;; [unrolled: 3-line block ×3, first 2 shown]
	s_waitcnt vmcnt(2)
	v_fma_f64 v[37:38], v[17:18], v[39:40], v[15:16]
	v_fma_f64 v[39:40], v[19:20], v[39:40], v[29:30]
	global_load_dwordx4 v[15:18], v[4:5], off offset:80
	global_load_dwordx4 v[19:22], v[4:5], off offset:64
	global_load_dwordx4 v[29:32], v[43:44], off offset:16
	global_load_dword v1, v[41:42], off offset:64
	s_waitcnt vmcnt(1)
	v_fma_f64 v[37:38], v[15:16], v[29:30], v[37:38]
	v_fma_f64 v[35:36], v[19:20], v[29:30], v[35:36]
	;; [unrolled: 1-line block ×4, first 2 shown]
	s_waitcnt vmcnt(0)
	v_subrev_u32_e32 v1, s16, v1
	global_load_dwordx4 v[15:18], v[4:5], off offset:2064
	global_load_dwordx4 v[19:22], v[4:5], off offset:2080
	v_fma_f64 v[37:38], v[11:12], v[31:32], v[37:38]
	v_lshlrev_b32_e32 v11, 2, v1
	v_ashrrev_i32_e32 v12, 31, v11
	v_lshlrev_b64 v[11:12], 3, v[11:12]
	v_fma_f64 v[35:36], v[25:26], v[31:32], v[35:36]
	v_add_co_u32_e32 v39, vcc, s6, v11
	v_addc_co_u32_e32 v40, vcc, v7, v12, vcc
	v_fma_f64 v[33:34], v[27:28], v[31:32], v[33:34]
	global_load_dwordx4 v[25:28], v[4:5], off offset:2048
	v_fma_f64 v[29:30], v[13:14], v[31:32], v[29:30]
	global_load_dwordx4 v[11:14], v[39:40], off
	s_waitcnt vmcnt(0)
	v_fma_f64 v[31:32], v[25:26], v[11:12], v[35:36]
	v_fma_f64 v[33:34], v[27:28], v[11:12], v[33:34]
	global_load_dwordx4 v[25:28], v[4:5], off offset:2096
	v_fma_f64 v[35:36], v[15:16], v[11:12], v[37:38]
	v_fma_f64 v[11:12], v[17:18], v[11:12], v[29:30]
	global_load_dwordx4 v[15:18], v[4:5], off offset:2160
	;; [unrolled: 3-line block ×3, first 2 shown]
	s_waitcnt vmcnt(2)
	v_fma_f64 v[35:36], v[25:26], v[13:14], v[35:36]
	v_fma_f64 v[43:44], v[27:28], v[13:14], v[11:12]
	global_load_dwordx4 v[11:14], v[4:5], off offset:2128
	global_load_dwordx4 v[25:28], v[4:5], off offset:2112
	;; [unrolled: 1-line block ×3, first 2 shown]
	s_waitcnt vmcnt(0)
	v_fma_f64 v[25:26], v[25:26], v[29:30], v[37:38]
	v_fma_f64 v[27:28], v[27:28], v[29:30], v[33:34]
	v_fma_f64 v[35:36], v[11:12], v[29:30], v[35:36]
	v_fma_f64 v[29:30], v[13:14], v[29:30], v[43:44]
	v_add_co_u32_e32 v33, vcc, s7, v4
	v_addc_co_u32_e32 v34, vcc, 0, v5, vcc
	global_load_dwordx4 v[11:14], v[33:34], off
	v_fma_f64 v[37:38], v[19:20], v[31:32], v[25:26]
	v_fma_f64 v[39:40], v[21:22], v[31:32], v[27:28]
	global_load_dwordx4 v[19:22], v[33:34], off offset:32
	v_fma_f64 v[35:36], v[15:16], v[31:32], v[35:36]
	v_fma_f64 v[29:30], v[17:18], v[31:32], v[29:30]
	global_load_dwordx4 v[15:18], v[33:34], off offset:16
	global_load_dword v1, v[41:42], off offset:128
	s_waitcnt vmcnt(0)
	v_subrev_u32_e32 v1, s16, v1
	v_lshlrev_b32_e32 v25, 2, v1
	v_ashrrev_i32_e32 v26, 31, v25
	v_lshlrev_b64 v[25:26], 3, v[25:26]
	v_add_co_u32_e32 v31, vcc, s6, v25
	v_addc_co_u32_e32 v32, vcc, v7, v26, vcc
	global_load_dwordx4 v[25:28], v[31:32], off
	s_waitcnt vmcnt(0)
	v_fma_f64 v[37:38], v[11:12], v[25:26], v[37:38]
	v_fma_f64 v[39:40], v[13:14], v[25:26], v[39:40]
	global_load_dwordx4 v[11:14], v[33:34], off offset:48
	v_fma_f64 v[35:36], v[15:16], v[25:26], v[35:36]
	v_fma_f64 v[25:26], v[17:18], v[25:26], v[29:30]
	global_load_dwordx4 v[15:18], v[33:34], off offset:96
	;; [unrolled: 3-line block ×3, first 2 shown]
	s_waitcnt vmcnt(2)
	v_fma_f64 v[35:36], v[11:12], v[27:28], v[35:36]
	v_fma_f64 v[39:40], v[13:14], v[27:28], v[25:26]
	global_load_dwordx4 v[11:14], v[33:34], off offset:64
	global_load_dwordx4 v[25:28], v[31:32], off offset:16
	s_waitcnt vmcnt(0)
	v_fma_f64 v[29:30], v[11:12], v[25:26], v[29:30]
	v_fma_f64 v[31:32], v[13:14], v[25:26], v[37:38]
	global_load_dwordx4 v[11:14], v[33:34], off offset:112
	v_fma_f64 v[35:36], v[19:20], v[25:26], v[35:36]
	v_fma_f64 v[25:26], v[21:22], v[25:26], v[39:40]
	global_load_dwordx4 v[19:22], v[33:34], off offset:2064
	v_fma_f64 v[29:30], v[15:16], v[27:28], v[29:30]
	v_fma_f64 v[31:32], v[17:18], v[27:28], v[31:32]
	global_load_dwordx4 v[15:18], v[33:34], off offset:2048
	s_waitcnt vmcnt(2)
	v_fma_f64 v[35:36], v[11:12], v[27:28], v[35:36]
	v_fma_f64 v[37:38], v[13:14], v[27:28], v[25:26]
	global_load_dwordx4 v[11:14], v[33:34], off offset:2080
	global_load_dword v1, v[41:42], off offset:192
	s_waitcnt vmcnt(0)
	v_subrev_u32_e32 v1, s16, v1
	v_lshlrev_b32_e32 v25, 2, v1
	v_ashrrev_i32_e32 v26, 31, v25
	v_lshlrev_b64 v[25:26], 3, v[25:26]
	v_add_co_u32_e32 v39, vcc, s6, v25
	v_addc_co_u32_e32 v40, vcc, v7, v26, vcc
	global_load_dwordx4 v[25:28], v[39:40], off
	v_add_co_u32_e32 v4, vcc, 0x2000, v4
	v_addc_co_u32_e32 v5, vcc, 0, v5, vcc
	s_waitcnt vmcnt(0)
	v_fma_f64 v[29:30], v[15:16], v[25:26], v[29:30]
	v_fma_f64 v[31:32], v[17:18], v[25:26], v[31:32]
	global_load_dwordx4 v[15:18], v[33:34], off offset:2096
	v_fma_f64 v[35:36], v[19:20], v[25:26], v[35:36]
	v_fma_f64 v[25:26], v[21:22], v[25:26], v[37:38]
	global_load_dwordx4 v[19:22], v[33:34], off offset:2112
	;; [unrolled: 3-line block ×3, first 2 shown]
	global_load_dwordx4 v[29:32], v[39:40], off offset:16
	s_waitcnt vmcnt(3)
	v_fma_f64 v[35:36], v[15:16], v[27:28], v[35:36]
	v_fma_f64 v[39:40], v[17:18], v[27:28], v[25:26]
	global_load_dwordx4 v[15:18], v[33:34], off offset:2144
	global_load_dwordx4 v[25:28], v[33:34], off offset:2160
	s_waitcnt vmcnt(2)
	v_fma_f64 v[19:20], v[19:20], v[29:30], v[37:38]
	v_fma_f64 v[33:34], v[21:22], v[29:30], v[41:42]
	;; [unrolled: 1-line block ×4, first 2 shown]
	s_waitcnt vmcnt(1)
	v_fma_f64 v[21:22], v[15:16], v[31:32], v[19:20]
	v_fma_f64 v[17:18], v[17:18], v[31:32], v[33:34]
	s_waitcnt vmcnt(0)
	v_fma_f64 v[15:16], v[25:26], v[31:32], v[11:12]
	v_fma_f64 v[13:14], v[27:28], v[31:32], v[13:14]
	s_andn2_b64 exec, exec, s[10:11]
	s_cbranch_execnz .LBB7_33
; %bb.34:
	s_or_b64 exec, exec, s[10:11]
.LBB7_35:
	s_or_b64 exec, exec, s[8:9]
.LBB7_36:
	s_or_b64 exec, exec, s[2:3]
.LBB7_37:
	v_mov_b32_dpp v0, v21 row_shr:1 row_mask:0xf bank_mask:0xf
	v_mov_b32_dpp v1, v22 row_shr:1 row_mask:0xf bank_mask:0xf
	v_add_f64 v[0:1], v[21:22], v[0:1]
	v_mov_b32_dpp v4, v17 row_shr:1 row_mask:0xf bank_mask:0xf
	v_mov_b32_dpp v5, v18 row_shr:1 row_mask:0xf bank_mask:0xf
	;; [unrolled: 1-line block ×3, first 2 shown]
	v_add_f64 v[4:5], v[17:18], v[4:5]
	v_mov_b32_dpp v7, v16 row_shr:1 row_mask:0xf bank_mask:0xf
	v_add_f64 v[6:7], v[15:16], v[6:7]
	v_cmp_eq_u32_e32 vcc, 15, v23
	v_mov_b32_dpp v11, v0 row_shr:2 row_mask:0xf bank_mask:0xf
	v_mov_b32_dpp v12, v1 row_shr:2 row_mask:0xf bank_mask:0xf
	v_add_f64 v[0:1], v[0:1], v[11:12]
	v_mov_b32_dpp v11, v13 row_shr:1 row_mask:0xf bank_mask:0xf
	v_mov_b32_dpp v12, v14 row_shr:1 row_mask:0xf bank_mask:0xf
	v_add_f64 v[11:12], v[13:14], v[11:12]
	;; [unrolled: 3-line block ×4, first 2 shown]
	v_mov_b32_dpp v15, v0 row_shr:4 row_mask:0xf bank_mask:0xe
	v_mov_b32_dpp v13, v11 row_shr:2 row_mask:0xf bank_mask:0xf
	;; [unrolled: 1-line block ×3, first 2 shown]
	v_add_f64 v[11:12], v[11:12], v[13:14]
	v_mov_b32_dpp v13, v4 row_shr:4 row_mask:0xf bank_mask:0xe
	v_mov_b32_dpp v14, v5 row_shr:4 row_mask:0xf bank_mask:0xe
	v_add_f64 v[4:5], v[4:5], v[13:14]
	v_mov_b32_dpp v13, v6 row_shr:4 row_mask:0xf bank_mask:0xe
	v_mov_b32_dpp v14, v7 row_shr:4 row_mask:0xf bank_mask:0xe
	;; [unrolled: 1-line block ×3, first 2 shown]
	v_add_f64 v[6:7], v[6:7], v[13:14]
	v_mov_b32_dpp v13, v11 row_shr:4 row_mask:0xf bank_mask:0xe
	v_mov_b32_dpp v14, v12 row_shr:4 row_mask:0xf bank_mask:0xe
	v_add_f64 v[0:1], v[0:1], v[15:16]
	v_add_f64 v[11:12], v[11:12], v[13:14]
	v_mov_b32_dpp v17, v4 row_shr:8 row_mask:0xf bank_mask:0xc
	v_mov_b32_dpp v18, v5 row_shr:8 row_mask:0xf bank_mask:0xc
	;; [unrolled: 1-line block ×8, first 2 shown]
	s_and_b64 exec, exec, vcc
	s_cbranch_execz .LBB7_10
; %bb.38:
	v_add_f64 v[0:1], v[0:1], v[19:20]
	v_add_f64 v[17:18], v[4:5], v[17:18]
	;; [unrolled: 1-line block ×4, first 2 shown]
	v_cmp_eq_f64_e32 vcc, 0, v[8:9]
	s_load_dwordx2 s[0:1], s[4:5], 0x50
	v_lshlrev_b32_e32 v10, 2, v10
	v_mul_f64 v[4:5], v[2:3], v[0:1]
	v_mul_f64 v[6:7], v[2:3], v[17:18]
	;; [unrolled: 1-line block ×4, first 2 shown]
	s_and_saveexec_b64 s[2:3], vcc
	s_xor_b64 s[2:3], exec, s[2:3]
	s_cbranch_execz .LBB7_40
; %bb.39:
	v_ashrrev_i32_e32 v11, 31, v10
	v_lshlrev_b64 v[8:9], 3, v[10:11]
	s_waitcnt lgkmcnt(0)
	v_mov_b32_e32 v10, s1
	v_add_co_u32_e32 v8, vcc, s0, v8
	v_addc_co_u32_e32 v9, vcc, v10, v9, vcc
	global_store_dwordx4 v[8:9], v[4:7], off
	global_store_dwordx4 v[8:9], v[0:3], off offset:16
                                        ; implicit-def: $vgpr10
                                        ; implicit-def: $vgpr8_vgpr9
                                        ; implicit-def: $vgpr4_vgpr5
                                        ; implicit-def: $vgpr0_vgpr1
.LBB7_40:
	s_andn2_saveexec_b64 s[2:3], s[2:3]
	s_cbranch_execz .LBB7_10
; %bb.41:
	v_ashrrev_i32_e32 v11, 31, v10
	v_lshlrev_b64 v[10:11], 3, v[10:11]
	s_waitcnt lgkmcnt(0)
	v_mov_b32_e32 v12, s1
	v_add_co_u32_e32 v18, vcc, s0, v10
	v_addc_co_u32_e32 v19, vcc, v12, v11, vcc
	global_load_dwordx4 v[10:13], v[18:19], off
	global_load_dwordx4 v[14:17], v[18:19], off offset:16
	s_waitcnt vmcnt(1)
	v_fma_f64 v[4:5], v[8:9], v[10:11], v[4:5]
	v_fma_f64 v[6:7], v[8:9], v[12:13], v[6:7]
	s_waitcnt vmcnt(0)
	v_fma_f64 v[0:1], v[8:9], v[14:15], v[0:1]
	v_fma_f64 v[2:3], v[8:9], v[16:17], v[2:3]
	global_store_dwordx4 v[18:19], v[4:7], off
	global_store_dwordx4 v[18:19], v[0:3], off offset:16
	s_endpgm
	.section	.rodata,"a",@progbits
	.p2align	6, 0x0
	.amdhsa_kernel _ZN9rocsparseL18bsrxmvn_4x4_kernelILj128ELj16EdiidddEEvT3_20rocsparse_direction_NS_24const_host_device_scalarIT1_EES1_PKS1_PKT2_SA_S7_PKT4_PKT5_S5_PT6_21rocsparse_index_base_b
		.amdhsa_group_segment_fixed_size 0
		.amdhsa_private_segment_fixed_size 0
		.amdhsa_kernarg_size 96
		.amdhsa_user_sgpr_count 6
		.amdhsa_user_sgpr_private_segment_buffer 1
		.amdhsa_user_sgpr_dispatch_ptr 0
		.amdhsa_user_sgpr_queue_ptr 0
		.amdhsa_user_sgpr_kernarg_segment_ptr 1
		.amdhsa_user_sgpr_dispatch_id 0
		.amdhsa_user_sgpr_flat_scratch_init 0
		.amdhsa_user_sgpr_private_segment_size 0
		.amdhsa_uses_dynamic_stack 0
		.amdhsa_system_sgpr_private_segment_wavefront_offset 0
		.amdhsa_system_sgpr_workgroup_id_x 1
		.amdhsa_system_sgpr_workgroup_id_y 0
		.amdhsa_system_sgpr_workgroup_id_z 0
		.amdhsa_system_sgpr_workgroup_info 0
		.amdhsa_system_vgpr_workitem_id 0
		.amdhsa_next_free_vgpr 65
		.amdhsa_next_free_sgpr 18
		.amdhsa_reserve_vcc 1
		.amdhsa_reserve_flat_scratch 0
		.amdhsa_float_round_mode_32 0
		.amdhsa_float_round_mode_16_64 0
		.amdhsa_float_denorm_mode_32 3
		.amdhsa_float_denorm_mode_16_64 3
		.amdhsa_dx10_clamp 1
		.amdhsa_ieee_mode 1
		.amdhsa_fp16_overflow 0
		.amdhsa_exception_fp_ieee_invalid_op 0
		.amdhsa_exception_fp_denorm_src 0
		.amdhsa_exception_fp_ieee_div_zero 0
		.amdhsa_exception_fp_ieee_overflow 0
		.amdhsa_exception_fp_ieee_underflow 0
		.amdhsa_exception_fp_ieee_inexact 0
		.amdhsa_exception_int_div_zero 0
	.end_amdhsa_kernel
	.section	.text._ZN9rocsparseL18bsrxmvn_4x4_kernelILj128ELj16EdiidddEEvT3_20rocsparse_direction_NS_24const_host_device_scalarIT1_EES1_PKS1_PKT2_SA_S7_PKT4_PKT5_S5_PT6_21rocsparse_index_base_b,"axG",@progbits,_ZN9rocsparseL18bsrxmvn_4x4_kernelILj128ELj16EdiidddEEvT3_20rocsparse_direction_NS_24const_host_device_scalarIT1_EES1_PKS1_PKT2_SA_S7_PKT4_PKT5_S5_PT6_21rocsparse_index_base_b,comdat
.Lfunc_end7:
	.size	_ZN9rocsparseL18bsrxmvn_4x4_kernelILj128ELj16EdiidddEEvT3_20rocsparse_direction_NS_24const_host_device_scalarIT1_EES1_PKS1_PKT2_SA_S7_PKT4_PKT5_S5_PT6_21rocsparse_index_base_b, .Lfunc_end7-_ZN9rocsparseL18bsrxmvn_4x4_kernelILj128ELj16EdiidddEEvT3_20rocsparse_direction_NS_24const_host_device_scalarIT1_EES1_PKS1_PKT2_SA_S7_PKT4_PKT5_S5_PT6_21rocsparse_index_base_b
                                        ; -- End function
	.set _ZN9rocsparseL18bsrxmvn_4x4_kernelILj128ELj16EdiidddEEvT3_20rocsparse_direction_NS_24const_host_device_scalarIT1_EES1_PKS1_PKT2_SA_S7_PKT4_PKT5_S5_PT6_21rocsparse_index_base_b.num_vgpr, 65
	.set _ZN9rocsparseL18bsrxmvn_4x4_kernelILj128ELj16EdiidddEEvT3_20rocsparse_direction_NS_24const_host_device_scalarIT1_EES1_PKS1_PKT2_SA_S7_PKT4_PKT5_S5_PT6_21rocsparse_index_base_b.num_agpr, 0
	.set _ZN9rocsparseL18bsrxmvn_4x4_kernelILj128ELj16EdiidddEEvT3_20rocsparse_direction_NS_24const_host_device_scalarIT1_EES1_PKS1_PKT2_SA_S7_PKT4_PKT5_S5_PT6_21rocsparse_index_base_b.numbered_sgpr, 18
	.set _ZN9rocsparseL18bsrxmvn_4x4_kernelILj128ELj16EdiidddEEvT3_20rocsparse_direction_NS_24const_host_device_scalarIT1_EES1_PKS1_PKT2_SA_S7_PKT4_PKT5_S5_PT6_21rocsparse_index_base_b.num_named_barrier, 0
	.set _ZN9rocsparseL18bsrxmvn_4x4_kernelILj128ELj16EdiidddEEvT3_20rocsparse_direction_NS_24const_host_device_scalarIT1_EES1_PKS1_PKT2_SA_S7_PKT4_PKT5_S5_PT6_21rocsparse_index_base_b.private_seg_size, 0
	.set _ZN9rocsparseL18bsrxmvn_4x4_kernelILj128ELj16EdiidddEEvT3_20rocsparse_direction_NS_24const_host_device_scalarIT1_EES1_PKS1_PKT2_SA_S7_PKT4_PKT5_S5_PT6_21rocsparse_index_base_b.uses_vcc, 1
	.set _ZN9rocsparseL18bsrxmvn_4x4_kernelILj128ELj16EdiidddEEvT3_20rocsparse_direction_NS_24const_host_device_scalarIT1_EES1_PKS1_PKT2_SA_S7_PKT4_PKT5_S5_PT6_21rocsparse_index_base_b.uses_flat_scratch, 0
	.set _ZN9rocsparseL18bsrxmvn_4x4_kernelILj128ELj16EdiidddEEvT3_20rocsparse_direction_NS_24const_host_device_scalarIT1_EES1_PKS1_PKT2_SA_S7_PKT4_PKT5_S5_PT6_21rocsparse_index_base_b.has_dyn_sized_stack, 0
	.set _ZN9rocsparseL18bsrxmvn_4x4_kernelILj128ELj16EdiidddEEvT3_20rocsparse_direction_NS_24const_host_device_scalarIT1_EES1_PKS1_PKT2_SA_S7_PKT4_PKT5_S5_PT6_21rocsparse_index_base_b.has_recursion, 0
	.set _ZN9rocsparseL18bsrxmvn_4x4_kernelILj128ELj16EdiidddEEvT3_20rocsparse_direction_NS_24const_host_device_scalarIT1_EES1_PKS1_PKT2_SA_S7_PKT4_PKT5_S5_PT6_21rocsparse_index_base_b.has_indirect_call, 0
	.section	.AMDGPU.csdata,"",@progbits
; Kernel info:
; codeLenInByte = 4444
; TotalNumSgprs: 22
; NumVgprs: 65
; ScratchSize: 0
; MemoryBound: 1
; FloatMode: 240
; IeeeMode: 1
; LDSByteSize: 0 bytes/workgroup (compile time only)
; SGPRBlocks: 2
; VGPRBlocks: 16
; NumSGPRsForWavesPerEU: 22
; NumVGPRsForWavesPerEU: 65
; Occupancy: 3
; WaveLimiterHint : 1
; COMPUTE_PGM_RSRC2:SCRATCH_EN: 0
; COMPUTE_PGM_RSRC2:USER_SGPR: 6
; COMPUTE_PGM_RSRC2:TRAP_HANDLER: 0
; COMPUTE_PGM_RSRC2:TGID_X_EN: 1
; COMPUTE_PGM_RSRC2:TGID_Y_EN: 0
; COMPUTE_PGM_RSRC2:TGID_Z_EN: 0
; COMPUTE_PGM_RSRC2:TIDIG_COMP_CNT: 0
	.section	.text._ZN9rocsparseL18bsrxmvn_4x4_kernelILj128ELj32EdiidddEEvT3_20rocsparse_direction_NS_24const_host_device_scalarIT1_EES1_PKS1_PKT2_SA_S7_PKT4_PKT5_S5_PT6_21rocsparse_index_base_b,"axG",@progbits,_ZN9rocsparseL18bsrxmvn_4x4_kernelILj128ELj32EdiidddEEvT3_20rocsparse_direction_NS_24const_host_device_scalarIT1_EES1_PKS1_PKT2_SA_S7_PKT4_PKT5_S5_PT6_21rocsparse_index_base_b,comdat
	.globl	_ZN9rocsparseL18bsrxmvn_4x4_kernelILj128ELj32EdiidddEEvT3_20rocsparse_direction_NS_24const_host_device_scalarIT1_EES1_PKS1_PKT2_SA_S7_PKT4_PKT5_S5_PT6_21rocsparse_index_base_b ; -- Begin function _ZN9rocsparseL18bsrxmvn_4x4_kernelILj128ELj32EdiidddEEvT3_20rocsparse_direction_NS_24const_host_device_scalarIT1_EES1_PKS1_PKT2_SA_S7_PKT4_PKT5_S5_PT6_21rocsparse_index_base_b
	.p2align	8
	.type	_ZN9rocsparseL18bsrxmvn_4x4_kernelILj128ELj32EdiidddEEvT3_20rocsparse_direction_NS_24const_host_device_scalarIT1_EES1_PKS1_PKT2_SA_S7_PKT4_PKT5_S5_PT6_21rocsparse_index_base_b,@function
_ZN9rocsparseL18bsrxmvn_4x4_kernelILj128ELj32EdiidddEEvT3_20rocsparse_direction_NS_24const_host_device_scalarIT1_EES1_PKS1_PKT2_SA_S7_PKT4_PKT5_S5_PT6_21rocsparse_index_base_b: ; @_ZN9rocsparseL18bsrxmvn_4x4_kernelILj128ELj32EdiidddEEvT3_20rocsparse_direction_NS_24const_host_device_scalarIT1_EES1_PKS1_PKT2_SA_S7_PKT4_PKT5_S5_PT6_21rocsparse_index_base_b
; %bb.0:
	s_load_dwordx2 s[16:17], s[4:5], 0x58
	s_load_dwordx2 s[8:9], s[4:5], 0x8
	;; [unrolled: 1-line block ×3, first 2 shown]
	s_waitcnt lgkmcnt(0)
	s_bitcmp1_b32 s17, 0
	s_cselect_b64 s[10:11], -1, 0
	v_mov_b32_e32 v2, s8
	s_xor_b64 s[2:3], s[10:11], -1
	s_and_b64 vcc, exec, s[10:11]
	v_mov_b32_e32 v3, s9
	s_cbranch_vccnz .LBB8_2
; %bb.1:
	v_mov_b32_e32 v1, s8
	v_mov_b32_e32 v2, s9
	flat_load_dwordx2 v[2:3], v[1:2]
.LBB8_2:
	v_mov_b32_e32 v9, s1
	s_andn2_b64 vcc, exec, s[2:3]
	v_mov_b32_e32 v8, s0
	s_cbranch_vccnz .LBB8_4
; %bb.3:
	v_mov_b32_e32 v5, s1
	v_mov_b32_e32 v4, s0
	flat_load_dwordx2 v[8:9], v[4:5]
.LBB8_4:
	s_waitcnt vmcnt(0) lgkmcnt(0)
	v_cmp_neq_f64_e32 vcc, 0, v[2:3]
	v_cmp_neq_f64_e64 s[0:1], 1.0, v[8:9]
	s_mov_b64 s[2:3], 0
	s_or_b64 s[0:1], vcc, s[0:1]
	s_and_saveexec_b64 s[8:9], s[0:1]
	s_cbranch_execz .LBB8_10
; %bb.5:
	s_load_dwordx2 s[8:9], s[4:5], 0x18
	s_load_dwordx2 s[0:1], s[4:5], 0x0
	v_lshrrev_b32_e32 v1, 5, v0
	v_lshl_or_b32 v10, s6, 2, v1
	s_mov_b64 s[6:7], 0
	s_waitcnt lgkmcnt(0)
	s_cmp_lg_u64 s[8:9], 0
	s_cbranch_scc0 .LBB8_11
; %bb.6:
	s_load_dword s2, s[4:5], 0x10
                                        ; implicit-def: $vgpr1
	s_waitcnt lgkmcnt(0)
	v_cmp_gt_i32_e32 vcc, s2, v10
	s_and_saveexec_b64 s[2:3], vcc
	s_xor_b64 s[2:3], exec, s[2:3]
	s_cbranch_execz .LBB8_8
; %bb.7:
	v_ashrrev_i32_e32 v11, 31, v10
	v_lshlrev_b64 v[4:5], 2, v[10:11]
	v_mov_b32_e32 v1, s9
	v_add_co_u32_e32 v4, vcc, s8, v4
	v_addc_co_u32_e32 v5, vcc, v1, v5, vcc
	global_load_dword v1, v[4:5], off
	s_mov_b64 s[6:7], exec
	s_waitcnt vmcnt(0)
	v_subrev_u32_e32 v1, s16, v1
.LBB8_8:
	s_or_b64 exec, exec, s[2:3]
	s_mov_b64 s[2:3], s[6:7]
	s_branch .LBB8_12
.LBB8_9:
	v_cmp_gt_i32_e32 vcc, s0, v10
	s_andn2_b64 s[2:3], s[2:3], exec
	s_and_b64 s[6:7], vcc, exec
	s_or_b64 s[2:3], s[2:3], s[6:7]
	s_and_b64 exec, exec, s[2:3]
	s_cbranch_execnz .LBB8_13
.LBB8_10:
	s_endpgm
.LBB8_11:
                                        ; implicit-def: $vgpr1
	s_cbranch_execnz .LBB8_9
.LBB8_12:
	v_mov_b32_e32 v10, v1
	s_and_b64 exec, exec, s[2:3]
	s_cbranch_execz .LBB8_10
.LBB8_13:
	s_load_dwordx8 s[8:15], s[4:5], 0x20
	v_ashrrev_i32_e32 v11, 31, v10
	v_lshlrev_b64 v[4:5], 2, v[10:11]
	v_and_b32_e32 v23, 31, v0
	s_waitcnt lgkmcnt(0)
	v_mov_b32_e32 v1, s9
	v_add_co_u32_e32 v6, vcc, s8, v4
	v_addc_co_u32_e32 v7, vcc, v1, v5, vcc
	v_add_co_u32_e32 v1, vcc, 4, v6
	global_load_dword v25, v[6:7], off
	v_addc_co_u32_e32 v6, vcc, 0, v7, vcc
	v_mov_b32_e32 v7, s11
	v_add_co_u32_e32 v4, vcc, s10, v4
	s_cmp_eq_u64 s[10:11], 0
	v_addc_co_u32_e32 v5, vcc, v7, v5, vcc
	s_cselect_b64 vcc, -1, 0
	v_cndmask_b32_e32 v5, v5, v6, vcc
	v_cndmask_b32_e32 v4, v4, v1, vcc
	global_load_dword v1, v[4:5], off
	s_load_dwordx2 s[8:9], s[4:5], 0x40
	v_mov_b32_e32 v6, s15
	s_cmp_eq_u32 s1, 1
	s_waitcnt vmcnt(1)
	v_subrev_u32_e32 v0, s16, v25
	v_add_u32_e32 v0, v0, v23
	s_waitcnt vmcnt(0)
	v_subrev_u32_e32 v24, s16, v1
	v_ashrrev_i32_e32 v1, 31, v0
	v_lshlrev_b64 v[4:5], 7, v[0:1]
	v_cmp_lt_i32_e64 s[0:1], v0, v24
	v_add_co_u32_e32 v4, vcc, s14, v4
	v_addc_co_u32_e32 v5, vcc, v6, v5, vcc
	s_cbranch_scc1 .LBB8_25
; %bb.14:
	v_mov_b32_e32 v13, 0
	v_mov_b32_e32 v15, 0
	;; [unrolled: 1-line block ×8, first 2 shown]
	s_and_saveexec_b64 s[10:11], s[0:1]
	s_cbranch_execz .LBB8_24
; %bb.15:
	v_add_u32_e32 v1, v25, v23
	v_subrev_u32_e32 v1, s16, v1
	v_add_u32_e32 v1, 32, v1
	v_max_i32_e32 v1, v1, v24
	v_not_b32_e32 v6, v25
	v_add3_u32 v1, s16, v1, v6
	v_sub_u32_e32 v1, v1, v23
	s_movk_i32 s2, 0x60
	v_and_b32_e32 v6, 0x60, v1
	v_cmp_ne_u32_e32 vcc, s2, v6
	v_mov_b32_e32 v19, 0
	v_mov_b32_e32 v17, 0
	;; [unrolled: 1-line block ×11, first 2 shown]
	s_and_saveexec_b64 s[6:7], vcc
	s_cbranch_execz .LBB8_19
; %bb.16:
	v_lshrrev_b32_e32 v6, 5, v1
	v_add_u32_e32 v6, 1, v6
	v_and_b32_e32 v6, 3, v6
	v_sub_u32_e32 v21, 0, v6
	v_mov_b32_e32 v13, 0
	v_mov_b32_e32 v7, v5
	;; [unrolled: 1-line block ×6, first 2 shown]
	s_mov_b64 s[14:15], 0
	v_mov_b32_e32 v22, s13
	s_waitcnt lgkmcnt(0)
	v_mov_b32_e32 v26, s9
	v_mov_b32_e32 v6, v4
	;; [unrolled: 1-line block ×6, first 2 shown]
.LBB8_17:                               ; =>This Inner Loop Header: Depth=1
	v_ashrrev_i32_e32 v12, 31, v11
	v_lshlrev_b64 v[47:48], 2, v[11:12]
	global_load_dwordx4 v[27:30], v[6:7], off offset:32
	global_load_dwordx4 v[31:34], v[6:7], off offset:64
	global_load_dwordx4 v[35:38], v[6:7], off offset:96
	global_load_dwordx4 v[39:42], v[6:7], off
	global_load_dwordx4 v[43:46], v[6:7], off offset:16
	v_add_co_u32_e32 v47, vcc, s12, v47
	v_addc_co_u32_e32 v48, vcc, v22, v48, vcc
	global_load_dword v12, v[47:48], off
	v_add_co_u32_e64 v21, s[2:3], 1, v21
	s_or_b64 s[14:15], s[2:3], s[14:15]
	v_add_u32_e32 v11, 32, v11
	s_waitcnt vmcnt(0)
	v_subrev_u32_e32 v12, s16, v12
	v_lshlrev_b32_e32 v47, 2, v12
	v_ashrrev_i32_e32 v48, 31, v47
	v_lshlrev_b64 v[47:48], 3, v[47:48]
	v_add_co_u32_e32 v55, vcc, s8, v47
	v_addc_co_u32_e32 v56, vcc, v26, v48, vcc
	global_load_dwordx4 v[47:50], v[55:56], off
	global_load_dwordx4 v[51:54], v[55:56], off offset:16
	s_waitcnt vmcnt(1)
	v_fma_f64 v[19:20], v[39:40], v[47:48], v[19:20]
	v_fma_f64 v[17:18], v[27:28], v[47:48], v[17:18]
	;; [unrolled: 1-line block ×5, first 2 shown]
	global_load_dwordx4 v[39:42], v[6:7], off offset:48
	v_fma_f64 v[17:18], v[29:30], v[49:50], v[17:18]
	global_load_dwordx4 v[27:30], v[6:7], off offset:80
	v_fma_f64 v[15:16], v[33:34], v[49:50], v[15:16]
	;; [unrolled: 2-line block ×3, first 2 shown]
	v_add_co_u32_e32 v6, vcc, 0x1000, v6
	s_waitcnt vmcnt(3)
	v_fma_f64 v[19:20], v[43:44], v[51:52], v[19:20]
	v_addc_co_u32_e32 v7, vcc, 0, v7, vcc
	v_fma_f64 v[19:20], v[45:46], v[53:54], v[19:20]
	s_waitcnt vmcnt(2)
	v_fma_f64 v[17:18], v[39:40], v[51:52], v[17:18]
	s_waitcnt vmcnt(1)
	;; [unrolled: 2-line block ×3, first 2 shown]
	v_fma_f64 v[12:13], v[31:32], v[51:52], v[12:13]
	v_fma_f64 v[17:18], v[41:42], v[53:54], v[17:18]
	;; [unrolled: 1-line block ×4, first 2 shown]
	s_andn2_b64 exec, exec, s[14:15]
	s_cbranch_execnz .LBB8_17
; %bb.18:
	s_or_b64 exec, exec, s[14:15]
.LBB8_19:
	s_or_b64 exec, exec, s[6:7]
	s_movk_i32 s2, 0x5f
	v_cmp_lt_u32_e32 vcc, s2, v1
	s_and_saveexec_b64 s[14:15], vcc
	s_cbranch_execz .LBB8_23
; %bb.20:
	s_mov_b64 s[18:19], 0
	v_mov_b32_e32 v1, s13
	s_waitcnt lgkmcnt(0)
	v_mov_b32_e32 v26, s9
	s_movk_i32 s17, 0x1000
	s_movk_i32 s20, 0x2000
	;; [unrolled: 1-line block ×3, first 2 shown]
.LBB8_21:                               ; =>This Inner Loop Header: Depth=1
	v_ashrrev_i32_e32 v12, 31, v11
	v_lshlrev_b64 v[21:22], 2, v[11:12]
	global_load_dwordx4 v[27:30], v[6:7], off offset:32
	global_load_dwordx4 v[31:34], v[6:7], off
	global_load_dwordx4 v[35:38], v[6:7], off offset:64
	v_add_co_u32_e32 v21, vcc, s12, v21
	v_addc_co_u32_e32 v22, vcc, v1, v22, vcc
	global_load_dword v12, v[21:22], off
	v_add_u32_e32 v11, 0x80, v11
	s_waitcnt vmcnt(0)
	v_subrev_u32_e32 v12, s16, v12
	v_lshlrev_b32_e32 v39, 2, v12
	v_ashrrev_i32_e32 v40, 31, v39
	v_lshlrev_b64 v[39:40], 3, v[39:40]
	v_add_co_u32_e32 v43, vcc, s8, v39
	v_addc_co_u32_e32 v44, vcc, v26, v40, vcc
	global_load_dwordx4 v[39:42], v[43:44], off
	v_add_co_u32_e32 v51, vcc, s20, v6
	v_addc_co_u32_e32 v52, vcc, 0, v7, vcc
	s_waitcnt vmcnt(0)
	v_fma_f64 v[19:20], v[31:32], v[39:40], v[19:20]
	v_fma_f64 v[17:18], v[27:28], v[39:40], v[17:18]
	;; [unrolled: 1-line block ×4, first 2 shown]
	global_load_dwordx4 v[31:34], v[6:7], off offset:96
	v_fma_f64 v[47:48], v[29:30], v[41:42], v[17:18]
	global_load_dwordx4 v[17:20], v[6:7], off offset:48
	global_load_dwordx4 v[27:30], v[6:7], off offset:16
	v_fma_f64 v[15:16], v[37:38], v[41:42], v[15:16]
	s_waitcnt vmcnt(2)
	v_fma_f64 v[12:13], v[31:32], v[39:40], v[13:14]
	v_fma_f64 v[49:50], v[33:34], v[41:42], v[12:13]
	global_load_dwordx4 v[31:34], v[6:7], off offset:112
	global_load_dwordx4 v[35:38], v[6:7], off offset:80
	;; [unrolled: 1-line block ×3, first 2 shown]
	s_waitcnt vmcnt(0)
	v_fma_f64 v[12:13], v[27:28], v[39:40], v[45:46]
	v_fma_f64 v[14:15], v[35:36], v[39:40], v[15:16]
	v_fma_f64 v[27:28], v[31:32], v[39:40], v[49:50]
	v_add_co_u32_e64 v45, s[6:7], s17, v6
	v_addc_co_u32_e64 v46, s[6:7], 0, v7, s[6:7]
	v_fma_f64 v[43:44], v[29:30], v[41:42], v[12:13]
	v_fma_f64 v[12:13], v[17:18], v[39:40], v[47:48]
	;; [unrolled: 1-line block ×3, first 2 shown]
	global_load_dwordx4 v[14:17], v[51:52], off offset:-4096
	v_fma_f64 v[37:38], v[33:34], v[41:42], v[27:28]
	v_fma_f64 v[18:19], v[19:20], v[41:42], v[12:13]
	global_load_dwordx4 v[27:30], v[45:46], off offset:32
	global_load_dword v20, v[21:22], off offset:128
	v_add_co_u32_e64 v12, s[2:3], s21, v6
	v_addc_co_u32_e64 v13, vcc, 0, v7, s[2:3]
	v_cmp_ge_i32_e64 s[2:3], v11, v24
	s_or_b64 s[18:19], s[2:3], s[18:19]
	s_waitcnt vmcnt(0)
	v_subrev_u32_e32 v20, s16, v20
	v_lshlrev_b32_e32 v31, 2, v20
	v_ashrrev_i32_e32 v32, 31, v31
	v_lshlrev_b64 v[31:32], 3, v[31:32]
	v_add_co_u32_e32 v39, vcc, s8, v31
	v_addc_co_u32_e32 v40, vcc, v26, v32, vcc
	global_load_dwordx4 v[31:34], v[39:40], off
	s_waitcnt vmcnt(0)
	v_fma_f64 v[14:15], v[14:15], v[31:32], v[43:44]
	v_fma_f64 v[18:19], v[27:28], v[31:32], v[18:19]
	;; [unrolled: 1-line block ×3, first 2 shown]
	global_load_dwordx4 v[14:17], v[45:46], off offset:64
	v_fma_f64 v[18:19], v[29:30], v[33:34], v[18:19]
	global_load_dwordx4 v[27:30], v[45:46], off offset:96
	s_waitcnt vmcnt(1)
	v_fma_f64 v[14:15], v[14:15], v[31:32], v[35:36]
	v_fma_f64 v[43:44], v[16:17], v[33:34], v[14:15]
	global_load_dwordx4 v[14:17], v[45:46], off offset:48
	s_waitcnt vmcnt(1)
	v_fma_f64 v[27:28], v[27:28], v[31:32], v[37:38]
	v_fma_f64 v[47:48], v[29:30], v[33:34], v[27:28]
	global_load_dwordx4 v[27:30], v[45:46], off offset:16
	global_load_dwordx4 v[31:34], v[39:40], off offset:16
	s_waitcnt vmcnt(0)
	v_fma_f64 v[27:28], v[27:28], v[31:32], v[41:42]
	v_fma_f64 v[14:15], v[14:15], v[31:32], v[18:19]
	;; [unrolled: 1-line block ×3, first 2 shown]
	global_load_dwordx4 v[27:30], v[45:46], off offset:80
	global_load_dwordx4 v[35:38], v[45:46], off offset:112
	global_load_dword v20, v[21:22], off offset:256
	v_fma_f64 v[18:19], v[16:17], v[33:34], v[14:15]
	global_load_dwordx4 v[14:17], v[51:52], off
	s_waitcnt vmcnt(3)
	v_fma_f64 v[27:28], v[27:28], v[31:32], v[43:44]
	s_waitcnt vmcnt(2)
	v_fma_f64 v[31:32], v[35:36], v[31:32], v[47:48]
	s_waitcnt vmcnt(1)
	v_subrev_u32_e32 v20, s16, v20
	v_fma_f64 v[41:42], v[29:30], v[33:34], v[27:28]
	v_fma_f64 v[35:36], v[37:38], v[33:34], v[31:32]
	v_lshlrev_b32_e32 v31, 2, v20
	v_ashrrev_i32_e32 v32, 31, v31
	v_lshlrev_b64 v[31:32], 3, v[31:32]
	global_load_dwordx4 v[27:30], v[51:52], off offset:32
	v_add_co_u32_e32 v43, vcc, s8, v31
	v_addc_co_u32_e32 v44, vcc, v26, v32, vcc
	global_load_dwordx4 v[31:34], v[43:44], off
	s_waitcnt vmcnt(0)
	v_fma_f64 v[14:15], v[14:15], v[31:32], v[39:40]
	v_fma_f64 v[18:19], v[27:28], v[31:32], v[18:19]
	;; [unrolled: 1-line block ×3, first 2 shown]
	global_load_dwordx4 v[14:17], v[51:52], off offset:64
	v_fma_f64 v[18:19], v[29:30], v[33:34], v[18:19]
	global_load_dwordx4 v[27:30], v[51:52], off offset:96
	s_waitcnt vmcnt(1)
	v_fma_f64 v[14:15], v[14:15], v[31:32], v[41:42]
	v_fma_f64 v[41:42], v[16:17], v[33:34], v[14:15]
	global_load_dwordx4 v[14:17], v[51:52], off offset:48
	s_waitcnt vmcnt(1)
	v_fma_f64 v[27:28], v[27:28], v[31:32], v[35:36]
	v_fma_f64 v[45:46], v[29:30], v[33:34], v[27:28]
	global_load_dwordx4 v[27:30], v[51:52], off offset:16
	global_load_dwordx4 v[31:34], v[51:52], off offset:80
	;; [unrolled: 1-line block ×3, first 2 shown]
	s_waitcnt vmcnt(0)
	v_fma_f64 v[27:28], v[27:28], v[35:36], v[39:40]
	v_fma_f64 v[14:15], v[14:15], v[35:36], v[18:19]
	;; [unrolled: 1-line block ×4, first 2 shown]
	global_load_dwordx4 v[27:30], v[51:52], off offset:112
	v_fma_f64 v[41:42], v[33:34], v[37:38], v[18:19]
	v_fma_f64 v[43:44], v[16:17], v[37:38], v[14:15]
	global_load_dwordx4 v[14:17], v[12:13], off
	global_load_dwordx4 v[31:34], v[12:13], off offset:32
	s_waitcnt vmcnt(2)
	v_fma_f64 v[18:19], v[27:28], v[35:36], v[45:46]
	v_fma_f64 v[35:36], v[29:30], v[37:38], v[18:19]
	global_load_dwordx4 v[27:30], v[12:13], off offset:64
	global_load_dword v18, v[21:22], off offset:384
	s_waitcnt vmcnt(0)
	v_subrev_u32_e32 v18, s16, v18
	v_lshlrev_b32_e32 v18, 2, v18
	v_ashrrev_i32_e32 v19, 31, v18
	v_lshlrev_b64 v[18:19], 3, v[18:19]
	v_add_co_u32_e32 v45, vcc, s8, v18
	v_addc_co_u32_e32 v46, vcc, v26, v19, vcc
	global_load_dwordx4 v[18:21], v[45:46], off
	v_add_co_u32_e32 v6, vcc, 0x4000, v6
	v_addc_co_u32_e32 v7, vcc, 0, v7, vcc
	s_waitcnt vmcnt(0)
	v_fma_f64 v[14:15], v[14:15], v[18:19], v[39:40]
	v_fma_f64 v[31:32], v[31:32], v[18:19], v[43:44]
	;; [unrolled: 1-line block ×4, first 2 shown]
	global_load_dwordx4 v[14:17], v[12:13], off offset:96
	v_fma_f64 v[43:44], v[33:34], v[20:21], v[31:32]
	global_load_dwordx4 v[31:34], v[12:13], off offset:48
	v_fma_f64 v[49:50], v[29:30], v[20:21], v[27:28]
	global_load_dwordx4 v[27:30], v[12:13], off offset:16
	s_waitcnt vmcnt(2)
	v_fma_f64 v[14:15], v[14:15], v[18:19], v[35:36]
	v_fma_f64 v[14:15], v[16:17], v[20:21], v[14:15]
	global_load_dwordx4 v[19:22], v[12:13], off offset:112
	global_load_dwordx4 v[35:38], v[12:13], off offset:80
	;; [unrolled: 1-line block ×3, first 2 shown]
	s_waitcnt vmcnt(0)
	v_fma_f64 v[12:13], v[27:28], v[39:40], v[47:48]
	v_fma_f64 v[16:17], v[31:32], v[39:40], v[43:44]
	;; [unrolled: 1-line block ×8, first 2 shown]
	s_andn2_b64 exec, exec, s[18:19]
	s_cbranch_execnz .LBB8_21
; %bb.22:
	s_or_b64 exec, exec, s[18:19]
.LBB8_23:
	s_or_b64 exec, exec, s[14:15]
.LBB8_24:
	s_or_b64 exec, exec, s[10:11]
	s_cbranch_execz .LBB8_26
	s_branch .LBB8_37
.LBB8_25:
                                        ; implicit-def: $vgpr13_vgpr14
                                        ; implicit-def: $vgpr15_vgpr16
                                        ; implicit-def: $vgpr17_vgpr18
                                        ; implicit-def: $vgpr19_vgpr20
.LBB8_26:
	v_mov_b32_e32 v13, 0
	v_mov_b32_e32 v15, 0
	;; [unrolled: 1-line block ×8, first 2 shown]
	s_and_saveexec_b64 s[6:7], s[0:1]
	s_cbranch_execz .LBB8_36
; %bb.27:
	v_add_u32_e32 v1, v25, v23
	v_subrev_u32_e32 v1, s16, v1
	v_add_u32_e32 v1, 32, v1
	v_max_i32_e32 v1, v1, v24
	v_not_b32_e32 v6, v25
	v_add3_u32 v1, s16, v1, v6
	v_sub_u32_e32 v6, v1, v23
	s_movk_i32 s0, 0x60
	v_and_b32_e32 v1, 0x60, v6
	v_mov_b32_e32 v19, 0
	v_mov_b32_e32 v17, 0
	;; [unrolled: 1-line block ×8, first 2 shown]
	v_cmp_ne_u32_e32 vcc, s0, v1
	s_and_saveexec_b64 s[2:3], vcc
	s_cbranch_execz .LBB8_31
; %bb.28:
	v_lshrrev_b32_e32 v1, 5, v6
	v_add_u32_e32 v1, 1, v1
	v_and_b32_e32 v1, 3, v1
	v_mov_b32_e32 v13, 0
	v_mov_b32_e32 v15, 0
	;; [unrolled: 1-line block ×4, first 2 shown]
	v_sub_u32_e32 v7, 0, v1
	v_mov_b32_e32 v14, 0
	s_mov_b64 s[10:11], 0
	v_mov_b32_e32 v11, s13
	v_mov_b32_e32 v16, 0
	;; [unrolled: 1-line block ×4, first 2 shown]
	s_waitcnt lgkmcnt(0)
	v_mov_b32_e32 v12, s9
.LBB8_29:                               ; =>This Inner Loop Header: Depth=1
	v_ashrrev_i32_e32 v1, 31, v0
	v_lshlrev_b64 v[21:22], 2, v[0:1]
	v_add_co_u32_e64 v7, s[0:1], 1, v7
	v_add_co_u32_e32 v21, vcc, s12, v21
	v_addc_co_u32_e32 v22, vcc, v11, v22, vcc
	global_load_dword v1, v[21:22], off
	global_load_dwordx4 v[25:28], v[4:5], off offset:16
	global_load_dwordx4 v[29:32], v[4:5], off
	s_or_b64 s[10:11], s[0:1], s[10:11]
	v_add_u32_e32 v0, 32, v0
	s_waitcnt vmcnt(2)
	v_subrev_u32_e32 v1, s16, v1
	v_lshlrev_b32_e32 v21, 2, v1
	v_ashrrev_i32_e32 v22, 31, v21
	v_lshlrev_b64 v[21:22], 3, v[21:22]
	v_add_co_u32_e32 v21, vcc, s8, v21
	v_addc_co_u32_e32 v22, vcc, v12, v22, vcc
	global_load_dwordx4 v[33:36], v[21:22], off
	global_load_dwordx4 v[37:40], v[4:5], off offset:32
	global_load_dwordx4 v[41:44], v[4:5], off offset:48
	;; [unrolled: 1-line block ×7, first 2 shown]
	v_add_co_u32_e32 v4, vcc, 0x1000, v4
	v_addc_co_u32_e32 v5, vcc, 0, v5, vcc
	s_waitcnt vmcnt(7)
	v_fma_f64 v[19:20], v[29:30], v[33:34], v[19:20]
	v_fma_f64 v[17:18], v[31:32], v[33:34], v[17:18]
	;; [unrolled: 1-line block ×4, first 2 shown]
	s_waitcnt vmcnt(6)
	v_fma_f64 v[19:20], v[37:38], v[35:36], v[19:20]
	v_fma_f64 v[17:18], v[39:40], v[35:36], v[17:18]
	s_waitcnt vmcnt(5)
	v_fma_f64 v[15:16], v[41:42], v[35:36], v[15:16]
	v_fma_f64 v[13:14], v[43:44], v[35:36], v[13:14]
	;; [unrolled: 3-line block ×3, first 2 shown]
	v_fma_f64 v[15:16], v[49:50], v[53:54], v[15:16]
	v_fma_f64 v[13:14], v[51:52], v[53:54], v[13:14]
	s_waitcnt vmcnt(1)
	v_fma_f64 v[19:20], v[57:58], v[55:56], v[19:20]
	v_fma_f64 v[17:18], v[59:60], v[55:56], v[17:18]
	s_waitcnt vmcnt(0)
	v_fma_f64 v[15:16], v[61:62], v[55:56], v[15:16]
	v_fma_f64 v[13:14], v[63:64], v[55:56], v[13:14]
	s_andn2_b64 exec, exec, s[10:11]
	s_cbranch_execnz .LBB8_29
; %bb.30:
	s_or_b64 exec, exec, s[10:11]
.LBB8_31:
	s_or_b64 exec, exec, s[2:3]
	s_movk_i32 s0, 0x5f
	v_cmp_lt_u32_e32 vcc, s0, v6
	s_and_saveexec_b64 s[10:11], vcc
	s_cbranch_execz .LBB8_35
; %bb.32:
	s_mov_b64 s[14:15], 0
	v_mov_b32_e32 v11, s13
	s_waitcnt lgkmcnt(0)
	v_mov_b32_e32 v12, s9
	s_movk_i32 s9, 0x1000
	s_movk_i32 s13, 0x2000
	;; [unrolled: 1-line block ×3, first 2 shown]
.LBB8_33:                               ; =>This Inner Loop Header: Depth=1
	v_ashrrev_i32_e32 v1, 31, v0
	v_lshlrev_b64 v[6:7], 2, v[0:1]
	global_load_dwordx4 v[25:28], v[4:5], off offset:32
	global_load_dwordx4 v[29:32], v[4:5], off offset:16
	global_load_dwordx4 v[33:36], v[4:5], off
	v_add_co_u32_e32 v6, vcc, s12, v6
	v_addc_co_u32_e32 v7, vcc, v11, v7, vcc
	global_load_dword v1, v[6:7], off
	v_add_u32_e32 v0, 0x80, v0
	s_waitcnt vmcnt(0)
	v_subrev_u32_e32 v1, s16, v1
	v_lshlrev_b32_e32 v21, 2, v1
	v_ashrrev_i32_e32 v22, 31, v21
	v_lshlrev_b64 v[21:22], 3, v[21:22]
	v_add_co_u32_e32 v21, vcc, s8, v21
	v_addc_co_u32_e32 v22, vcc, v12, v22, vcc
	global_load_dwordx4 v[37:40], v[21:22], off
	s_waitcnt vmcnt(0)
	v_fma_f64 v[33:34], v[33:34], v[37:38], v[19:20]
	v_fma_f64 v[35:36], v[35:36], v[37:38], v[17:18]
	global_load_dwordx4 v[17:20], v[4:5], off offset:48
	v_fma_f64 v[29:30], v[29:30], v[37:38], v[15:16]
	v_fma_f64 v[31:32], v[31:32], v[37:38], v[13:14]
	global_load_dwordx4 v[13:16], v[4:5], off offset:112
	;; [unrolled: 3-line block ×3, first 2 shown]
	s_waitcnt vmcnt(2)
	v_fma_f64 v[43:44], v[17:18], v[39:40], v[29:30]
	v_fma_f64 v[39:40], v[19:20], v[39:40], v[31:32]
	global_load_dwordx4 v[17:20], v[4:5], off offset:96
	global_load_dwordx4 v[29:32], v[4:5], off offset:80
	;; [unrolled: 1-line block ×3, first 2 shown]
	s_waitcnt vmcnt(0)
	v_fma_f64 v[21:22], v[25:26], v[33:34], v[37:38]
	v_fma_f64 v[25:26], v[27:28], v[33:34], v[41:42]
	;; [unrolled: 1-line block ×4, first 2 shown]
	v_add_co_u32_e32 v37, vcc, s13, v4
	v_add_co_u32_e64 v41, s[0:1], s9, v4
	v_addc_co_u32_e32 v38, vcc, 0, v5, vcc
	v_addc_co_u32_e64 v42, vcc, 0, v5, s[0:1]
	v_fma_f64 v[21:22], v[17:18], v[35:36], v[21:22]
	v_fma_f64 v[31:32], v[19:20], v[35:36], v[25:26]
	global_load_dwordx4 v[17:20], v[37:38], off offset:-4096
	v_fma_f64 v[33:34], v[13:14], v[35:36], v[27:28]
	v_fma_f64 v[29:30], v[15:16], v[35:36], v[29:30]
	global_load_dwordx4 v[13:16], v[41:42], off offset:16
	global_load_dword v1, v[6:7], off offset:128
	v_add_co_u32_e64 v39, s[2:3], s17, v4
	v_addc_co_u32_e64 v40, vcc, 0, v5, s[2:3]
	v_cmp_ge_i32_e64 s[0:1], v0, v24
	s_or_b64 s[14:15], s[0:1], s[14:15]
	s_waitcnt vmcnt(0)
	v_subrev_u32_e32 v1, s16, v1
	v_lshlrev_b32_e32 v25, 2, v1
	v_ashrrev_i32_e32 v26, 31, v25
	v_lshlrev_b64 v[25:26], 3, v[25:26]
	v_add_co_u32_e32 v35, vcc, s8, v25
	v_addc_co_u32_e32 v36, vcc, v12, v26, vcc
	global_load_dwordx4 v[25:28], v[35:36], off
	s_waitcnt vmcnt(0)
	v_fma_f64 v[21:22], v[17:18], v[25:26], v[21:22]
	v_fma_f64 v[31:32], v[19:20], v[25:26], v[31:32]
	global_load_dwordx4 v[17:20], v[41:42], off offset:32
	v_fma_f64 v[33:34], v[13:14], v[25:26], v[33:34]
	v_fma_f64 v[25:26], v[15:16], v[25:26], v[29:30]
	global_load_dwordx4 v[13:16], v[41:42], off offset:48
	s_waitcnt vmcnt(1)
	v_fma_f64 v[21:22], v[17:18], v[27:28], v[21:22]
	v_fma_f64 v[29:30], v[19:20], v[27:28], v[31:32]
	global_load_dwordx4 v[17:20], v[41:42], off offset:64
	s_waitcnt vmcnt(1)
	v_fma_f64 v[33:34], v[13:14], v[27:28], v[33:34]
	v_fma_f64 v[43:44], v[15:16], v[27:28], v[25:26]
	global_load_dwordx4 v[13:16], v[41:42], off offset:80
	global_load_dwordx4 v[25:28], v[35:36], off offset:16
	s_waitcnt vmcnt(0)
	v_fma_f64 v[21:22], v[17:18], v[25:26], v[21:22]
	v_fma_f64 v[35:36], v[19:20], v[25:26], v[29:30]
	global_load_dwordx4 v[17:20], v[41:42], off offset:96
	global_load_dwordx4 v[29:32], v[41:42], off offset:112
	global_load_dword v1, v[6:7], off offset:256
	v_fma_f64 v[33:34], v[13:14], v[25:26], v[33:34]
	v_fma_f64 v[25:26], v[15:16], v[25:26], v[43:44]
	global_load_dwordx4 v[13:16], v[37:38], off
	s_waitcnt vmcnt(3)
	v_fma_f64 v[21:22], v[17:18], v[27:28], v[21:22]
	s_waitcnt vmcnt(2)
	v_fma_f64 v[31:32], v[31:32], v[27:28], v[25:26]
	s_waitcnt vmcnt(1)
	v_subrev_u32_e32 v1, s16, v1
	v_lshlrev_b32_e32 v25, 2, v1
	v_ashrrev_i32_e32 v26, 31, v25
	v_lshlrev_b64 v[25:26], 3, v[25:26]
	v_fma_f64 v[29:30], v[29:30], v[27:28], v[33:34]
	v_add_co_u32_e32 v33, vcc, s8, v25
	v_addc_co_u32_e32 v34, vcc, v12, v26, vcc
	v_fma_f64 v[35:36], v[19:20], v[27:28], v[35:36]
	global_load_dwordx4 v[17:20], v[37:38], off offset:16
	global_load_dwordx4 v[25:28], v[33:34], off
	s_waitcnt vmcnt(0)
	v_fma_f64 v[21:22], v[13:14], v[25:26], v[21:22]
	v_fma_f64 v[35:36], v[15:16], v[25:26], v[35:36]
	global_load_dwordx4 v[13:16], v[37:38], off offset:32
	v_fma_f64 v[29:30], v[17:18], v[25:26], v[29:30]
	v_fma_f64 v[25:26], v[19:20], v[25:26], v[31:32]
	global_load_dwordx4 v[17:20], v[37:38], off offset:48
	s_waitcnt vmcnt(1)
	v_fma_f64 v[21:22], v[13:14], v[27:28], v[21:22]
	v_fma_f64 v[35:36], v[15:16], v[27:28], v[35:36]
	global_load_dwordx4 v[13:16], v[37:38], off offset:96
	s_waitcnt vmcnt(1)
	v_fma_f64 v[41:42], v[17:18], v[27:28], v[29:30]
	v_fma_f64 v[43:44], v[19:20], v[27:28], v[25:26]
	global_load_dwordx4 v[17:20], v[37:38], off offset:80
	global_load_dwordx4 v[25:28], v[37:38], off offset:64
	;; [unrolled: 1-line block ×3, first 2 shown]
	s_waitcnt vmcnt(0)
	v_fma_f64 v[21:22], v[25:26], v[29:30], v[21:22]
	v_fma_f64 v[33:34], v[27:28], v[29:30], v[35:36]
	global_load_dwordx4 v[25:28], v[37:38], off offset:112
	v_fma_f64 v[35:36], v[17:18], v[29:30], v[41:42]
	v_fma_f64 v[29:30], v[19:20], v[29:30], v[43:44]
	global_load_dwordx4 v[17:20], v[39:40], off
	v_fma_f64 v[21:22], v[13:14], v[31:32], v[21:22]
	v_fma_f64 v[33:34], v[15:16], v[31:32], v[33:34]
	global_load_dwordx4 v[13:16], v[39:40], off offset:16
	s_waitcnt vmcnt(2)
	v_fma_f64 v[35:36], v[25:26], v[31:32], v[35:36]
	v_fma_f64 v[37:38], v[27:28], v[31:32], v[29:30]
	global_load_dwordx4 v[25:28], v[39:40], off offset:32
	global_load_dword v1, v[6:7], off offset:384
	s_waitcnt vmcnt(0)
	v_subrev_u32_e32 v1, s16, v1
	v_lshlrev_b32_e32 v6, 2, v1
	v_ashrrev_i32_e32 v7, 31, v6
	v_lshlrev_b64 v[6:7], 3, v[6:7]
	v_add_co_u32_e32 v6, vcc, s8, v6
	v_addc_co_u32_e32 v7, vcc, v12, v7, vcc
	global_load_dwordx4 v[29:32], v[6:7], off
	v_add_co_u32_e32 v4, vcc, 0x4000, v4
	v_addc_co_u32_e32 v5, vcc, 0, v5, vcc
	s_waitcnt vmcnt(0)
	v_fma_f64 v[21:22], v[17:18], v[29:30], v[21:22]
	v_fma_f64 v[33:34], v[19:20], v[29:30], v[33:34]
	global_load_dwordx4 v[17:20], v[39:40], off offset:48
	v_fma_f64 v[41:42], v[13:14], v[29:30], v[35:36]
	v_fma_f64 v[29:30], v[15:16], v[29:30], v[37:38]
	global_load_dwordx4 v[13:16], v[39:40], off offset:64
	;; [unrolled: 3-line block ×3, first 2 shown]
	global_load_dwordx4 v[33:36], v[6:7], off offset:16
	s_waitcnt vmcnt(3)
	v_fma_f64 v[6:7], v[17:18], v[31:32], v[41:42]
	v_fma_f64 v[17:18], v[19:20], v[31:32], v[29:30]
	global_load_dwordx4 v[19:22], v[39:40], off offset:96
	global_load_dwordx4 v[29:32], v[39:40], off offset:112
	s_waitcnt vmcnt(2)
	v_fma_f64 v[13:14], v[13:14], v[33:34], v[37:38]
	v_fma_f64 v[15:16], v[15:16], v[33:34], v[43:44]
	;; [unrolled: 1-line block ×4, first 2 shown]
	s_waitcnt vmcnt(1)
	v_fma_f64 v[19:20], v[19:20], v[35:36], v[13:14]
	v_fma_f64 v[17:18], v[21:22], v[35:36], v[15:16]
	s_waitcnt vmcnt(0)
	v_fma_f64 v[15:16], v[29:30], v[35:36], v[6:7]
	v_fma_f64 v[13:14], v[31:32], v[35:36], v[25:26]
	s_andn2_b64 exec, exec, s[14:15]
	s_cbranch_execnz .LBB8_33
; %bb.34:
	s_or_b64 exec, exec, s[14:15]
.LBB8_35:
	s_or_b64 exec, exec, s[10:11]
.LBB8_36:
	s_or_b64 exec, exec, s[6:7]
.LBB8_37:
	v_mov_b32_dpp v0, v19 row_shr:1 row_mask:0xf bank_mask:0xf
	v_mov_b32_dpp v1, v20 row_shr:1 row_mask:0xf bank_mask:0xf
	v_add_f64 v[0:1], v[19:20], v[0:1]
	v_mov_b32_dpp v4, v17 row_shr:1 row_mask:0xf bank_mask:0xf
	v_mov_b32_dpp v5, v18 row_shr:1 row_mask:0xf bank_mask:0xf
	;; [unrolled: 1-line block ×3, first 2 shown]
	v_add_f64 v[4:5], v[17:18], v[4:5]
	v_mov_b32_dpp v7, v16 row_shr:1 row_mask:0xf bank_mask:0xf
	v_add_f64 v[6:7], v[15:16], v[6:7]
	v_cmp_eq_u32_e32 vcc, 31, v23
	v_mov_b32_dpp v11, v0 row_shr:2 row_mask:0xf bank_mask:0xf
	v_mov_b32_dpp v12, v1 row_shr:2 row_mask:0xf bank_mask:0xf
	v_add_f64 v[0:1], v[0:1], v[11:12]
	v_mov_b32_dpp v11, v13 row_shr:1 row_mask:0xf bank_mask:0xf
	v_mov_b32_dpp v12, v14 row_shr:1 row_mask:0xf bank_mask:0xf
	v_add_f64 v[11:12], v[13:14], v[11:12]
	;; [unrolled: 3-line block ×4, first 2 shown]
	v_mov_b32_dpp v15, v6 row_shr:2 row_mask:0xf bank_mask:0xf
	v_mov_b32_dpp v16, v7 row_shr:2 row_mask:0xf bank_mask:0xf
	;; [unrolled: 1-line block ×3, first 2 shown]
	v_add_f64 v[6:7], v[6:7], v[15:16]
	v_mov_b32_dpp v14, v12 row_shr:2 row_mask:0xf bank_mask:0xf
	v_add_f64 v[11:12], v[11:12], v[13:14]
	v_mov_b32_dpp v15, v4 row_shr:4 row_mask:0xf bank_mask:0xe
	v_mov_b32_dpp v16, v5 row_shr:4 row_mask:0xf bank_mask:0xe
	v_add_f64 v[4:5], v[4:5], v[15:16]
	v_mov_b32_dpp v13, v0 row_shr:8 row_mask:0xf bank_mask:0xc
	v_mov_b32_dpp v14, v1 row_shr:8 row_mask:0xf bank_mask:0xc
	v_mov_b32_dpp v15, v6 row_shr:4 row_mask:0xf bank_mask:0xe
	v_mov_b32_dpp v16, v7 row_shr:4 row_mask:0xf bank_mask:0xe
	v_add_f64 v[6:7], v[6:7], v[15:16]
	v_mov_b32_dpp v15, v11 row_shr:4 row_mask:0xf bank_mask:0xe
	v_mov_b32_dpp v16, v12 row_shr:4 row_mask:0xf bank_mask:0xe
	v_add_f64 v[11:12], v[11:12], v[15:16]
	v_add_f64 v[0:1], v[0:1], v[13:14]
	v_mov_b32_dpp v13, v4 row_shr:8 row_mask:0xf bank_mask:0xc
	v_mov_b32_dpp v14, v5 row_shr:8 row_mask:0xf bank_mask:0xc
	v_add_f64 v[4:5], v[4:5], v[13:14]
	v_mov_b32_dpp v13, v6 row_shr:8 row_mask:0xf bank_mask:0xc
	v_mov_b32_dpp v14, v7 row_shr:8 row_mask:0xf bank_mask:0xc
	;; [unrolled: 3-line block ×3, first 2 shown]
	v_add_f64 v[11:12], v[11:12], v[13:14]
	v_mov_b32_dpp v19, v0 row_bcast:15 row_mask:0xa bank_mask:0xf
	v_mov_b32_dpp v20, v1 row_bcast:15 row_mask:0xa bank_mask:0xf
	;; [unrolled: 1-line block ×8, first 2 shown]
	s_and_b64 exec, exec, vcc
	s_cbranch_execz .LBB8_10
; %bb.38:
	v_add_f64 v[0:1], v[0:1], v[19:20]
	v_add_f64 v[17:18], v[4:5], v[17:18]
	;; [unrolled: 1-line block ×4, first 2 shown]
	v_cmp_eq_f64_e32 vcc, 0, v[8:9]
	s_load_dwordx2 s[0:1], s[4:5], 0x50
	v_lshlrev_b32_e32 v10, 2, v10
	v_mul_f64 v[4:5], v[2:3], v[0:1]
	v_mul_f64 v[6:7], v[2:3], v[17:18]
	;; [unrolled: 1-line block ×4, first 2 shown]
	s_and_saveexec_b64 s[2:3], vcc
	s_xor_b64 s[2:3], exec, s[2:3]
	s_cbranch_execz .LBB8_40
; %bb.39:
	v_ashrrev_i32_e32 v11, 31, v10
	v_lshlrev_b64 v[8:9], 3, v[10:11]
	s_waitcnt lgkmcnt(0)
	v_mov_b32_e32 v10, s1
	v_add_co_u32_e32 v8, vcc, s0, v8
	v_addc_co_u32_e32 v9, vcc, v10, v9, vcc
	global_store_dwordx4 v[8:9], v[4:7], off
	global_store_dwordx4 v[8:9], v[0:3], off offset:16
                                        ; implicit-def: $vgpr10
                                        ; implicit-def: $vgpr8_vgpr9
                                        ; implicit-def: $vgpr4_vgpr5
                                        ; implicit-def: $vgpr0_vgpr1
.LBB8_40:
	s_andn2_saveexec_b64 s[2:3], s[2:3]
	s_cbranch_execz .LBB8_10
; %bb.41:
	v_ashrrev_i32_e32 v11, 31, v10
	v_lshlrev_b64 v[10:11], 3, v[10:11]
	s_waitcnt lgkmcnt(0)
	v_mov_b32_e32 v12, s1
	v_add_co_u32_e32 v18, vcc, s0, v10
	v_addc_co_u32_e32 v19, vcc, v12, v11, vcc
	global_load_dwordx4 v[10:13], v[18:19], off
	global_load_dwordx4 v[14:17], v[18:19], off offset:16
	s_waitcnt vmcnt(1)
	v_fma_f64 v[4:5], v[8:9], v[10:11], v[4:5]
	v_fma_f64 v[6:7], v[8:9], v[12:13], v[6:7]
	s_waitcnt vmcnt(0)
	v_fma_f64 v[0:1], v[8:9], v[14:15], v[0:1]
	v_fma_f64 v[2:3], v[8:9], v[16:17], v[2:3]
	global_store_dwordx4 v[18:19], v[4:7], off
	global_store_dwordx4 v[18:19], v[0:3], off offset:16
	s_endpgm
	.section	.rodata,"a",@progbits
	.p2align	6, 0x0
	.amdhsa_kernel _ZN9rocsparseL18bsrxmvn_4x4_kernelILj128ELj32EdiidddEEvT3_20rocsparse_direction_NS_24const_host_device_scalarIT1_EES1_PKS1_PKT2_SA_S7_PKT4_PKT5_S5_PT6_21rocsparse_index_base_b
		.amdhsa_group_segment_fixed_size 0
		.amdhsa_private_segment_fixed_size 0
		.amdhsa_kernarg_size 96
		.amdhsa_user_sgpr_count 6
		.amdhsa_user_sgpr_private_segment_buffer 1
		.amdhsa_user_sgpr_dispatch_ptr 0
		.amdhsa_user_sgpr_queue_ptr 0
		.amdhsa_user_sgpr_kernarg_segment_ptr 1
		.amdhsa_user_sgpr_dispatch_id 0
		.amdhsa_user_sgpr_flat_scratch_init 0
		.amdhsa_user_sgpr_private_segment_size 0
		.amdhsa_uses_dynamic_stack 0
		.amdhsa_system_sgpr_private_segment_wavefront_offset 0
		.amdhsa_system_sgpr_workgroup_id_x 1
		.amdhsa_system_sgpr_workgroup_id_y 0
		.amdhsa_system_sgpr_workgroup_id_z 0
		.amdhsa_system_sgpr_workgroup_info 0
		.amdhsa_system_vgpr_workitem_id 0
		.amdhsa_next_free_vgpr 65
		.amdhsa_next_free_sgpr 22
		.amdhsa_reserve_vcc 1
		.amdhsa_reserve_flat_scratch 0
		.amdhsa_float_round_mode_32 0
		.amdhsa_float_round_mode_16_64 0
		.amdhsa_float_denorm_mode_32 3
		.amdhsa_float_denorm_mode_16_64 3
		.amdhsa_dx10_clamp 1
		.amdhsa_ieee_mode 1
		.amdhsa_fp16_overflow 0
		.amdhsa_exception_fp_ieee_invalid_op 0
		.amdhsa_exception_fp_denorm_src 0
		.amdhsa_exception_fp_ieee_div_zero 0
		.amdhsa_exception_fp_ieee_overflow 0
		.amdhsa_exception_fp_ieee_underflow 0
		.amdhsa_exception_fp_ieee_inexact 0
		.amdhsa_exception_int_div_zero 0
	.end_amdhsa_kernel
	.section	.text._ZN9rocsparseL18bsrxmvn_4x4_kernelILj128ELj32EdiidddEEvT3_20rocsparse_direction_NS_24const_host_device_scalarIT1_EES1_PKS1_PKT2_SA_S7_PKT4_PKT5_S5_PT6_21rocsparse_index_base_b,"axG",@progbits,_ZN9rocsparseL18bsrxmvn_4x4_kernelILj128ELj32EdiidddEEvT3_20rocsparse_direction_NS_24const_host_device_scalarIT1_EES1_PKS1_PKT2_SA_S7_PKT4_PKT5_S5_PT6_21rocsparse_index_base_b,comdat
.Lfunc_end8:
	.size	_ZN9rocsparseL18bsrxmvn_4x4_kernelILj128ELj32EdiidddEEvT3_20rocsparse_direction_NS_24const_host_device_scalarIT1_EES1_PKS1_PKT2_SA_S7_PKT4_PKT5_S5_PT6_21rocsparse_index_base_b, .Lfunc_end8-_ZN9rocsparseL18bsrxmvn_4x4_kernelILj128ELj32EdiidddEEvT3_20rocsparse_direction_NS_24const_host_device_scalarIT1_EES1_PKS1_PKT2_SA_S7_PKT4_PKT5_S5_PT6_21rocsparse_index_base_b
                                        ; -- End function
	.set _ZN9rocsparseL18bsrxmvn_4x4_kernelILj128ELj32EdiidddEEvT3_20rocsparse_direction_NS_24const_host_device_scalarIT1_EES1_PKS1_PKT2_SA_S7_PKT4_PKT5_S5_PT6_21rocsparse_index_base_b.num_vgpr, 65
	.set _ZN9rocsparseL18bsrxmvn_4x4_kernelILj128ELj32EdiidddEEvT3_20rocsparse_direction_NS_24const_host_device_scalarIT1_EES1_PKS1_PKT2_SA_S7_PKT4_PKT5_S5_PT6_21rocsparse_index_base_b.num_agpr, 0
	.set _ZN9rocsparseL18bsrxmvn_4x4_kernelILj128ELj32EdiidddEEvT3_20rocsparse_direction_NS_24const_host_device_scalarIT1_EES1_PKS1_PKT2_SA_S7_PKT4_PKT5_S5_PT6_21rocsparse_index_base_b.numbered_sgpr, 22
	.set _ZN9rocsparseL18bsrxmvn_4x4_kernelILj128ELj32EdiidddEEvT3_20rocsparse_direction_NS_24const_host_device_scalarIT1_EES1_PKS1_PKT2_SA_S7_PKT4_PKT5_S5_PT6_21rocsparse_index_base_b.num_named_barrier, 0
	.set _ZN9rocsparseL18bsrxmvn_4x4_kernelILj128ELj32EdiidddEEvT3_20rocsparse_direction_NS_24const_host_device_scalarIT1_EES1_PKS1_PKT2_SA_S7_PKT4_PKT5_S5_PT6_21rocsparse_index_base_b.private_seg_size, 0
	.set _ZN9rocsparseL18bsrxmvn_4x4_kernelILj128ELj32EdiidddEEvT3_20rocsparse_direction_NS_24const_host_device_scalarIT1_EES1_PKS1_PKT2_SA_S7_PKT4_PKT5_S5_PT6_21rocsparse_index_base_b.uses_vcc, 1
	.set _ZN9rocsparseL18bsrxmvn_4x4_kernelILj128ELj32EdiidddEEvT3_20rocsparse_direction_NS_24const_host_device_scalarIT1_EES1_PKS1_PKT2_SA_S7_PKT4_PKT5_S5_PT6_21rocsparse_index_base_b.uses_flat_scratch, 0
	.set _ZN9rocsparseL18bsrxmvn_4x4_kernelILj128ELj32EdiidddEEvT3_20rocsparse_direction_NS_24const_host_device_scalarIT1_EES1_PKS1_PKT2_SA_S7_PKT4_PKT5_S5_PT6_21rocsparse_index_base_b.has_dyn_sized_stack, 0
	.set _ZN9rocsparseL18bsrxmvn_4x4_kernelILj128ELj32EdiidddEEvT3_20rocsparse_direction_NS_24const_host_device_scalarIT1_EES1_PKS1_PKT2_SA_S7_PKT4_PKT5_S5_PT6_21rocsparse_index_base_b.has_recursion, 0
	.set _ZN9rocsparseL18bsrxmvn_4x4_kernelILj128ELj32EdiidddEEvT3_20rocsparse_direction_NS_24const_host_device_scalarIT1_EES1_PKS1_PKT2_SA_S7_PKT4_PKT5_S5_PT6_21rocsparse_index_base_b.has_indirect_call, 0
	.section	.AMDGPU.csdata,"",@progbits
; Kernel info:
; codeLenInByte = 4700
; TotalNumSgprs: 26
; NumVgprs: 65
; ScratchSize: 0
; MemoryBound: 1
; FloatMode: 240
; IeeeMode: 1
; LDSByteSize: 0 bytes/workgroup (compile time only)
; SGPRBlocks: 3
; VGPRBlocks: 16
; NumSGPRsForWavesPerEU: 26
; NumVGPRsForWavesPerEU: 65
; Occupancy: 3
; WaveLimiterHint : 1
; COMPUTE_PGM_RSRC2:SCRATCH_EN: 0
; COMPUTE_PGM_RSRC2:USER_SGPR: 6
; COMPUTE_PGM_RSRC2:TRAP_HANDLER: 0
; COMPUTE_PGM_RSRC2:TGID_X_EN: 1
; COMPUTE_PGM_RSRC2:TGID_Y_EN: 0
; COMPUTE_PGM_RSRC2:TGID_Z_EN: 0
; COMPUTE_PGM_RSRC2:TIDIG_COMP_CNT: 0
	.section	.text._ZN9rocsparseL18bsrxmvn_4x4_kernelILj128ELj64EdiidddEEvT3_20rocsparse_direction_NS_24const_host_device_scalarIT1_EES1_PKS1_PKT2_SA_S7_PKT4_PKT5_S5_PT6_21rocsparse_index_base_b,"axG",@progbits,_ZN9rocsparseL18bsrxmvn_4x4_kernelILj128ELj64EdiidddEEvT3_20rocsparse_direction_NS_24const_host_device_scalarIT1_EES1_PKS1_PKT2_SA_S7_PKT4_PKT5_S5_PT6_21rocsparse_index_base_b,comdat
	.globl	_ZN9rocsparseL18bsrxmvn_4x4_kernelILj128ELj64EdiidddEEvT3_20rocsparse_direction_NS_24const_host_device_scalarIT1_EES1_PKS1_PKT2_SA_S7_PKT4_PKT5_S5_PT6_21rocsparse_index_base_b ; -- Begin function _ZN9rocsparseL18bsrxmvn_4x4_kernelILj128ELj64EdiidddEEvT3_20rocsparse_direction_NS_24const_host_device_scalarIT1_EES1_PKS1_PKT2_SA_S7_PKT4_PKT5_S5_PT6_21rocsparse_index_base_b
	.p2align	8
	.type	_ZN9rocsparseL18bsrxmvn_4x4_kernelILj128ELj64EdiidddEEvT3_20rocsparse_direction_NS_24const_host_device_scalarIT1_EES1_PKS1_PKT2_SA_S7_PKT4_PKT5_S5_PT6_21rocsparse_index_base_b,@function
_ZN9rocsparseL18bsrxmvn_4x4_kernelILj128ELj64EdiidddEEvT3_20rocsparse_direction_NS_24const_host_device_scalarIT1_EES1_PKS1_PKT2_SA_S7_PKT4_PKT5_S5_PT6_21rocsparse_index_base_b: ; @_ZN9rocsparseL18bsrxmvn_4x4_kernelILj128ELj64EdiidddEEvT3_20rocsparse_direction_NS_24const_host_device_scalarIT1_EES1_PKS1_PKT2_SA_S7_PKT4_PKT5_S5_PT6_21rocsparse_index_base_b
; %bb.0:
	s_load_dwordx2 s[16:17], s[4:5], 0x58
	s_load_dwordx2 s[8:9], s[4:5], 0x8
	;; [unrolled: 1-line block ×3, first 2 shown]
	s_waitcnt lgkmcnt(0)
	s_bitcmp1_b32 s17, 0
	s_cselect_b64 s[10:11], -1, 0
	v_mov_b32_e32 v2, s8
	s_xor_b64 s[2:3], s[10:11], -1
	s_and_b64 vcc, exec, s[10:11]
	v_mov_b32_e32 v3, s9
	s_cbranch_vccnz .LBB9_2
; %bb.1:
	v_mov_b32_e32 v1, s8
	v_mov_b32_e32 v2, s9
	flat_load_dwordx2 v[2:3], v[1:2]
.LBB9_2:
	v_mov_b32_e32 v9, s1
	s_andn2_b64 vcc, exec, s[2:3]
	v_mov_b32_e32 v8, s0
	s_cbranch_vccnz .LBB9_4
; %bb.3:
	v_mov_b32_e32 v5, s1
	v_mov_b32_e32 v4, s0
	flat_load_dwordx2 v[8:9], v[4:5]
.LBB9_4:
	s_waitcnt vmcnt(0) lgkmcnt(0)
	v_cmp_neq_f64_e32 vcc, 0, v[2:3]
	v_cmp_neq_f64_e64 s[0:1], 1.0, v[8:9]
	s_mov_b64 s[2:3], 0
	s_or_b64 s[0:1], vcc, s[0:1]
	s_and_saveexec_b64 s[8:9], s[0:1]
	s_cbranch_execz .LBB9_10
; %bb.5:
	s_load_dwordx2 s[8:9], s[4:5], 0x18
	s_load_dwordx2 s[0:1], s[4:5], 0x0
	v_lshrrev_b32_e32 v1, 6, v0
	v_lshl_or_b32 v10, s6, 1, v1
	s_mov_b64 s[6:7], 0
	s_waitcnt lgkmcnt(0)
	s_cmp_lg_u64 s[8:9], 0
	s_cbranch_scc0 .LBB9_11
; %bb.6:
	s_load_dword s2, s[4:5], 0x10
                                        ; implicit-def: $vgpr1
	s_waitcnt lgkmcnt(0)
	v_cmp_gt_i32_e32 vcc, s2, v10
	s_and_saveexec_b64 s[2:3], vcc
	s_xor_b64 s[2:3], exec, s[2:3]
	s_cbranch_execz .LBB9_8
; %bb.7:
	v_ashrrev_i32_e32 v11, 31, v10
	v_lshlrev_b64 v[4:5], 2, v[10:11]
	v_mov_b32_e32 v1, s9
	v_add_co_u32_e32 v4, vcc, s8, v4
	v_addc_co_u32_e32 v5, vcc, v1, v5, vcc
	global_load_dword v1, v[4:5], off
	s_mov_b64 s[6:7], exec
	s_waitcnt vmcnt(0)
	v_subrev_u32_e32 v1, s16, v1
.LBB9_8:
	s_or_b64 exec, exec, s[2:3]
	s_mov_b64 s[2:3], s[6:7]
	s_branch .LBB9_12
.LBB9_9:
	v_cmp_gt_i32_e32 vcc, s0, v10
	s_andn2_b64 s[2:3], s[2:3], exec
	s_and_b64 s[6:7], vcc, exec
	s_or_b64 s[2:3], s[2:3], s[6:7]
	s_and_b64 exec, exec, s[2:3]
	s_cbranch_execnz .LBB9_13
.LBB9_10:
	s_endpgm
.LBB9_11:
                                        ; implicit-def: $vgpr1
	s_cbranch_execnz .LBB9_9
.LBB9_12:
	v_mov_b32_e32 v10, v1
	s_and_b64 exec, exec, s[2:3]
	s_cbranch_execz .LBB9_10
.LBB9_13:
	s_load_dwordx8 s[8:15], s[4:5], 0x20
	v_ashrrev_i32_e32 v11, 31, v10
	v_lshlrev_b64 v[4:5], 2, v[10:11]
	v_and_b32_e32 v23, 63, v0
	s_waitcnt lgkmcnt(0)
	v_mov_b32_e32 v1, s9
	v_add_co_u32_e32 v6, vcc, s8, v4
	v_addc_co_u32_e32 v7, vcc, v1, v5, vcc
	v_add_co_u32_e32 v1, vcc, 4, v6
	global_load_dword v25, v[6:7], off
	v_addc_co_u32_e32 v6, vcc, 0, v7, vcc
	v_mov_b32_e32 v7, s11
	v_add_co_u32_e32 v4, vcc, s10, v4
	s_cmp_eq_u64 s[10:11], 0
	v_addc_co_u32_e32 v5, vcc, v7, v5, vcc
	s_cselect_b64 vcc, -1, 0
	v_cndmask_b32_e32 v5, v5, v6, vcc
	v_cndmask_b32_e32 v4, v4, v1, vcc
	global_load_dword v1, v[4:5], off
	s_load_dwordx2 s[8:9], s[4:5], 0x40
	v_mov_b32_e32 v6, s15
	s_cmp_eq_u32 s1, 1
	s_waitcnt vmcnt(1)
	v_subrev_u32_e32 v0, s16, v25
	v_add_u32_e32 v0, v0, v23
	s_waitcnt vmcnt(0)
	v_subrev_u32_e32 v24, s16, v1
	v_ashrrev_i32_e32 v1, 31, v0
	v_lshlrev_b64 v[4:5], 7, v[0:1]
	v_cmp_lt_i32_e64 s[0:1], v0, v24
	v_add_co_u32_e32 v4, vcc, s14, v4
	v_addc_co_u32_e32 v5, vcc, v6, v5, vcc
	s_cbranch_scc1 .LBB9_25
; %bb.14:
	v_mov_b32_e32 v13, 0
	v_mov_b32_e32 v15, 0
	;; [unrolled: 1-line block ×8, first 2 shown]
	s_and_saveexec_b64 s[10:11], s[0:1]
	s_cbranch_execz .LBB9_24
; %bb.15:
	v_add_u32_e32 v1, v25, v23
	v_subrev_u32_e32 v1, s16, v1
	v_add_u32_e32 v1, 64, v1
	v_max_i32_e32 v1, v1, v24
	v_not_b32_e32 v6, v25
	v_add3_u32 v1, s16, v1, v6
	v_sub_u32_e32 v1, v1, v23
	s_movk_i32 s2, 0xc0
	v_and_b32_e32 v6, 0xc0, v1
	v_cmp_ne_u32_e32 vcc, s2, v6
	v_mov_b32_e32 v21, 0
	v_mov_b32_e32 v19, 0
	;; [unrolled: 1-line block ×11, first 2 shown]
	s_and_saveexec_b64 s[6:7], vcc
	s_cbranch_execz .LBB9_19
; %bb.16:
	v_lshrrev_b32_e32 v6, 6, v1
	v_add_u32_e32 v6, 1, v6
	v_and_b32_e32 v6, 3, v6
	v_sub_u32_e32 v17, 0, v6
	v_mov_b32_e32 v13, 0
	v_mov_b32_e32 v7, v5
	;; [unrolled: 1-line block ×6, first 2 shown]
	s_mov_b64 s[14:15], 0
	v_mov_b32_e32 v18, s13
	s_waitcnt lgkmcnt(0)
	v_mov_b32_e32 v26, s9
	v_mov_b32_e32 v6, v4
	;; [unrolled: 1-line block ×6, first 2 shown]
.LBB9_17:                               ; =>This Inner Loop Header: Depth=1
	v_ashrrev_i32_e32 v12, 31, v11
	v_lshlrev_b64 v[47:48], 2, v[11:12]
	global_load_dwordx4 v[27:30], v[6:7], off offset:32
	global_load_dwordx4 v[31:34], v[6:7], off offset:64
	;; [unrolled: 1-line block ×3, first 2 shown]
	global_load_dwordx4 v[39:42], v[6:7], off
	global_load_dwordx4 v[43:46], v[6:7], off offset:16
	v_add_co_u32_e32 v47, vcc, s12, v47
	v_addc_co_u32_e32 v48, vcc, v18, v48, vcc
	global_load_dword v12, v[47:48], off
	v_add_co_u32_e64 v17, s[2:3], 1, v17
	s_or_b64 s[14:15], s[2:3], s[14:15]
	v_add_u32_e32 v11, 64, v11
	s_waitcnt vmcnt(0)
	v_subrev_u32_e32 v12, s16, v12
	v_lshlrev_b32_e32 v47, 2, v12
	v_ashrrev_i32_e32 v48, 31, v47
	v_lshlrev_b64 v[47:48], 3, v[47:48]
	v_add_co_u32_e32 v55, vcc, s8, v47
	v_addc_co_u32_e32 v56, vcc, v26, v48, vcc
	global_load_dwordx4 v[47:50], v[55:56], off
	global_load_dwordx4 v[51:54], v[55:56], off offset:16
	s_waitcnt vmcnt(1)
	v_fma_f64 v[21:22], v[39:40], v[47:48], v[21:22]
	v_fma_f64 v[19:20], v[27:28], v[47:48], v[19:20]
	;; [unrolled: 1-line block ×5, first 2 shown]
	global_load_dwordx4 v[39:42], v[6:7], off offset:48
	v_fma_f64 v[19:20], v[29:30], v[49:50], v[19:20]
	global_load_dwordx4 v[27:30], v[6:7], off offset:80
	v_fma_f64 v[15:16], v[33:34], v[49:50], v[15:16]
	;; [unrolled: 2-line block ×3, first 2 shown]
	v_add_co_u32_e32 v6, vcc, 0x2000, v6
	s_waitcnt vmcnt(3)
	v_fma_f64 v[21:22], v[43:44], v[51:52], v[21:22]
	v_addc_co_u32_e32 v7, vcc, 0, v7, vcc
	v_fma_f64 v[21:22], v[45:46], v[53:54], v[21:22]
	s_waitcnt vmcnt(2)
	v_fma_f64 v[19:20], v[39:40], v[51:52], v[19:20]
	s_waitcnt vmcnt(1)
	;; [unrolled: 2-line block ×3, first 2 shown]
	v_fma_f64 v[12:13], v[31:32], v[51:52], v[12:13]
	v_fma_f64 v[19:20], v[41:42], v[53:54], v[19:20]
	;; [unrolled: 1-line block ×4, first 2 shown]
	s_andn2_b64 exec, exec, s[14:15]
	s_cbranch_execnz .LBB9_17
; %bb.18:
	s_or_b64 exec, exec, s[14:15]
.LBB9_19:
	s_or_b64 exec, exec, s[6:7]
	s_movk_i32 s2, 0xbf
	v_cmp_lt_u32_e32 vcc, s2, v1
	s_and_saveexec_b64 s[14:15], vcc
	s_cbranch_execz .LBB9_23
; %bb.20:
	s_mov_b64 s[18:19], 0
	v_mov_b32_e32 v1, s13
	s_waitcnt lgkmcnt(0)
	v_mov_b32_e32 v26, s9
	s_movk_i32 s17, 0x2000
	s_movk_i32 s20, 0x4000
	;; [unrolled: 1-line block ×3, first 2 shown]
.LBB9_21:                               ; =>This Inner Loop Header: Depth=1
	v_ashrrev_i32_e32 v12, 31, v11
	v_lshlrev_b64 v[17:18], 2, v[11:12]
	global_load_dwordx4 v[27:30], v[6:7], off offset:32
	global_load_dwordx4 v[31:34], v[6:7], off
	global_load_dwordx4 v[35:38], v[6:7], off offset:64
	v_add_co_u32_e32 v17, vcc, s12, v17
	v_addc_co_u32_e32 v18, vcc, v1, v18, vcc
	global_load_dword v12, v[17:18], off
	v_add_co_u32_e64 v51, s[2:3], s20, v6
	v_add_u32_e32 v11, 0x100, v11
	s_waitcnt vmcnt(0)
	v_subrev_u32_e32 v12, s16, v12
	v_lshlrev_b32_e32 v39, 2, v12
	v_ashrrev_i32_e32 v40, 31, v39
	v_lshlrev_b64 v[39:40], 3, v[39:40]
	v_add_co_u32_e32 v43, vcc, s8, v39
	v_addc_co_u32_e32 v44, vcc, v26, v40, vcc
	global_load_dwordx4 v[39:42], v[43:44], off
	s_waitcnt vmcnt(0)
	v_fma_f64 v[21:22], v[31:32], v[39:40], v[21:22]
	v_fma_f64 v[19:20], v[27:28], v[39:40], v[19:20]
	;; [unrolled: 1-line block ×4, first 2 shown]
	global_load_dwordx4 v[31:34], v[6:7], off offset:96
	v_fma_f64 v[47:48], v[29:30], v[41:42], v[19:20]
	global_load_dwordx4 v[19:22], v[6:7], off offset:48
	global_load_dwordx4 v[27:30], v[6:7], off offset:16
	v_fma_f64 v[15:16], v[37:38], v[41:42], v[15:16]
	s_waitcnt vmcnt(2)
	v_fma_f64 v[12:13], v[31:32], v[39:40], v[13:14]
	v_fma_f64 v[49:50], v[33:34], v[41:42], v[12:13]
	global_load_dwordx4 v[31:34], v[6:7], off offset:112
	global_load_dwordx4 v[35:38], v[6:7], off offset:80
	;; [unrolled: 1-line block ×3, first 2 shown]
	s_waitcnt vmcnt(0)
	v_fma_f64 v[12:13], v[27:28], v[39:40], v[45:46]
	v_fma_f64 v[27:28], v[31:32], v[39:40], v[49:50]
	v_add_co_u32_e32 v45, vcc, s17, v6
	v_addc_co_u32_e32 v46, vcc, 0, v7, vcc
	v_fma_f64 v[14:15], v[35:36], v[39:40], v[15:16]
	v_addc_co_u32_e64 v52, vcc, 0, v7, s[2:3]
	v_fma_f64 v[43:44], v[29:30], v[41:42], v[12:13]
	v_fma_f64 v[12:13], v[19:20], v[39:40], v[47:48]
	;; [unrolled: 1-line block ×3, first 2 shown]
	v_cmp_ge_i32_e64 s[2:3], v11, v24
	s_or_b64 s[18:19], s[2:3], s[18:19]
	v_fma_f64 v[14:15], v[37:38], v[41:42], v[14:15]
	v_fma_f64 v[47:48], v[21:22], v[41:42], v[12:13]
	global_load_dwordx4 v[19:22], v[45:46], off
	global_load_dwordx4 v[27:30], v[45:46], off offset:32
	global_load_dword v16, v[17:18], off offset:256
	v_add_co_u32_e64 v12, s[6:7], s21, v6
	v_addc_co_u32_e64 v13, vcc, 0, v7, s[6:7]
	s_waitcnt vmcnt(0)
	v_subrev_u32_e32 v16, s16, v16
	v_lshlrev_b32_e32 v31, 2, v16
	v_ashrrev_i32_e32 v32, 31, v31
	v_lshlrev_b64 v[31:32], 3, v[31:32]
	v_add_co_u32_e32 v37, vcc, s8, v31
	v_addc_co_u32_e32 v38, vcc, v26, v32, vcc
	global_load_dwordx4 v[31:34], v[37:38], off
	s_waitcnt vmcnt(0)
	v_fma_f64 v[19:20], v[19:20], v[31:32], v[43:44]
	v_fma_f64 v[27:28], v[27:28], v[31:32], v[47:48]
	;; [unrolled: 1-line block ×3, first 2 shown]
	global_load_dwordx4 v[19:22], v[45:46], off offset:64
	v_fma_f64 v[41:42], v[29:30], v[33:34], v[27:28]
	global_load_dwordx4 v[27:30], v[45:46], off offset:96
	s_waitcnt vmcnt(1)
	v_fma_f64 v[14:15], v[19:20], v[31:32], v[14:15]
	v_fma_f64 v[14:15], v[21:22], v[33:34], v[14:15]
	global_load_dwordx4 v[19:22], v[45:46], off offset:48
	s_waitcnt vmcnt(1)
	v_fma_f64 v[27:28], v[27:28], v[31:32], v[35:36]
	v_fma_f64 v[43:44], v[29:30], v[33:34], v[27:28]
	global_load_dwordx4 v[27:30], v[45:46], off offset:16
	global_load_dwordx4 v[31:34], v[37:38], off offset:16
	s_waitcnt vmcnt(0)
	v_fma_f64 v[27:28], v[27:28], v[31:32], v[39:40]
	v_fma_f64 v[19:20], v[19:20], v[31:32], v[41:42]
	;; [unrolled: 1-line block ×3, first 2 shown]
	global_load_dwordx4 v[27:30], v[45:46], off offset:80
	global_load_dwordx4 v[35:38], v[45:46], off offset:112
	global_load_dword v16, v[17:18], off offset:512
	v_fma_f64 v[41:42], v[21:22], v[33:34], v[19:20]
	global_load_dwordx4 v[19:22], v[51:52], off
	s_waitcnt vmcnt(3)
	v_fma_f64 v[14:15], v[27:28], v[31:32], v[14:15]
	s_waitcnt vmcnt(2)
	v_fma_f64 v[31:32], v[35:36], v[31:32], v[43:44]
	s_waitcnt vmcnt(1)
	v_subrev_u32_e32 v16, s16, v16
	v_fma_f64 v[14:15], v[29:30], v[33:34], v[14:15]
	v_fma_f64 v[35:36], v[37:38], v[33:34], v[31:32]
	v_lshlrev_b32_e32 v31, 2, v16
	v_ashrrev_i32_e32 v32, 31, v31
	v_lshlrev_b64 v[31:32], 3, v[31:32]
	global_load_dwordx4 v[27:30], v[51:52], off offset:32
	v_add_co_u32_e32 v43, vcc, s8, v31
	v_addc_co_u32_e32 v44, vcc, v26, v32, vcc
	global_load_dwordx4 v[31:34], v[43:44], off
	s_waitcnt vmcnt(0)
	v_fma_f64 v[19:20], v[19:20], v[31:32], v[39:40]
	v_fma_f64 v[27:28], v[27:28], v[31:32], v[41:42]
	;; [unrolled: 1-line block ×3, first 2 shown]
	global_load_dwordx4 v[19:22], v[51:52], off offset:64
	v_fma_f64 v[41:42], v[29:30], v[33:34], v[27:28]
	global_load_dwordx4 v[27:30], v[51:52], off offset:96
	s_waitcnt vmcnt(1)
	v_fma_f64 v[14:15], v[19:20], v[31:32], v[14:15]
	v_fma_f64 v[14:15], v[21:22], v[33:34], v[14:15]
	global_load_dwordx4 v[19:22], v[51:52], off offset:48
	s_waitcnt vmcnt(1)
	v_fma_f64 v[27:28], v[27:28], v[31:32], v[35:36]
	v_fma_f64 v[45:46], v[29:30], v[33:34], v[27:28]
	global_load_dwordx4 v[27:30], v[51:52], off offset:16
	global_load_dwordx4 v[31:34], v[51:52], off offset:80
	;; [unrolled: 1-line block ×3, first 2 shown]
	s_waitcnt vmcnt(0)
	v_fma_f64 v[27:28], v[27:28], v[35:36], v[39:40]
	v_fma_f64 v[14:15], v[31:32], v[35:36], v[14:15]
	;; [unrolled: 1-line block ×4, first 2 shown]
	global_load_dwordx4 v[27:30], v[51:52], off offset:112
	v_fma_f64 v[43:44], v[33:34], v[37:38], v[14:15]
	v_fma_f64 v[41:42], v[21:22], v[37:38], v[19:20]
	global_load_dwordx4 v[19:22], v[12:13], off
	global_load_dwordx4 v[31:34], v[12:13], off offset:32
	s_waitcnt vmcnt(2)
	v_fma_f64 v[14:15], v[27:28], v[35:36], v[45:46]
	v_fma_f64 v[35:36], v[29:30], v[37:38], v[14:15]
	global_load_dwordx4 v[27:30], v[12:13], off offset:64
	global_load_dword v14, v[17:18], off offset:768
	s_waitcnt vmcnt(0)
	v_subrev_u32_e32 v14, s16, v14
	v_lshlrev_b32_e32 v14, 2, v14
	v_ashrrev_i32_e32 v15, 31, v14
	v_lshlrev_b64 v[14:15], 3, v[14:15]
	v_add_co_u32_e32 v45, vcc, s8, v14
	v_addc_co_u32_e32 v46, vcc, v26, v15, vcc
	global_load_dwordx4 v[14:17], v[45:46], off
	v_add_co_u32_e32 v6, vcc, 0x8000, v6
	v_addc_co_u32_e32 v7, vcc, 0, v7, vcc
	s_waitcnt vmcnt(0)
	v_fma_f64 v[18:19], v[19:20], v[14:15], v[39:40]
	v_fma_f64 v[31:32], v[31:32], v[14:15], v[41:42]
	;; [unrolled: 1-line block ×4, first 2 shown]
	global_load_dwordx4 v[18:21], v[12:13], off offset:96
	v_fma_f64 v[49:50], v[33:34], v[16:17], v[31:32]
	global_load_dwordx4 v[31:34], v[12:13], off offset:48
	v_fma_f64 v[43:44], v[29:30], v[16:17], v[27:28]
	global_load_dwordx4 v[27:30], v[12:13], off offset:16
	s_waitcnt vmcnt(2)
	v_fma_f64 v[14:15], v[18:19], v[14:15], v[35:36]
	v_fma_f64 v[19:20], v[20:21], v[16:17], v[14:15]
	global_load_dwordx4 v[15:18], v[12:13], off offset:112
	global_load_dwordx4 v[35:38], v[12:13], off offset:80
	global_load_dwordx4 v[39:42], v[45:46], off offset:16
	s_waitcnt vmcnt(0)
	v_fma_f64 v[12:13], v[27:28], v[39:40], v[47:48]
	v_fma_f64 v[27:28], v[31:32], v[39:40], v[49:50]
	;; [unrolled: 1-line block ×8, first 2 shown]
	s_andn2_b64 exec, exec, s[18:19]
	s_cbranch_execnz .LBB9_21
; %bb.22:
	s_or_b64 exec, exec, s[18:19]
.LBB9_23:
	s_or_b64 exec, exec, s[14:15]
.LBB9_24:
	s_or_b64 exec, exec, s[10:11]
	s_cbranch_execz .LBB9_26
	s_branch .LBB9_37
.LBB9_25:
                                        ; implicit-def: $vgpr13_vgpr14
                                        ; implicit-def: $vgpr15_vgpr16
                                        ; implicit-def: $vgpr19_vgpr20
                                        ; implicit-def: $vgpr21_vgpr22
.LBB9_26:
	v_mov_b32_e32 v13, 0
	v_mov_b32_e32 v15, 0
	;; [unrolled: 1-line block ×8, first 2 shown]
	s_and_saveexec_b64 s[6:7], s[0:1]
	s_cbranch_execz .LBB9_36
; %bb.27:
	v_add_u32_e32 v1, v25, v23
	v_subrev_u32_e32 v1, s16, v1
	v_add_u32_e32 v1, 64, v1
	v_max_i32_e32 v1, v1, v24
	v_not_b32_e32 v6, v25
	v_add3_u32 v1, s16, v1, v6
	v_sub_u32_e32 v6, v1, v23
	s_movk_i32 s0, 0xc0
	v_and_b32_e32 v1, 0xc0, v6
	v_mov_b32_e32 v21, 0
	v_mov_b32_e32 v19, 0
	;; [unrolled: 1-line block ×8, first 2 shown]
	v_cmp_ne_u32_e32 vcc, s0, v1
	s_and_saveexec_b64 s[2:3], vcc
	s_cbranch_execz .LBB9_31
; %bb.28:
	v_lshrrev_b32_e32 v1, 6, v6
	v_add_u32_e32 v1, 1, v1
	v_and_b32_e32 v1, 3, v1
	v_mov_b32_e32 v13, 0
	v_mov_b32_e32 v15, 0
	;; [unrolled: 1-line block ×4, first 2 shown]
	v_sub_u32_e32 v7, 0, v1
	v_mov_b32_e32 v14, 0
	s_mov_b64 s[10:11], 0
	v_mov_b32_e32 v11, s13
	v_mov_b32_e32 v16, 0
	;; [unrolled: 1-line block ×4, first 2 shown]
	s_waitcnt lgkmcnt(0)
	v_mov_b32_e32 v12, s9
.LBB9_29:                               ; =>This Inner Loop Header: Depth=1
	v_ashrrev_i32_e32 v1, 31, v0
	v_lshlrev_b64 v[17:18], 2, v[0:1]
	v_add_co_u32_e64 v7, s[0:1], 1, v7
	v_add_co_u32_e32 v17, vcc, s12, v17
	v_addc_co_u32_e32 v18, vcc, v11, v18, vcc
	global_load_dword v1, v[17:18], off
	global_load_dwordx4 v[25:28], v[4:5], off offset:16
	global_load_dwordx4 v[29:32], v[4:5], off
	s_or_b64 s[10:11], s[0:1], s[10:11]
	v_add_u32_e32 v0, 64, v0
	s_waitcnt vmcnt(2)
	v_subrev_u32_e32 v1, s16, v1
	v_lshlrev_b32_e32 v17, 2, v1
	v_ashrrev_i32_e32 v18, 31, v17
	v_lshlrev_b64 v[17:18], 3, v[17:18]
	v_add_co_u32_e32 v17, vcc, s8, v17
	v_addc_co_u32_e32 v18, vcc, v12, v18, vcc
	global_load_dwordx4 v[33:36], v[17:18], off
	global_load_dwordx4 v[37:40], v[4:5], off offset:32
	global_load_dwordx4 v[41:44], v[4:5], off offset:48
	;; [unrolled: 1-line block ×7, first 2 shown]
	v_add_co_u32_e32 v4, vcc, 0x2000, v4
	v_addc_co_u32_e32 v5, vcc, 0, v5, vcc
	s_waitcnt vmcnt(7)
	v_fma_f64 v[17:18], v[29:30], v[33:34], v[21:22]
	v_fma_f64 v[19:20], v[31:32], v[33:34], v[19:20]
	;; [unrolled: 1-line block ×4, first 2 shown]
	s_waitcnt vmcnt(6)
	v_fma_f64 v[17:18], v[37:38], v[35:36], v[17:18]
	v_fma_f64 v[19:20], v[39:40], v[35:36], v[19:20]
	s_waitcnt vmcnt(5)
	v_fma_f64 v[15:16], v[41:42], v[35:36], v[15:16]
	v_fma_f64 v[13:14], v[43:44], v[35:36], v[13:14]
	;; [unrolled: 3-line block ×3, first 2 shown]
	v_fma_f64 v[15:16], v[49:50], v[53:54], v[15:16]
	v_fma_f64 v[13:14], v[51:52], v[53:54], v[13:14]
	s_waitcnt vmcnt(1)
	v_fma_f64 v[21:22], v[57:58], v[55:56], v[17:18]
	v_fma_f64 v[19:20], v[59:60], v[55:56], v[19:20]
	s_waitcnt vmcnt(0)
	v_fma_f64 v[15:16], v[61:62], v[55:56], v[15:16]
	v_fma_f64 v[13:14], v[63:64], v[55:56], v[13:14]
	s_andn2_b64 exec, exec, s[10:11]
	s_cbranch_execnz .LBB9_29
; %bb.30:
	s_or_b64 exec, exec, s[10:11]
.LBB9_31:
	s_or_b64 exec, exec, s[2:3]
	s_movk_i32 s0, 0xbf
	v_cmp_lt_u32_e32 vcc, s0, v6
	s_and_saveexec_b64 s[10:11], vcc
	s_cbranch_execz .LBB9_35
; %bb.32:
	s_mov_b64 s[14:15], 0
	v_mov_b32_e32 v11, s13
	s_waitcnt lgkmcnt(0)
	v_mov_b32_e32 v12, s9
	s_movk_i32 s9, 0x2000
	s_movk_i32 s13, 0x4000
	;; [unrolled: 1-line block ×3, first 2 shown]
.LBB9_33:                               ; =>This Inner Loop Header: Depth=1
	v_ashrrev_i32_e32 v1, 31, v0
	v_lshlrev_b64 v[6:7], 2, v[0:1]
	global_load_dwordx4 v[25:28], v[4:5], off offset:32
	global_load_dwordx4 v[29:32], v[4:5], off offset:16
	global_load_dwordx4 v[33:36], v[4:5], off
	v_add_co_u32_e32 v6, vcc, s12, v6
	v_addc_co_u32_e32 v7, vcc, v11, v7, vcc
	global_load_dword v1, v[6:7], off
	v_add_u32_e32 v0, 0x100, v0
	s_waitcnt vmcnt(0)
	v_subrev_u32_e32 v1, s16, v1
	v_lshlrev_b32_e32 v17, 2, v1
	v_ashrrev_i32_e32 v18, 31, v17
	v_lshlrev_b64 v[17:18], 3, v[17:18]
	v_add_co_u32_e32 v41, vcc, s8, v17
	v_addc_co_u32_e32 v42, vcc, v12, v18, vcc
	global_load_dwordx4 v[37:40], v[41:42], off
	s_waitcnt vmcnt(0)
	v_fma_f64 v[21:22], v[33:34], v[37:38], v[21:22]
	v_fma_f64 v[33:34], v[35:36], v[37:38], v[19:20]
	global_load_dwordx4 v[17:20], v[4:5], off offset:48
	v_fma_f64 v[29:30], v[29:30], v[37:38], v[15:16]
	v_fma_f64 v[31:32], v[31:32], v[37:38], v[13:14]
	global_load_dwordx4 v[13:16], v[4:5], off offset:112
	;; [unrolled: 3-line block ×3, first 2 shown]
	s_waitcnt vmcnt(2)
	v_fma_f64 v[43:44], v[17:18], v[39:40], v[29:30]
	v_fma_f64 v[39:40], v[19:20], v[39:40], v[31:32]
	global_load_dwordx4 v[17:20], v[4:5], off offset:80
	global_load_dwordx4 v[29:32], v[4:5], off offset:64
	;; [unrolled: 1-line block ×3, first 2 shown]
	v_add_co_u32_e64 v41, s[0:1], s13, v4
	s_waitcnt vmcnt(0)
	v_fma_f64 v[21:22], v[29:30], v[33:34], v[21:22]
	v_fma_f64 v[29:30], v[31:32], v[33:34], v[37:38]
	;; [unrolled: 1-line block ×4, first 2 shown]
	v_add_co_u32_e32 v37, vcc, s9, v4
	v_addc_co_u32_e32 v38, vcc, 0, v5, vcc
	global_load_dwordx4 v[17:20], v[37:38], off
	v_fma_f64 v[21:22], v[25:26], v[35:36], v[21:22]
	v_fma_f64 v[31:32], v[13:14], v[35:36], v[31:32]
	;; [unrolled: 1-line block ×3, first 2 shown]
	global_load_dwordx4 v[13:16], v[37:38], off offset:16
	global_load_dword v1, v[6:7], off offset:256
	v_add_co_u32_e64 v39, s[2:3], s17, v4
	v_addc_co_u32_e64 v42, vcc, 0, v5, s[0:1]
	v_addc_co_u32_e64 v40, vcc, 0, v5, s[2:3]
	v_fma_f64 v[29:30], v[27:28], v[35:36], v[29:30]
	v_cmp_ge_i32_e64 s[0:1], v0, v24
	s_or_b64 s[14:15], s[0:1], s[14:15]
	s_waitcnt vmcnt(0)
	v_subrev_u32_e32 v1, s16, v1
	v_lshlrev_b32_e32 v25, 2, v1
	v_ashrrev_i32_e32 v26, 31, v25
	v_lshlrev_b64 v[25:26], 3, v[25:26]
	v_add_co_u32_e32 v35, vcc, s8, v25
	v_addc_co_u32_e32 v36, vcc, v12, v26, vcc
	global_load_dwordx4 v[25:28], v[35:36], off
	s_waitcnt vmcnt(0)
	v_fma_f64 v[21:22], v[17:18], v[25:26], v[21:22]
	v_fma_f64 v[29:30], v[19:20], v[25:26], v[29:30]
	global_load_dwordx4 v[17:20], v[37:38], off offset:32
	v_fma_f64 v[31:32], v[13:14], v[25:26], v[31:32]
	v_fma_f64 v[25:26], v[15:16], v[25:26], v[33:34]
	global_load_dwordx4 v[13:16], v[37:38], off offset:48
	s_waitcnt vmcnt(1)
	v_fma_f64 v[21:22], v[17:18], v[27:28], v[21:22]
	v_fma_f64 v[29:30], v[19:20], v[27:28], v[29:30]
	global_load_dwordx4 v[17:20], v[37:38], off offset:80
	s_waitcnt vmcnt(1)
	v_fma_f64 v[33:34], v[13:14], v[27:28], v[31:32]
	v_fma_f64 v[43:44], v[15:16], v[27:28], v[25:26]
	global_load_dwordx4 v[13:16], v[37:38], off offset:64
	global_load_dwordx4 v[25:28], v[35:36], off offset:16
	s_waitcnt vmcnt(0)
	v_fma_f64 v[21:22], v[13:14], v[25:26], v[21:22]
	v_fma_f64 v[35:36], v[15:16], v[25:26], v[29:30]
	global_load_dwordx4 v[13:16], v[37:38], off offset:96
	global_load_dwordx4 v[29:32], v[37:38], off offset:112
	global_load_dword v1, v[6:7], off offset:512
	v_fma_f64 v[33:34], v[17:18], v[25:26], v[33:34]
	v_fma_f64 v[25:26], v[19:20], v[25:26], v[43:44]
	global_load_dwordx4 v[17:20], v[41:42], off
	s_waitcnt vmcnt(3)
	v_fma_f64 v[21:22], v[13:14], v[27:28], v[21:22]
	s_waitcnt vmcnt(2)
	v_fma_f64 v[31:32], v[31:32], v[27:28], v[25:26]
	s_waitcnt vmcnt(1)
	v_subrev_u32_e32 v1, s16, v1
	v_lshlrev_b32_e32 v25, 2, v1
	v_ashrrev_i32_e32 v26, 31, v25
	v_lshlrev_b64 v[25:26], 3, v[25:26]
	v_fma_f64 v[29:30], v[29:30], v[27:28], v[33:34]
	v_add_co_u32_e32 v33, vcc, s8, v25
	v_addc_co_u32_e32 v34, vcc, v12, v26, vcc
	v_fma_f64 v[35:36], v[15:16], v[27:28], v[35:36]
	global_load_dwordx4 v[13:16], v[41:42], off offset:16
	global_load_dwordx4 v[25:28], v[33:34], off
	s_waitcnt vmcnt(0)
	v_fma_f64 v[21:22], v[17:18], v[25:26], v[21:22]
	v_fma_f64 v[35:36], v[19:20], v[25:26], v[35:36]
	global_load_dwordx4 v[17:20], v[41:42], off offset:32
	v_fma_f64 v[29:30], v[13:14], v[25:26], v[29:30]
	v_fma_f64 v[25:26], v[15:16], v[25:26], v[31:32]
	global_load_dwordx4 v[13:16], v[41:42], off offset:48
	s_waitcnt vmcnt(1)
	v_fma_f64 v[21:22], v[17:18], v[27:28], v[21:22]
	v_fma_f64 v[35:36], v[19:20], v[27:28], v[35:36]
	global_load_dwordx4 v[17:20], v[41:42], off offset:96
	s_waitcnt vmcnt(1)
	v_fma_f64 v[37:38], v[13:14], v[27:28], v[29:30]
	v_fma_f64 v[43:44], v[15:16], v[27:28], v[25:26]
	global_load_dwordx4 v[13:16], v[41:42], off offset:80
	global_load_dwordx4 v[25:28], v[41:42], off offset:64
	global_load_dwordx4 v[29:32], v[33:34], off offset:16
	s_waitcnt vmcnt(0)
	v_fma_f64 v[21:22], v[25:26], v[29:30], v[21:22]
	v_fma_f64 v[33:34], v[27:28], v[29:30], v[35:36]
	global_load_dwordx4 v[25:28], v[41:42], off offset:112
	v_fma_f64 v[35:36], v[13:14], v[29:30], v[37:38]
	v_fma_f64 v[29:30], v[15:16], v[29:30], v[43:44]
	global_load_dwordx4 v[13:16], v[39:40], off
	v_fma_f64 v[21:22], v[17:18], v[31:32], v[21:22]
	v_fma_f64 v[33:34], v[19:20], v[31:32], v[33:34]
	global_load_dwordx4 v[17:20], v[39:40], off offset:16
	s_waitcnt vmcnt(2)
	v_fma_f64 v[35:36], v[25:26], v[31:32], v[35:36]
	v_fma_f64 v[37:38], v[27:28], v[31:32], v[29:30]
	global_load_dwordx4 v[25:28], v[39:40], off offset:32
	global_load_dword v1, v[6:7], off offset:768
	s_waitcnt vmcnt(0)
	v_subrev_u32_e32 v1, s16, v1
	v_lshlrev_b32_e32 v6, 2, v1
	v_ashrrev_i32_e32 v7, 31, v6
	v_lshlrev_b64 v[6:7], 3, v[6:7]
	v_add_co_u32_e32 v6, vcc, s8, v6
	v_addc_co_u32_e32 v7, vcc, v12, v7, vcc
	global_load_dwordx4 v[29:32], v[6:7], off
	v_add_co_u32_e32 v4, vcc, 0x8000, v4
	v_addc_co_u32_e32 v5, vcc, 0, v5, vcc
	s_waitcnt vmcnt(0)
	v_fma_f64 v[21:22], v[13:14], v[29:30], v[21:22]
	v_fma_f64 v[33:34], v[15:16], v[29:30], v[33:34]
	global_load_dwordx4 v[13:16], v[39:40], off offset:48
	v_fma_f64 v[41:42], v[17:18], v[29:30], v[35:36]
	v_fma_f64 v[29:30], v[19:20], v[29:30], v[37:38]
	global_load_dwordx4 v[17:20], v[39:40], off offset:64
	v_fma_f64 v[21:22], v[25:26], v[31:32], v[21:22]
	v_fma_f64 v[37:38], v[27:28], v[31:32], v[33:34]
	global_load_dwordx4 v[25:28], v[39:40], off offset:80
	global_load_dwordx4 v[33:36], v[6:7], off offset:16
	s_waitcnt vmcnt(3)
	v_fma_f64 v[6:7], v[13:14], v[31:32], v[41:42]
	v_fma_f64 v[41:42], v[15:16], v[31:32], v[29:30]
	global_load_dwordx4 v[13:16], v[39:40], off offset:96
	global_load_dwordx4 v[29:32], v[39:40], off offset:112
	s_waitcnt vmcnt(2)
	v_fma_f64 v[17:18], v[17:18], v[33:34], v[21:22]
	v_fma_f64 v[19:20], v[19:20], v[33:34], v[37:38]
	;; [unrolled: 1-line block ×4, first 2 shown]
	s_waitcnt vmcnt(1)
	v_fma_f64 v[21:22], v[13:14], v[35:36], v[17:18]
	v_fma_f64 v[19:20], v[15:16], v[35:36], v[19:20]
	s_waitcnt vmcnt(0)
	v_fma_f64 v[15:16], v[29:30], v[35:36], v[6:7]
	v_fma_f64 v[13:14], v[31:32], v[35:36], v[25:26]
	s_andn2_b64 exec, exec, s[14:15]
	s_cbranch_execnz .LBB9_33
; %bb.34:
	s_or_b64 exec, exec, s[14:15]
.LBB9_35:
	s_or_b64 exec, exec, s[10:11]
.LBB9_36:
	s_or_b64 exec, exec, s[6:7]
.LBB9_37:
	v_mov_b32_dpp v0, v21 row_shr:1 row_mask:0xf bank_mask:0xf
	v_mov_b32_dpp v1, v22 row_shr:1 row_mask:0xf bank_mask:0xf
	v_add_f64 v[0:1], v[21:22], v[0:1]
	v_mov_b32_dpp v4, v19 row_shr:1 row_mask:0xf bank_mask:0xf
	v_mov_b32_dpp v5, v20 row_shr:1 row_mask:0xf bank_mask:0xf
	v_add_f64 v[4:5], v[19:20], v[4:5]
	;; [unrolled: 3-line block ×3, first 2 shown]
	v_cmp_eq_u32_e32 vcc, 63, v23
	v_mov_b32_dpp v6, v0 row_shr:2 row_mask:0xf bank_mask:0xf
	v_mov_b32_dpp v7, v1 row_shr:2 row_mask:0xf bank_mask:0xf
	v_add_f64 v[0:1], v[0:1], v[6:7]
	v_mov_b32_dpp v6, v15 row_shr:1 row_mask:0xf bank_mask:0xf
	v_mov_b32_dpp v7, v16 row_shr:1 row_mask:0xf bank_mask:0xf
	v_add_f64 v[6:7], v[15:16], v[6:7]
	v_mov_b32_dpp v13, v4 row_shr:2 row_mask:0xf bank_mask:0xf
	v_mov_b32_dpp v14, v0 row_shr:4 row_mask:0xf bank_mask:0xe
	v_mov_b32_dpp v15, v1 row_shr:4 row_mask:0xf bank_mask:0xe
	v_add_f64 v[0:1], v[0:1], v[14:15]
	v_mov_b32_dpp v14, v5 row_shr:2 row_mask:0xf bank_mask:0xf
	;; [unrolled: 4-line block ×3, first 2 shown]
	v_add_f64 v[6:7], v[6:7], v[15:16]
	v_mov_b32_dpp v14, v12 row_shr:2 row_mask:0xf bank_mask:0xf
	v_add_f64 v[11:12], v[11:12], v[13:14]
	v_mov_b32_dpp v15, v0 row_shr:8 row_mask:0xf bank_mask:0xc
	v_mov_b32_dpp v16, v1 row_shr:8 row_mask:0xf bank_mask:0xc
	v_add_f64 v[0:1], v[0:1], v[15:16]
	v_mov_b32_dpp v13, v4 row_shr:4 row_mask:0xf bank_mask:0xe
	v_mov_b32_dpp v14, v5 row_shr:4 row_mask:0xf bank_mask:0xe
	;; [unrolled: 1-line block ×3, first 2 shown]
	v_add_f64 v[4:5], v[4:5], v[13:14]
	v_mov_b32_dpp v16, v7 row_shr:4 row_mask:0xf bank_mask:0xe
	v_add_f64 v[6:7], v[6:7], v[15:16]
	v_mov_b32_dpp v14, v11 row_shr:4 row_mask:0xf bank_mask:0xe
	v_mov_b32_dpp v15, v12 row_shr:4 row_mask:0xf bank_mask:0xe
	v_add_f64 v[11:12], v[11:12], v[14:15]
	v_mov_b32_dpp v13, v0 row_bcast:15 row_mask:0xa bank_mask:0xf
	v_mov_b32_dpp v14, v1 row_bcast:15 row_mask:0xa bank_mask:0xf
	v_mov_b32_dpp v15, v4 row_shr:8 row_mask:0xf bank_mask:0xc
	v_mov_b32_dpp v16, v5 row_shr:8 row_mask:0xf bank_mask:0xc
	v_add_f64 v[4:5], v[4:5], v[15:16]
	v_mov_b32_dpp v15, v6 row_shr:8 row_mask:0xf bank_mask:0xc
	v_mov_b32_dpp v16, v7 row_shr:8 row_mask:0xf bank_mask:0xc
	v_add_f64 v[6:7], v[6:7], v[15:16]
	;; [unrolled: 3-line block ×3, first 2 shown]
	v_add_f64 v[0:1], v[0:1], v[13:14]
	v_mov_b32_dpp v13, v4 row_bcast:15 row_mask:0xa bank_mask:0xf
	v_mov_b32_dpp v14, v5 row_bcast:15 row_mask:0xa bank_mask:0xf
	v_add_f64 v[4:5], v[4:5], v[13:14]
	v_mov_b32_dpp v13, v6 row_bcast:15 row_mask:0xa bank_mask:0xf
	v_mov_b32_dpp v14, v7 row_bcast:15 row_mask:0xa bank_mask:0xf
	;; [unrolled: 3-line block ×4, first 2 shown]
	v_mov_b32_dpp v17, v4 row_bcast:31 row_mask:0xc bank_mask:0xf
	v_mov_b32_dpp v18, v5 row_bcast:31 row_mask:0xc bank_mask:0xf
	;; [unrolled: 1-line block ×6, first 2 shown]
	s_and_b64 exec, exec, vcc
	s_cbranch_execz .LBB9_10
; %bb.38:
	v_add_f64 v[0:1], v[0:1], v[19:20]
	v_add_f64 v[17:18], v[4:5], v[17:18]
	;; [unrolled: 1-line block ×4, first 2 shown]
	v_cmp_eq_f64_e32 vcc, 0, v[8:9]
	s_load_dwordx2 s[0:1], s[4:5], 0x50
	v_lshlrev_b32_e32 v10, 2, v10
	v_mul_f64 v[4:5], v[2:3], v[0:1]
	v_mul_f64 v[6:7], v[2:3], v[17:18]
	;; [unrolled: 1-line block ×4, first 2 shown]
	s_and_saveexec_b64 s[2:3], vcc
	s_xor_b64 s[2:3], exec, s[2:3]
	s_cbranch_execz .LBB9_40
; %bb.39:
	v_ashrrev_i32_e32 v11, 31, v10
	v_lshlrev_b64 v[8:9], 3, v[10:11]
	s_waitcnt lgkmcnt(0)
	v_mov_b32_e32 v10, s1
	v_add_co_u32_e32 v8, vcc, s0, v8
	v_addc_co_u32_e32 v9, vcc, v10, v9, vcc
	global_store_dwordx4 v[8:9], v[4:7], off
	global_store_dwordx4 v[8:9], v[0:3], off offset:16
                                        ; implicit-def: $vgpr10
                                        ; implicit-def: $vgpr8_vgpr9
                                        ; implicit-def: $vgpr4_vgpr5
                                        ; implicit-def: $vgpr0_vgpr1
.LBB9_40:
	s_andn2_saveexec_b64 s[2:3], s[2:3]
	s_cbranch_execz .LBB9_10
; %bb.41:
	v_ashrrev_i32_e32 v11, 31, v10
	v_lshlrev_b64 v[10:11], 3, v[10:11]
	s_waitcnt lgkmcnt(0)
	v_mov_b32_e32 v12, s1
	v_add_co_u32_e32 v18, vcc, s0, v10
	v_addc_co_u32_e32 v19, vcc, v12, v11, vcc
	global_load_dwordx4 v[10:13], v[18:19], off
	global_load_dwordx4 v[14:17], v[18:19], off offset:16
	s_waitcnt vmcnt(1)
	v_fma_f64 v[4:5], v[8:9], v[10:11], v[4:5]
	v_fma_f64 v[6:7], v[8:9], v[12:13], v[6:7]
	s_waitcnt vmcnt(0)
	v_fma_f64 v[0:1], v[8:9], v[14:15], v[0:1]
	v_fma_f64 v[2:3], v[8:9], v[16:17], v[2:3]
	global_store_dwordx4 v[18:19], v[4:7], off
	global_store_dwordx4 v[18:19], v[0:3], off offset:16
	s_endpgm
	.section	.rodata,"a",@progbits
	.p2align	6, 0x0
	.amdhsa_kernel _ZN9rocsparseL18bsrxmvn_4x4_kernelILj128ELj64EdiidddEEvT3_20rocsparse_direction_NS_24const_host_device_scalarIT1_EES1_PKS1_PKT2_SA_S7_PKT4_PKT5_S5_PT6_21rocsparse_index_base_b
		.amdhsa_group_segment_fixed_size 0
		.amdhsa_private_segment_fixed_size 0
		.amdhsa_kernarg_size 96
		.amdhsa_user_sgpr_count 6
		.amdhsa_user_sgpr_private_segment_buffer 1
		.amdhsa_user_sgpr_dispatch_ptr 0
		.amdhsa_user_sgpr_queue_ptr 0
		.amdhsa_user_sgpr_kernarg_segment_ptr 1
		.amdhsa_user_sgpr_dispatch_id 0
		.amdhsa_user_sgpr_flat_scratch_init 0
		.amdhsa_user_sgpr_private_segment_size 0
		.amdhsa_uses_dynamic_stack 0
		.amdhsa_system_sgpr_private_segment_wavefront_offset 0
		.amdhsa_system_sgpr_workgroup_id_x 1
		.amdhsa_system_sgpr_workgroup_id_y 0
		.amdhsa_system_sgpr_workgroup_id_z 0
		.amdhsa_system_sgpr_workgroup_info 0
		.amdhsa_system_vgpr_workitem_id 0
		.amdhsa_next_free_vgpr 65
		.amdhsa_next_free_sgpr 22
		.amdhsa_reserve_vcc 1
		.amdhsa_reserve_flat_scratch 0
		.amdhsa_float_round_mode_32 0
		.amdhsa_float_round_mode_16_64 0
		.amdhsa_float_denorm_mode_32 3
		.amdhsa_float_denorm_mode_16_64 3
		.amdhsa_dx10_clamp 1
		.amdhsa_ieee_mode 1
		.amdhsa_fp16_overflow 0
		.amdhsa_exception_fp_ieee_invalid_op 0
		.amdhsa_exception_fp_denorm_src 0
		.amdhsa_exception_fp_ieee_div_zero 0
		.amdhsa_exception_fp_ieee_overflow 0
		.amdhsa_exception_fp_ieee_underflow 0
		.amdhsa_exception_fp_ieee_inexact 0
		.amdhsa_exception_int_div_zero 0
	.end_amdhsa_kernel
	.section	.text._ZN9rocsparseL18bsrxmvn_4x4_kernelILj128ELj64EdiidddEEvT3_20rocsparse_direction_NS_24const_host_device_scalarIT1_EES1_PKS1_PKT2_SA_S7_PKT4_PKT5_S5_PT6_21rocsparse_index_base_b,"axG",@progbits,_ZN9rocsparseL18bsrxmvn_4x4_kernelILj128ELj64EdiidddEEvT3_20rocsparse_direction_NS_24const_host_device_scalarIT1_EES1_PKS1_PKT2_SA_S7_PKT4_PKT5_S5_PT6_21rocsparse_index_base_b,comdat
.Lfunc_end9:
	.size	_ZN9rocsparseL18bsrxmvn_4x4_kernelILj128ELj64EdiidddEEvT3_20rocsparse_direction_NS_24const_host_device_scalarIT1_EES1_PKS1_PKT2_SA_S7_PKT4_PKT5_S5_PT6_21rocsparse_index_base_b, .Lfunc_end9-_ZN9rocsparseL18bsrxmvn_4x4_kernelILj128ELj64EdiidddEEvT3_20rocsparse_direction_NS_24const_host_device_scalarIT1_EES1_PKS1_PKT2_SA_S7_PKT4_PKT5_S5_PT6_21rocsparse_index_base_b
                                        ; -- End function
	.set _ZN9rocsparseL18bsrxmvn_4x4_kernelILj128ELj64EdiidddEEvT3_20rocsparse_direction_NS_24const_host_device_scalarIT1_EES1_PKS1_PKT2_SA_S7_PKT4_PKT5_S5_PT6_21rocsparse_index_base_b.num_vgpr, 65
	.set _ZN9rocsparseL18bsrxmvn_4x4_kernelILj128ELj64EdiidddEEvT3_20rocsparse_direction_NS_24const_host_device_scalarIT1_EES1_PKS1_PKT2_SA_S7_PKT4_PKT5_S5_PT6_21rocsparse_index_base_b.num_agpr, 0
	.set _ZN9rocsparseL18bsrxmvn_4x4_kernelILj128ELj64EdiidddEEvT3_20rocsparse_direction_NS_24const_host_device_scalarIT1_EES1_PKS1_PKT2_SA_S7_PKT4_PKT5_S5_PT6_21rocsparse_index_base_b.numbered_sgpr, 22
	.set _ZN9rocsparseL18bsrxmvn_4x4_kernelILj128ELj64EdiidddEEvT3_20rocsparse_direction_NS_24const_host_device_scalarIT1_EES1_PKS1_PKT2_SA_S7_PKT4_PKT5_S5_PT6_21rocsparse_index_base_b.num_named_barrier, 0
	.set _ZN9rocsparseL18bsrxmvn_4x4_kernelILj128ELj64EdiidddEEvT3_20rocsparse_direction_NS_24const_host_device_scalarIT1_EES1_PKS1_PKT2_SA_S7_PKT4_PKT5_S5_PT6_21rocsparse_index_base_b.private_seg_size, 0
	.set _ZN9rocsparseL18bsrxmvn_4x4_kernelILj128ELj64EdiidddEEvT3_20rocsparse_direction_NS_24const_host_device_scalarIT1_EES1_PKS1_PKT2_SA_S7_PKT4_PKT5_S5_PT6_21rocsparse_index_base_b.uses_vcc, 1
	.set _ZN9rocsparseL18bsrxmvn_4x4_kernelILj128ELj64EdiidddEEvT3_20rocsparse_direction_NS_24const_host_device_scalarIT1_EES1_PKS1_PKT2_SA_S7_PKT4_PKT5_S5_PT6_21rocsparse_index_base_b.uses_flat_scratch, 0
	.set _ZN9rocsparseL18bsrxmvn_4x4_kernelILj128ELj64EdiidddEEvT3_20rocsparse_direction_NS_24const_host_device_scalarIT1_EES1_PKS1_PKT2_SA_S7_PKT4_PKT5_S5_PT6_21rocsparse_index_base_b.has_dyn_sized_stack, 0
	.set _ZN9rocsparseL18bsrxmvn_4x4_kernelILj128ELj64EdiidddEEvT3_20rocsparse_direction_NS_24const_host_device_scalarIT1_EES1_PKS1_PKT2_SA_S7_PKT4_PKT5_S5_PT6_21rocsparse_index_base_b.has_recursion, 0
	.set _ZN9rocsparseL18bsrxmvn_4x4_kernelILj128ELj64EdiidddEEvT3_20rocsparse_direction_NS_24const_host_device_scalarIT1_EES1_PKS1_PKT2_SA_S7_PKT4_PKT5_S5_PT6_21rocsparse_index_base_b.has_indirect_call, 0
	.section	.AMDGPU.csdata,"",@progbits
; Kernel info:
; codeLenInByte = 4796
; TotalNumSgprs: 26
; NumVgprs: 65
; ScratchSize: 0
; MemoryBound: 1
; FloatMode: 240
; IeeeMode: 1
; LDSByteSize: 0 bytes/workgroup (compile time only)
; SGPRBlocks: 3
; VGPRBlocks: 16
; NumSGPRsForWavesPerEU: 26
; NumVGPRsForWavesPerEU: 65
; Occupancy: 3
; WaveLimiterHint : 1
; COMPUTE_PGM_RSRC2:SCRATCH_EN: 0
; COMPUTE_PGM_RSRC2:USER_SGPR: 6
; COMPUTE_PGM_RSRC2:TRAP_HANDLER: 0
; COMPUTE_PGM_RSRC2:TGID_X_EN: 1
; COMPUTE_PGM_RSRC2:TGID_Y_EN: 0
; COMPUTE_PGM_RSRC2:TGID_Z_EN: 0
; COMPUTE_PGM_RSRC2:TIDIG_COMP_CNT: 0
	.section	.text._ZN9rocsparseL18bsrxmvn_4x4_kernelILj128ELj4E21rocsparse_complex_numIfEiiS2_S2_S2_EEvT3_20rocsparse_direction_NS_24const_host_device_scalarIT1_EES3_PKS3_PKT2_SC_S9_PKT4_PKT5_S7_PT6_21rocsparse_index_base_b,"axG",@progbits,_ZN9rocsparseL18bsrxmvn_4x4_kernelILj128ELj4E21rocsparse_complex_numIfEiiS2_S2_S2_EEvT3_20rocsparse_direction_NS_24const_host_device_scalarIT1_EES3_PKS3_PKT2_SC_S9_PKT4_PKT5_S7_PT6_21rocsparse_index_base_b,comdat
	.globl	_ZN9rocsparseL18bsrxmvn_4x4_kernelILj128ELj4E21rocsparse_complex_numIfEiiS2_S2_S2_EEvT3_20rocsparse_direction_NS_24const_host_device_scalarIT1_EES3_PKS3_PKT2_SC_S9_PKT4_PKT5_S7_PT6_21rocsparse_index_base_b ; -- Begin function _ZN9rocsparseL18bsrxmvn_4x4_kernelILj128ELj4E21rocsparse_complex_numIfEiiS2_S2_S2_EEvT3_20rocsparse_direction_NS_24const_host_device_scalarIT1_EES3_PKS3_PKT2_SC_S9_PKT4_PKT5_S7_PT6_21rocsparse_index_base_b
	.p2align	8
	.type	_ZN9rocsparseL18bsrxmvn_4x4_kernelILj128ELj4E21rocsparse_complex_numIfEiiS2_S2_S2_EEvT3_20rocsparse_direction_NS_24const_host_device_scalarIT1_EES3_PKS3_PKT2_SC_S9_PKT4_PKT5_S7_PT6_21rocsparse_index_base_b,@function
_ZN9rocsparseL18bsrxmvn_4x4_kernelILj128ELj4E21rocsparse_complex_numIfEiiS2_S2_S2_EEvT3_20rocsparse_direction_NS_24const_host_device_scalarIT1_EES3_PKS3_PKT2_SC_S9_PKT4_PKT5_S7_PT6_21rocsparse_index_base_b: ; @_ZN9rocsparseL18bsrxmvn_4x4_kernelILj128ELj4E21rocsparse_complex_numIfEiiS2_S2_S2_EEvT3_20rocsparse_direction_NS_24const_host_device_scalarIT1_EES3_PKS3_PKT2_SC_S9_PKT4_PKT5_S7_PT6_21rocsparse_index_base_b
; %bb.0:
	s_load_dwordx2 s[0:1], s[4:5], 0x8
	s_load_dwordx2 s[16:17], s[4:5], 0x58
	s_add_u32 s7, s4, 8
	s_addc_u32 s8, s5, 0
	s_add_u32 s9, s4, 0x48
	s_load_dwordx2 s[2:3], s[4:5], 0x48
	s_addc_u32 s10, s5, 0
	s_waitcnt lgkmcnt(0)
	s_bitcmp1_b32 s17, 0
	s_cselect_b32 s1, s8, s1
	s_cselect_b32 s0, s7, s0
	v_mov_b32_e32 v1, s0
	v_mov_b32_e32 v2, s1
	flat_load_dwordx2 v[18:19], v[1:2]
	s_cselect_b32 s0, s10, s3
	s_cselect_b32 s1, s9, s2
	v_mov_b32_e32 v1, s1
	v_mov_b32_e32 v2, s0
	flat_load_dwordx2 v[16:17], v[1:2]
	s_waitcnt vmcnt(0) lgkmcnt(0)
	v_cmp_eq_f32_e32 vcc, 0, v18
	v_cmp_eq_f32_e64 s[0:1], 0, v19
	s_and_b64 s[8:9], vcc, s[0:1]
	s_mov_b64 s[0:1], -1
	s_and_saveexec_b64 s[2:3], s[8:9]
; %bb.1:
	v_cmp_neq_f32_e32 vcc, 1.0, v16
	v_cmp_neq_f32_e64 s[0:1], 0, v17
	s_or_b64 s[0:1], vcc, s[0:1]
	s_orn2_b64 s[0:1], s[0:1], exec
; %bb.2:
	s_or_b64 exec, exec, s[2:3]
	s_and_saveexec_b64 s[2:3], s[0:1]
	s_cbranch_execz .LBB10_8
; %bb.3:
	s_load_dwordx2 s[8:9], s[4:5], 0x18
	s_load_dwordx2 s[0:1], s[4:5], 0x0
	v_lshrrev_b32_e32 v1, 2, v0
	v_lshl_or_b32 v20, s6, 5, v1
	s_mov_b64 s[2:3], 0
	s_waitcnt lgkmcnt(0)
	s_cmp_lg_u64 s[8:9], 0
	s_cbranch_scc0 .LBB10_9
; %bb.4:
	s_load_dword s6, s[4:5], 0x10
                                        ; implicit-def: $vgpr1
	s_waitcnt lgkmcnt(0)
	v_cmp_gt_i32_e32 vcc, s6, v20
	s_and_saveexec_b64 s[6:7], vcc
	s_xor_b64 s[6:7], exec, s[6:7]
	s_cbranch_execz .LBB10_6
; %bb.5:
	v_ashrrev_i32_e32 v21, 31, v20
	v_lshlrev_b64 v[1:2], 2, v[20:21]
	v_mov_b32_e32 v3, s9
	v_add_co_u32_e32 v1, vcc, s8, v1
	v_addc_co_u32_e32 v2, vcc, v3, v2, vcc
	global_load_dword v1, v[1:2], off
	s_mov_b64 s[2:3], exec
	s_waitcnt vmcnt(0)
	v_subrev_u32_e32 v1, s16, v1
.LBB10_6:
	s_or_b64 exec, exec, s[6:7]
	s_branch .LBB10_10
.LBB10_7:
	v_cmp_gt_i32_e32 vcc, s0, v20
	s_andn2_b64 s[2:3], s[2:3], exec
	s_and_b64 s[6:7], vcc, exec
	s_or_b64 s[2:3], s[2:3], s[6:7]
	s_and_b64 exec, exec, s[2:3]
	s_cbranch_execnz .LBB10_11
.LBB10_8:
	s_endpgm
.LBB10_9:
                                        ; implicit-def: $vgpr1
	s_cbranch_execnz .LBB10_7
.LBB10_10:
	v_mov_b32_e32 v20, v1
	s_and_b64 exec, exec, s[2:3]
	s_cbranch_execz .LBB10_8
.LBB10_11:
	s_load_dwordx8 s[8:15], s[4:5], 0x20
	v_ashrrev_i32_e32 v21, 31, v20
	v_lshlrev_b64 v[1:2], 2, v[20:21]
	v_and_b32_e32 v31, 3, v0
	s_load_dwordx2 s[6:7], s[4:5], 0x40
	s_waitcnt lgkmcnt(0)
	v_mov_b32_e32 v4, s9
	v_add_co_u32_e32 v3, vcc, s8, v1
	v_addc_co_u32_e32 v4, vcc, v4, v2, vcc
	global_load_dword v37, v[3:4], off
	v_add_co_u32_e32 v3, vcc, 4, v3
	v_addc_co_u32_e32 v4, vcc, 0, v4, vcc
	v_mov_b32_e32 v5, s11
	v_add_co_u32_e32 v1, vcc, s10, v1
	s_cmp_eq_u64 s[10:11], 0
	v_addc_co_u32_e32 v2, vcc, v5, v2, vcc
	s_cselect_b64 vcc, -1, 0
	v_cndmask_b32_e32 v2, v2, v4, vcc
	v_cndmask_b32_e32 v1, v1, v3, vcc
	global_load_dword v1, v[1:2], off
	v_mov_b32_e32 v2, s15
	s_cmp_eq_u32 s1, 1
	s_waitcnt vmcnt(1)
	v_subrev_u32_e32 v0, s16, v37
	v_add_u32_e32 v21, v0, v31
	v_ashrrev_i32_e32 v22, 31, v21
	s_waitcnt vmcnt(0)
	v_subrev_u32_e32 v32, s16, v1
	v_lshlrev_b64 v[0:1], 7, v[21:22]
	v_cmp_lt_i32_e64 s[0:1], v21, v32
	v_add_co_u32_e32 v23, vcc, s14, v0
	v_addc_co_u32_e32 v24, vcc, v2, v1, vcc
	s_cbranch_scc1 .LBB10_23
; %bb.12:
	v_mov_b32_e32 v33, 0
	v_mov_b32_e32 v7, 0
	;; [unrolled: 1-line block ×8, first 2 shown]
	s_and_saveexec_b64 s[8:9], s[0:1]
	s_cbranch_execz .LBB10_22
; %bb.13:
	v_add_u32_e32 v0, v37, v31
	v_subrev_u32_e32 v0, s16, v0
	v_add_u32_e32 v0, 4, v0
	v_max_i32_e32 v0, v0, v32
	v_not_b32_e32 v1, v37
	v_add3_u32 v0, s16, v0, v1
	v_sub_u32_e32 v0, v0, v31
	v_and_b32_e32 v1, 12, v0
	v_mov_b32_e32 v28, v24
	v_cmp_ne_u32_e32 vcc, 12, v1
	v_mov_b32_e32 v35, 0
	v_mov_b32_e32 v6, 0
	;; [unrolled: 1-line block ×10, first 2 shown]
	s_and_saveexec_b64 s[10:11], vcc
	s_cbranch_execz .LBB10_17
; %bb.14:
	v_lshrrev_b32_e32 v1, 2, v0
	v_add_u32_e32 v1, 1, v1
	v_and_b32_e32 v1, 3, v1
	v_mov_b32_e32 v28, v24
	v_sub_u32_e32 v1, 0, v1
	v_mov_b32_e32 v33, 0
	s_mov_b64 s[14:15], 0
	v_mov_b32_e32 v4, s13
	v_mov_b32_e32 v5, s7
	v_mov_b32_e32 v25, v21
	v_mov_b32_e32 v27, v23
	v_mov_b32_e32 v7, 0
	v_mov_b32_e32 v2, 0
	v_mov_b32_e32 v34, 0
	v_mov_b32_e32 v3, 0
	v_mov_b32_e32 v36, 0
	v_mov_b32_e32 v6, 0
	v_mov_b32_e32 v35, 0
.LBB10_15:                              ; =>This Inner Loop Header: Depth=1
	v_ashrrev_i32_e32 v26, 31, v25
	v_lshlrev_b64 v[29:30], 2, v[25:26]
	global_load_dwordx4 v[8:11], v[27:28], off offset:32
	global_load_dwordx4 v[12:15], v[27:28], off offset:64
	global_load_dwordx4 v[38:41], v[27:28], off offset:96
	global_load_dwordx4 v[42:45], v[27:28], off
	global_load_dwordx4 v[46:49], v[27:28], off offset:16
	v_add_co_u32_e32 v29, vcc, s12, v29
	v_addc_co_u32_e32 v30, vcc, v4, v30, vcc
	global_load_dword v22, v[29:30], off
	v_add_co_u32_e64 v1, s[2:3], 1, v1
	v_add_u32_e32 v25, 4, v25
	s_or_b64 s[14:15], s[2:3], s[14:15]
	s_waitcnt vmcnt(0)
	v_subrev_u32_e32 v22, s16, v22
	v_lshlrev_b32_e32 v29, 2, v22
	v_ashrrev_i32_e32 v30, 31, v29
	v_lshlrev_b64 v[29:30], 3, v[29:30]
	v_add_co_u32_e32 v29, vcc, s6, v29
	v_addc_co_u32_e32 v30, vcc, v5, v30, vcc
	global_load_dwordx4 v[50:53], v[29:30], off
	global_load_dwordx4 v[54:57], v[29:30], off offset:16
	s_waitcnt vmcnt(1)
	v_fmac_f32_e32 v7, v42, v50
	v_fmac_f32_e32 v33, v43, v50
	;; [unrolled: 1-line block ×4, first 2 shown]
	v_fma_f32 v7, -v43, v51, v7
	v_fmac_f32_e32 v33, v42, v51
	v_fma_f32 v6, -v9, v51, v6
	v_fmac_f32_e32 v35, v8, v51
	v_fmac_f32_e32 v7, v44, v52
	;; [unrolled: 1-line block ×7, first 2 shown]
	v_fma_f32 v22, -v45, v53, v7
	v_fmac_f32_e32 v33, v44, v53
	global_load_dwordx4 v[42:45], v[27:28], off offset:48
	v_fma_f32 v26, -v11, v53, v6
	v_fmac_f32_e32 v35, v10, v53
	global_load_dwordx4 v[6:9], v[27:28], off offset:80
	;; [unrolled: 3-line block ×3, first 2 shown]
	v_fmac_f32_e32 v2, v38, v50
	v_fmac_f32_e32 v34, v39, v50
	v_fma_f32 v2, -v39, v51, v2
	v_fmac_f32_e32 v34, v38, v51
	v_fmac_f32_e32 v3, v14, v52
	;; [unrolled: 1-line block ×5, first 2 shown]
	v_fma_f32 v3, -v15, v53, v3
	v_fmac_f32_e32 v36, v14, v53
	v_fma_f32 v2, -v41, v53, v2
	v_fmac_f32_e32 v34, v40, v53
	s_waitcnt vmcnt(3)
	v_fmac_f32_e32 v22, v46, v54
	v_fmac_f32_e32 v33, v47, v54
	v_fma_f32 v14, -v47, v55, v22
	v_fmac_f32_e32 v33, v46, v55
	v_add_co_u32_e32 v27, vcc, 0x200, v27
	v_fmac_f32_e32 v14, v48, v56
	v_fmac_f32_e32 v33, v49, v56
	v_addc_co_u32_e32 v28, vcc, 0, v28, vcc
	v_fmac_f32_e32 v33, v48, v57
	s_waitcnt vmcnt(2)
	v_fmac_f32_e32 v26, v42, v54
	v_fmac_f32_e32 v35, v43, v54
	v_fma_f32 v15, -v43, v55, v26
	s_waitcnt vmcnt(1)
	v_fmac_f32_e32 v3, v6, v54
	v_fmac_f32_e32 v36, v7, v54
	;; [unrolled: 1-line block ×3, first 2 shown]
	s_waitcnt vmcnt(0)
	v_fmac_f32_e32 v2, v10, v54
	v_fmac_f32_e32 v34, v11, v54
	v_fma_f32 v3, -v7, v55, v3
	v_fmac_f32_e32 v36, v6, v55
	v_fma_f32 v2, -v11, v55, v2
	v_fmac_f32_e32 v34, v10, v55
	v_fmac_f32_e32 v15, v44, v56
	v_fmac_f32_e32 v35, v45, v56
	v_fmac_f32_e32 v3, v8, v56
	v_fmac_f32_e32 v36, v9, v56
	v_fmac_f32_e32 v2, v12, v56
	v_fmac_f32_e32 v34, v13, v56
	v_fma_f32 v7, -v49, v57, v14
	v_fma_f32 v6, -v45, v57, v15
	v_fmac_f32_e32 v35, v44, v57
	v_fma_f32 v3, -v9, v57, v3
	v_fmac_f32_e32 v36, v8, v57
	;; [unrolled: 2-line block ×3, first 2 shown]
	s_andn2_b64 exec, exec, s[14:15]
	s_cbranch_execnz .LBB10_15
; %bb.16:
	s_or_b64 exec, exec, s[14:15]
.LBB10_17:
	s_or_b64 exec, exec, s[10:11]
	v_cmp_lt_u32_e32 vcc, 11, v0
	s_and_saveexec_b64 s[2:3], vcc
	s_cbranch_execz .LBB10_21
; %bb.18:
	s_mov_b64 s[10:11], 0
	v_mov_b32_e32 v22, s13
	v_mov_b32_e32 v38, s7
.LBB10_19:                              ; =>This Inner Loop Header: Depth=1
	v_ashrrev_i32_e32 v26, 31, v25
	v_lshlrev_b64 v[0:1], 2, v[25:26]
	global_load_dwordx4 v[8:11], v[27:28], off offset:32
	global_load_dwordx4 v[12:15], v[27:28], off
	global_load_dwordx4 v[39:42], v[27:28], off offset:64
	v_add_co_u32_e32 v29, vcc, s12, v0
	v_addc_co_u32_e32 v30, vcc, v22, v1, vcc
	global_load_dword v0, v[29:30], off
	v_add_u32_e32 v25, 16, v25
	s_waitcnt vmcnt(0)
	v_subrev_u32_e32 v0, s16, v0
	v_lshlrev_b32_e32 v0, 2, v0
	v_ashrrev_i32_e32 v1, 31, v0
	v_lshlrev_b64 v[0:1], 3, v[0:1]
	v_add_co_u32_e32 v47, vcc, s6, v0
	v_addc_co_u32_e32 v48, vcc, v38, v1, vcc
	global_load_dwordx4 v[43:46], v[47:48], off
	s_waitcnt vmcnt(0)
	v_fmac_f32_e32 v7, v12, v43
	v_fmac_f32_e32 v33, v13, v43
	v_fma_f32 v0, -v13, v44, v7
	v_fmac_f32_e32 v33, v12, v44
	v_fmac_f32_e32 v0, v14, v45
	;; [unrolled: 1-line block ×3, first 2 shown]
	v_fma_f32 v26, -v15, v46, v0
	v_fmac_f32_e32 v33, v14, v46
	global_load_dwordx4 v[12:15], v[27:28], off offset:96
	v_fmac_f32_e32 v6, v8, v43
	v_fma_f32 v0, -v9, v44, v6
	v_fmac_f32_e32 v0, v10, v45
	v_fmac_f32_e32 v3, v39, v43
	v_fma_f32 v49, -v11, v46, v0
	v_fma_f32 v0, -v40, v44, v3
	v_fmac_f32_e32 v35, v9, v43
	v_fmac_f32_e32 v36, v40, v43
	;; [unrolled: 1-line block ×5, first 2 shown]
	v_fma_f32 v50, -v42, v46, v0
	v_fmac_f32_e32 v35, v11, v45
	v_fmac_f32_e32 v36, v42, v45
	;; [unrolled: 1-line block ×3, first 2 shown]
	global_load_dwordx4 v[4:7], v[27:28], off offset:48
	global_load_dwordx4 v[8:11], v[27:28], off offset:16
	v_fmac_f32_e32 v36, v41, v46
	s_waitcnt vmcnt(2)
	v_fmac_f32_e32 v2, v12, v43
	v_fmac_f32_e32 v34, v13, v43
	v_fma_f32 v0, -v13, v44, v2
	v_fmac_f32_e32 v34, v12, v44
	v_fmac_f32_e32 v0, v14, v45
	;; [unrolled: 1-line block ×3, first 2 shown]
	v_fma_f32 v43, -v15, v46, v0
	v_fmac_f32_e32 v34, v14, v46
	global_load_dwordx4 v[0:3], v[27:28], off offset:112
	global_load_dwordx4 v[12:15], v[27:28], off offset:80
	;; [unrolled: 1-line block ×3, first 2 shown]
	s_waitcnt vmcnt(0)
	v_fmac_f32_e32 v34, v1, v39
	v_fmac_f32_e32 v43, v0, v39
	;; [unrolled: 1-line block ×3, first 2 shown]
	global_load_dword v0, v[29:30], off offset:16
	v_fma_f32 v1, -v1, v40, v43
	v_fmac_f32_e32 v1, v2, v41
	v_fmac_f32_e32 v26, v8, v39
	;; [unrolled: 1-line block ×7, first 2 shown]
	v_fma_f32 v39, -v3, v42, v1
	v_fma_f32 v9, -v9, v40, v26
	v_fmac_f32_e32 v33, v8, v40
	v_fma_f32 v13, -v13, v40, v50
	v_fmac_f32_e32 v36, v12, v40
	v_fmac_f32_e32 v9, v10, v41
	v_fmac_f32_e32 v33, v11, v41
	v_fmac_f32_e32 v13, v14, v41
	v_fmac_f32_e32 v36, v15, v41
	v_fmac_f32_e32 v34, v3, v41
	v_fma_f32 v26, -v11, v42, v9
	v_fmac_f32_e32 v33, v10, v42
	global_load_dwordx4 v[8:11], v[27:28], off offset:544
	v_fma_f32 v46, -v15, v42, v13
	v_fmac_f32_e32 v36, v14, v42
	global_load_dwordx4 v[12:15], v[27:28], off offset:576
	v_fmac_f32_e32 v34, v2, v42
	v_fma_f32 v5, -v5, v40, v49
	v_fmac_f32_e32 v35, v4, v40
	v_fmac_f32_e32 v5, v6, v41
	;; [unrolled: 1-line block ×3, first 2 shown]
	v_fma_f32 v45, -v7, v42, v5
	v_fmac_f32_e32 v35, v6, v42
	global_load_dwordx4 v[4:7], v[27:28], off offset:512
	s_waitcnt vmcnt(3)
	v_subrev_u32_e32 v0, s16, v0
	v_lshlrev_b32_e32 v0, 2, v0
	v_ashrrev_i32_e32 v1, 31, v0
	v_lshlrev_b64 v[0:1], 3, v[0:1]
	v_add_co_u32_e32 v43, vcc, s6, v0
	v_addc_co_u32_e32 v44, vcc, v38, v1, vcc
	global_load_dwordx4 v[0:3], v[43:44], off
	s_waitcnt vmcnt(0)
	v_fmac_f32_e32 v46, v12, v0
	v_fmac_f32_e32 v36, v13, v0
	v_fma_f32 v13, -v13, v1, v46
	v_fmac_f32_e32 v36, v12, v1
	v_fmac_f32_e32 v13, v14, v2
	v_fmac_f32_e32 v36, v15, v2
	v_fma_f32 v46, -v15, v3, v13
	v_fmac_f32_e32 v36, v14, v3
	global_load_dwordx4 v[12:15], v[27:28], off offset:528
	v_fmac_f32_e32 v26, v4, v0
	v_fmac_f32_e32 v33, v5, v0
	v_fma_f32 v5, -v5, v1, v26
	v_fmac_f32_e32 v33, v4, v1
	v_fmac_f32_e32 v5, v6, v2
	v_fmac_f32_e32 v33, v7, v2
	v_fma_f32 v26, -v7, v3, v5
	v_fmac_f32_e32 v33, v6, v3
	global_load_dwordx4 v[4:7], v[27:28], off offset:608
	;; [unrolled: 9-line block ×3, first 2 shown]
	s_waitcnt vmcnt(1)
	v_fmac_f32_e32 v39, v4, v0
	v_fmac_f32_e32 v34, v5, v0
	v_fma_f32 v0, -v5, v1, v39
	v_fmac_f32_e32 v34, v4, v1
	v_fmac_f32_e32 v0, v6, v2
	;; [unrolled: 1-line block ×3, first 2 shown]
	v_fma_f32 v47, -v7, v3, v0
	v_fmac_f32_e32 v34, v6, v3
	global_load_dwordx4 v[0:3], v[27:28], off offset:624
	global_load_dwordx4 v[4:7], v[27:28], off offset:592
	global_load_dwordx4 v[39:42], v[43:44], off offset:16
	s_waitcnt vmcnt(0)
	v_fmac_f32_e32 v34, v1, v39
	v_fmac_f32_e32 v47, v0, v39
	;; [unrolled: 1-line block ×3, first 2 shown]
	global_load_dword v0, v[29:30], off offset:32
	v_fmac_f32_e32 v26, v12, v39
	v_fmac_f32_e32 v33, v13, v39
	v_fmac_f32_e32 v45, v8, v39
	v_fmac_f32_e32 v35, v9, v39
	v_fmac_f32_e32 v46, v4, v39
	v_fmac_f32_e32 v36, v5, v39
	v_fma_f32 v1, -v1, v40, v47
	v_fma_f32 v13, -v13, v40, v26
	v_fmac_f32_e32 v33, v12, v40
	v_fma_f32 v9, -v9, v40, v45
	v_fmac_f32_e32 v35, v8, v40
	;; [unrolled: 2-line block ×3, first 2 shown]
	v_fmac_f32_e32 v1, v2, v41
	v_fmac_f32_e32 v13, v14, v41
	;; [unrolled: 1-line block ×8, first 2 shown]
	v_fma_f32 v41, -v3, v42, v1
	v_fma_f32 v26, -v15, v42, v13
	v_fmac_f32_e32 v33, v14, v42
	global_load_dwordx4 v[12:15], v[27:28], off offset:1056
	v_fma_f32 v44, -v7, v42, v5
	v_fmac_f32_e32 v36, v6, v42
	global_load_dwordx4 v[4:7], v[27:28], off offset:1088
	v_fmac_f32_e32 v34, v2, v42
	v_fma_f32 v43, -v11, v42, v9
	v_fmac_f32_e32 v35, v10, v42
	global_load_dwordx4 v[8:11], v[27:28], off offset:1024
	s_waitcnt vmcnt(3)
	v_subrev_u32_e32 v0, s16, v0
	v_lshlrev_b32_e32 v0, 2, v0
	v_ashrrev_i32_e32 v1, 31, v0
	v_lshlrev_b64 v[0:1], 3, v[0:1]
	v_add_co_u32_e32 v39, vcc, s6, v0
	v_addc_co_u32_e32 v40, vcc, v38, v1, vcc
	global_load_dwordx4 v[0:3], v[39:40], off
	s_waitcnt vmcnt(0)
	v_fmac_f32_e32 v44, v4, v0
	v_fmac_f32_e32 v36, v5, v0
	v_fma_f32 v5, -v5, v1, v44
	v_fmac_f32_e32 v36, v4, v1
	v_fmac_f32_e32 v5, v6, v2
	v_fmac_f32_e32 v36, v7, v2
	v_fma_f32 v47, -v7, v3, v5
	v_fmac_f32_e32 v36, v6, v3
	global_load_dwordx4 v[4:7], v[27:28], off offset:1040
	v_fmac_f32_e32 v26, v8, v0
	v_fmac_f32_e32 v33, v9, v0
	v_fma_f32 v9, -v9, v1, v26
	v_fmac_f32_e32 v33, v8, v1
	v_fmac_f32_e32 v9, v10, v2
	v_fmac_f32_e32 v33, v11, v2
	v_fma_f32 v26, -v11, v3, v9
	v_fmac_f32_e32 v33, v10, v3
	global_load_dwordx4 v[8:11], v[27:28], off offset:1120
	;; [unrolled: 9-line block ×3, first 2 shown]
	s_waitcnt vmcnt(1)
	v_fmac_f32_e32 v41, v8, v0
	v_fmac_f32_e32 v34, v9, v0
	v_fma_f32 v0, -v9, v1, v41
	v_fmac_f32_e32 v34, v8, v1
	v_fmac_f32_e32 v0, v10, v2
	;; [unrolled: 1-line block ×3, first 2 shown]
	v_fma_f32 v48, -v11, v3, v0
	v_fmac_f32_e32 v34, v10, v3
	global_load_dwordx4 v[8:11], v[27:28], off offset:1136
	global_load_dwordx4 v[0:3], v[27:28], off offset:1104
	;; [unrolled: 1-line block ×3, first 2 shown]
	s_waitcnt vmcnt(0)
	v_fmac_f32_e32 v26, v4, v42
	v_fmac_f32_e32 v33, v5, v42
	;; [unrolled: 1-line block ×8, first 2 shown]
	v_fma_f32 v5, -v5, v43, v26
	v_fmac_f32_e32 v33, v4, v43
	v_fma_f32 v13, -v13, v43, v46
	v_fmac_f32_e32 v35, v12, v43
	;; [unrolled: 2-line block ×4, first 2 shown]
	v_fmac_f32_e32 v5, v6, v44
	v_fmac_f32_e32 v33, v7, v44
	;; [unrolled: 1-line block ×8, first 2 shown]
	v_fma_f32 v41, -v7, v45, v5
	v_fmac_f32_e32 v33, v6, v45
	global_load_dwordx4 v[4:7], v[27:28], off offset:1568
	v_fma_f32 v40, -v15, v45, v13
	v_fmac_f32_e32 v35, v14, v45
	global_load_dwordx4 v[12:15], v[27:28], off offset:1536
	;; [unrolled: 3-line block ×4, first 2 shown]
	global_load_dword v42, v[29:30], off offset:48
	s_waitcnt vmcnt(0)
	v_subrev_u32_e32 v29, s16, v42
	v_lshlrev_b32_e32 v29, 2, v29
	v_ashrrev_i32_e32 v30, 31, v29
	v_lshlrev_b64 v[29:30], 3, v[29:30]
	v_add_co_u32_e32 v29, vcc, s6, v29
	v_addc_co_u32_e32 v30, vcc, v38, v30, vcc
	global_load_dwordx4 v[42:45], v[29:30], off
	s_waitcnt vmcnt(0)
	v_fmac_f32_e32 v41, v12, v42
	v_fmac_f32_e32 v33, v13, v42
	;; [unrolled: 1-line block ×8, first 2 shown]
	v_fma_f32 v13, -v13, v43, v41
	v_fmac_f32_e32 v33, v12, v43
	v_fma_f32 v5, -v5, v43, v40
	v_fmac_f32_e32 v35, v4, v43
	;; [unrolled: 2-line block ×4, first 2 shown]
	v_fmac_f32_e32 v13, v14, v44
	v_fmac_f32_e32 v33, v15, v44
	;; [unrolled: 1-line block ×8, first 2 shown]
	v_fma_f32 v46, -v15, v45, v13
	v_fmac_f32_e32 v33, v14, v45
	global_load_dwordx4 v[12:15], v[27:28], off offset:1584
	v_fma_f32 v47, -v7, v45, v5
	v_fmac_f32_e32 v35, v6, v45
	global_load_dwordx4 v[4:7], v[27:28], off offset:1552
	;; [unrolled: 3-line block ×4, first 2 shown]
	global_load_dwordx4 v[39:42], v[29:30], off offset:16
	v_add_co_u32_e32 v27, vcc, 0x800, v27
	v_addc_co_u32_e32 v28, vcc, 0, v28, vcc
	v_cmp_ge_i32_e32 vcc, v25, v32
	s_or_b64 s[10:11], vcc, s[10:11]
	s_waitcnt vmcnt(0)
	v_fmac_f32_e32 v46, v4, v39
	v_fmac_f32_e32 v33, v5, v39
	v_fmac_f32_e32 v47, v12, v39
	v_fmac_f32_e32 v35, v13, v39
	v_fmac_f32_e32 v48, v0, v39
	v_fmac_f32_e32 v36, v1, v39
	v_fmac_f32_e32 v26, v8, v39
	v_fmac_f32_e32 v34, v9, v39
	v_fma_f32 v5, -v5, v40, v46
	v_fmac_f32_e32 v33, v4, v40
	v_fma_f32 v4, -v13, v40, v47
	v_fmac_f32_e32 v35, v12, v40
	;; [unrolled: 2-line block ×4, first 2 shown]
	v_fmac_f32_e32 v5, v6, v41
	v_fmac_f32_e32 v33, v7, v41
	;; [unrolled: 1-line block ×8, first 2 shown]
	v_fma_f32 v7, -v7, v42, v5
	v_fmac_f32_e32 v33, v6, v42
	v_fma_f32 v6, -v15, v42, v4
	v_fmac_f32_e32 v35, v14, v42
	v_fma_f32 v3, -v3, v42, v1
	v_fmac_f32_e32 v36, v2, v42
	v_fma_f32 v2, -v11, v42, v0
	v_fmac_f32_e32 v34, v10, v42
	s_andn2_b64 exec, exec, s[10:11]
	s_cbranch_execnz .LBB10_19
; %bb.20:
	s_or_b64 exec, exec, s[10:11]
.LBB10_21:
	s_or_b64 exec, exec, s[2:3]
.LBB10_22:
	s_or_b64 exec, exec, s[8:9]
	s_cbranch_execz .LBB10_24
	s_branch .LBB10_35
.LBB10_23:
                                        ; implicit-def: $vgpr33
                                        ; implicit-def: $vgpr7
                                        ; implicit-def: $vgpr2
                                        ; implicit-def: $vgpr34
                                        ; implicit-def: $vgpr3
                                        ; implicit-def: $vgpr36
                                        ; implicit-def: $vgpr6
                                        ; implicit-def: $vgpr35
.LBB10_24:
	v_mov_b32_e32 v33, 0
	v_mov_b32_e32 v7, 0
	v_mov_b32_e32 v2, 0
	v_mov_b32_e32 v34, 0
	v_mov_b32_e32 v3, 0
	v_mov_b32_e32 v36, 0
	v_mov_b32_e32 v6, 0
	v_mov_b32_e32 v35, 0
	s_and_saveexec_b64 s[2:3], s[0:1]
	s_cbranch_execz .LBB10_34
; %bb.25:
	v_add_u32_e32 v0, v37, v31
	v_subrev_u32_e32 v0, s16, v0
	v_add_u32_e32 v0, 4, v0
	v_max_i32_e32 v0, v0, v32
	v_not_b32_e32 v1, v37
	v_add3_u32 v0, s16, v0, v1
	v_sub_u32_e32 v0, v0, v31
	v_and_b32_e32 v1, 12, v0
	v_cmp_ne_u32_e32 vcc, 12, v1
	v_mov_b32_e32 v35, 0
	v_mov_b32_e32 v6, 0
	v_mov_b32_e32 v36, 0
	v_mov_b32_e32 v3, 0
	v_mov_b32_e32 v34, 0
	v_mov_b32_e32 v2, 0
	v_mov_b32_e32 v7, 0
	v_mov_b32_e32 v33, 0
	s_and_saveexec_b64 s[8:9], vcc
	s_cbranch_execz .LBB10_29
; %bb.26:
	v_lshrrev_b32_e32 v1, 2, v0
	v_add_u32_e32 v1, 1, v1
	v_and_b32_e32 v1, 3, v1
	v_sub_u32_e32 v1, 0, v1
	v_mov_b32_e32 v33, 0
	s_mov_b64 s[10:11], 0
	v_mov_b32_e32 v4, s13
	v_mov_b32_e32 v5, s7
	;; [unrolled: 1-line block ×9, first 2 shown]
.LBB10_27:                              ; =>This Inner Loop Header: Depth=1
	v_ashrrev_i32_e32 v22, 31, v21
	v_lshlrev_b64 v[8:9], 2, v[21:22]
	v_add_co_u32_e64 v1, s[0:1], 1, v1
	v_add_co_u32_e32 v29, vcc, s12, v8
	v_addc_co_u32_e32 v30, vcc, v4, v9, vcc
	global_load_dword v22, v[29:30], off
	global_load_dwordx4 v[8:11], v[23:24], off offset:16
	global_load_dwordx4 v[12:15], v[23:24], off
	global_load_dwordx4 v[25:28], v[23:24], off offset:32
	global_load_dwordx4 v[37:40], v[23:24], off offset:48
	;; [unrolled: 1-line block ×5, first 2 shown]
	v_add_u32_e32 v21, 4, v21
	s_or_b64 s[10:11], s[0:1], s[10:11]
	s_waitcnt vmcnt(7)
	v_subrev_u32_e32 v22, s16, v22
	v_lshlrev_b32_e32 v29, 2, v22
	v_ashrrev_i32_e32 v30, 31, v29
	v_lshlrev_b64 v[29:30], 3, v[29:30]
	v_add_co_u32_e32 v29, vcc, s6, v29
	v_addc_co_u32_e32 v30, vcc, v5, v30, vcc
	global_load_dwordx4 v[53:56], v[29:30], off
	global_load_dwordx4 v[57:60], v[29:30], off offset:16
	global_load_dwordx4 v[61:64], v[23:24], off offset:112
	v_add_co_u32_e32 v23, vcc, 0x200, v23
	v_addc_co_u32_e32 v24, vcc, 0, v24, vcc
	s_waitcnt vmcnt(2)
	v_fmac_f32_e32 v7, v12, v53
	v_fmac_f32_e32 v33, v13, v53
	v_fmac_f32_e32 v6, v14, v53
	v_fmac_f32_e32 v35, v15, v53
	v_fmac_f32_e32 v3, v8, v53
	v_fmac_f32_e32 v36, v9, v53
	v_fmac_f32_e32 v2, v10, v53
	v_fmac_f32_e32 v34, v11, v53
	v_fma_f32 v7, -v13, v54, v7
	v_fmac_f32_e32 v33, v12, v54
	v_fma_f32 v6, -v15, v54, v6
	v_fmac_f32_e32 v35, v14, v54
	;; [unrolled: 2-line block ×4, first 2 shown]
	v_fmac_f32_e32 v7, v25, v55
	v_fmac_f32_e32 v33, v26, v55
	;; [unrolled: 1-line block ×8, first 2 shown]
	v_fma_f32 v7, -v26, v56, v7
	v_fmac_f32_e32 v33, v25, v56
	v_fma_f32 v6, -v28, v56, v6
	v_fmac_f32_e32 v35, v27, v56
	;; [unrolled: 2-line block ×4, first 2 shown]
	s_waitcnt vmcnt(1)
	v_fmac_f32_e32 v7, v49, v57
	v_fmac_f32_e32 v33, v50, v57
	;; [unrolled: 1-line block ×8, first 2 shown]
	v_fma_f32 v7, -v50, v58, v7
	v_fmac_f32_e32 v33, v49, v58
	v_fma_f32 v6, -v52, v58, v6
	v_fmac_f32_e32 v35, v51, v58
	;; [unrolled: 2-line block ×4, first 2 shown]
	v_fmac_f32_e32 v7, v41, v59
	v_fmac_f32_e32 v33, v42, v59
	;; [unrolled: 1-line block ×4, first 2 shown]
	s_waitcnt vmcnt(0)
	v_fmac_f32_e32 v3, v61, v59
	v_fmac_f32_e32 v36, v62, v59
	v_fmac_f32_e32 v2, v63, v59
	v_fmac_f32_e32 v34, v64, v59
	v_fma_f32 v7, -v42, v60, v7
	v_fmac_f32_e32 v33, v41, v60
	v_fma_f32 v6, -v44, v60, v6
	v_fmac_f32_e32 v35, v43, v60
	;; [unrolled: 2-line block ×4, first 2 shown]
	s_andn2_b64 exec, exec, s[10:11]
	s_cbranch_execnz .LBB10_27
; %bb.28:
	s_or_b64 exec, exec, s[10:11]
.LBB10_29:
	s_or_b64 exec, exec, s[8:9]
	v_cmp_lt_u32_e32 vcc, 11, v0
	s_and_saveexec_b64 s[0:1], vcc
	s_cbranch_execz .LBB10_33
; %bb.30:
	s_mov_b64 s[8:9], 0
	v_mov_b32_e32 v4, s13
	v_mov_b32_e32 v5, s7
.LBB10_31:                              ; =>This Inner Loop Header: Depth=1
	v_ashrrev_i32_e32 v22, 31, v21
	v_lshlrev_b64 v[0:1], 2, v[21:22]
	global_load_dwordx4 v[8:11], v[23:24], off offset:32
	global_load_dwordx4 v[12:15], v[23:24], off offset:16
	global_load_dwordx4 v[25:28], v[23:24], off
	v_add_co_u32_e32 v0, vcc, s12, v0
	v_addc_co_u32_e32 v1, vcc, v4, v1, vcc
	global_load_dword v22, v[0:1], off
	v_add_u32_e32 v21, 16, v21
	s_waitcnt vmcnt(0)
	v_subrev_u32_e32 v22, s16, v22
	v_lshlrev_b32_e32 v29, 2, v22
	v_ashrrev_i32_e32 v30, 31, v29
	v_lshlrev_b64 v[29:30], 3, v[29:30]
	v_add_co_u32_e32 v29, vcc, s6, v29
	v_addc_co_u32_e32 v30, vcc, v5, v30, vcc
	global_load_dwordx4 v[37:40], v[29:30], off
	s_waitcnt vmcnt(0)
	v_fmac_f32_e32 v7, v25, v37
	v_fmac_f32_e32 v33, v26, v37
	;; [unrolled: 1-line block ×4, first 2 shown]
	v_fma_f32 v7, -v26, v38, v7
	v_fmac_f32_e32 v33, v25, v38
	v_fma_f32 v6, -v28, v38, v6
	v_fmac_f32_e32 v35, v27, v38
	global_load_dwordx4 v[25:28], v[23:24], off offset:48
	v_fmac_f32_e32 v3, v12, v37
	v_fmac_f32_e32 v36, v13, v37
	;; [unrolled: 1-line block ×4, first 2 shown]
	v_fma_f32 v3, -v13, v38, v3
	v_fmac_f32_e32 v36, v12, v38
	v_fma_f32 v2, -v15, v38, v2
	v_fmac_f32_e32 v34, v14, v38
	v_fmac_f32_e32 v7, v8, v39
	;; [unrolled: 1-line block ×5, first 2 shown]
	v_fma_f32 v22, -v9, v40, v7
	v_fmac_f32_e32 v33, v8, v40
	v_fma_f32 v11, -v11, v40, v6
	global_load_dwordx4 v[6:9], v[23:24], off offset:96
	global_load_dwordx4 v[12:15], v[23:24], off offset:112
	v_fmac_f32_e32 v35, v10, v40
	s_waitcnt vmcnt(2)
	v_fmac_f32_e32 v3, v25, v39
	v_fmac_f32_e32 v36, v26, v39
	v_fmac_f32_e32 v2, v27, v39
	v_fmac_f32_e32 v34, v28, v39
	v_fma_f32 v3, -v26, v40, v3
	v_fmac_f32_e32 v36, v25, v40
	v_fma_f32 v2, -v28, v40, v2
	v_fmac_f32_e32 v34, v27, v40
	global_load_dwordx4 v[25:28], v[23:24], off offset:80
	global_load_dwordx4 v[37:40], v[23:24], off offset:64
	;; [unrolled: 1-line block ×3, first 2 shown]
	s_waitcnt vmcnt(0)
	v_fmac_f32_e32 v2, v27, v41
	v_fmac_f32_e32 v34, v28, v41
	v_fma_f32 v2, -v28, v42, v2
	v_fmac_f32_e32 v34, v27, v42
	v_fmac_f32_e32 v2, v14, v43
	;; [unrolled: 1-line block ×3, first 2 shown]
	v_fma_f32 v15, -v15, v44, v2
	global_load_dword v2, v[0:1], off offset:16
	v_fmac_f32_e32 v3, v25, v41
	v_fma_f32 v3, -v26, v42, v3
	v_fmac_f32_e32 v3, v12, v43
	v_fma_f32 v30, -v13, v44, v3
	v_fmac_f32_e32 v22, v37, v41
	v_fmac_f32_e32 v33, v38, v41
	;; [unrolled: 1-line block ×5, first 2 shown]
	v_fma_f32 v10, -v38, v42, v22
	v_fmac_f32_e32 v33, v37, v42
	v_fma_f32 v11, -v40, v42, v11
	v_fmac_f32_e32 v35, v39, v42
	v_fmac_f32_e32 v36, v25, v42
	;; [unrolled: 1-line block ×7, first 2 shown]
	global_load_dwordx4 v[25:28], v[23:24], off offset:528
	v_fma_f32 v22, -v7, v44, v10
	v_fmac_f32_e32 v33, v6, v44
	v_fma_f32 v29, -v9, v44, v11
	v_fmac_f32_e32 v35, v8, v44
	global_load_dwordx4 v[6:9], v[23:24], off offset:512
	v_fmac_f32_e32 v36, v12, v44
	global_load_dwordx4 v[37:40], v[23:24], off offset:544
	v_fmac_f32_e32 v34, v14, v44
	s_waitcnt vmcnt(3)
	v_subrev_u32_e32 v2, s16, v2
	v_lshlrev_b32_e32 v2, 2, v2
	v_ashrrev_i32_e32 v3, 31, v2
	v_lshlrev_b64 v[2:3], 3, v[2:3]
	v_add_co_u32_e32 v2, vcc, s6, v2
	v_addc_co_u32_e32 v3, vcc, v5, v3, vcc
	global_load_dwordx4 v[10:13], v[2:3], off
	s_waitcnt vmcnt(0)
	v_fmac_f32_e32 v22, v6, v10
	v_fmac_f32_e32 v33, v7, v10
	;; [unrolled: 1-line block ×4, first 2 shown]
	v_fma_f32 v14, -v7, v11, v22
	v_fmac_f32_e32 v33, v6, v11
	v_fma_f32 v22, -v9, v11, v29
	v_fmac_f32_e32 v35, v8, v11
	global_load_dwordx4 v[6:9], v[23:24], off offset:560
	v_fmac_f32_e32 v30, v25, v10
	v_fmac_f32_e32 v36, v26, v10
	;; [unrolled: 1-line block ×4, first 2 shown]
	v_fma_f32 v10, -v26, v11, v30
	v_fmac_f32_e32 v36, v25, v11
	v_fma_f32 v15, -v28, v11, v15
	v_fmac_f32_e32 v34, v27, v11
	v_fmac_f32_e32 v14, v37, v12
	;; [unrolled: 1-line block ×5, first 2 shown]
	global_load_dwordx4 v[25:28], v[23:24], off offset:624
	v_fma_f32 v14, -v38, v13, v14
	v_fmac_f32_e32 v33, v37, v13
	v_fma_f32 v22, -v40, v13, v22
	v_fmac_f32_e32 v35, v39, v13
	global_load_dwordx4 v[37:40], v[23:24], off offset:608
	s_waitcnt vmcnt(2)
	v_fmac_f32_e32 v10, v6, v12
	v_fmac_f32_e32 v36, v7, v12
	v_fmac_f32_e32 v15, v8, v12
	v_fmac_f32_e32 v34, v9, v12
	v_fma_f32 v29, -v7, v13, v10
	v_fmac_f32_e32 v36, v6, v13
	v_fma_f32 v15, -v9, v13, v15
	v_fmac_f32_e32 v34, v8, v13
	global_load_dwordx4 v[6:9], v[23:24], off offset:592
	global_load_dwordx4 v[10:13], v[23:24], off offset:576
	;; [unrolled: 1-line block ×3, first 2 shown]
	s_waitcnt vmcnt(0)
	v_fmac_f32_e32 v14, v10, v41
	v_fma_f32 v2, -v11, v42, v14
	v_fmac_f32_e32 v22, v12, v41
	v_fmac_f32_e32 v2, v37, v43
	v_fma_f32 v3, -v13, v42, v22
	v_fma_f32 v22, -v38, v44, v2
	global_load_dword v2, v[0:1], off offset:32
	v_fmac_f32_e32 v29, v6, v41
	v_fmac_f32_e32 v3, v39, v43
	v_fma_f32 v14, -v7, v42, v29
	v_fma_f32 v29, -v40, v44, v3
	v_fmac_f32_e32 v33, v11, v41
	v_fmac_f32_e32 v35, v13, v41
	;; [unrolled: 1-line block ×8, first 2 shown]
	v_fma_f32 v15, -v9, v42, v15
	v_fmac_f32_e32 v34, v8, v42
	v_fmac_f32_e32 v33, v38, v43
	;; [unrolled: 1-line block ×7, first 2 shown]
	global_load_dwordx4 v[6:9], v[23:24], off offset:1040
	v_fmac_f32_e32 v33, v37, v44
	v_fmac_f32_e32 v35, v39, v44
	global_load_dwordx4 v[37:40], v[23:24], off offset:1024
	v_fma_f32 v14, -v26, v44, v14
	v_fmac_f32_e32 v36, v25, v44
	v_fma_f32 v15, -v28, v44, v15
	v_fmac_f32_e32 v34, v27, v44
	global_load_dwordx4 v[10:13], v[23:24], off offset:1056
	s_waitcnt vmcnt(3)
	v_subrev_u32_e32 v2, s16, v2
	v_lshlrev_b32_e32 v2, 2, v2
	v_ashrrev_i32_e32 v3, 31, v2
	v_lshlrev_b64 v[2:3], 3, v[2:3]
	v_add_co_u32_e32 v2, vcc, s6, v2
	v_addc_co_u32_e32 v3, vcc, v5, v3, vcc
	global_load_dwordx4 v[25:28], v[2:3], off
	s_waitcnt vmcnt(0)
	v_fmac_f32_e32 v22, v37, v25
	v_fmac_f32_e32 v33, v38, v25
	;; [unrolled: 1-line block ×4, first 2 shown]
	v_fma_f32 v22, -v38, v26, v22
	v_fmac_f32_e32 v33, v37, v26
	v_fma_f32 v29, -v40, v26, v29
	v_fmac_f32_e32 v35, v39, v26
	global_load_dwordx4 v[37:40], v[23:24], off offset:1072
	v_fmac_f32_e32 v14, v6, v25
	v_fmac_f32_e32 v36, v7, v25
	;; [unrolled: 1-line block ×4, first 2 shown]
	v_fma_f32 v14, -v7, v26, v14
	v_fmac_f32_e32 v36, v6, v26
	v_fma_f32 v15, -v9, v26, v15
	v_fmac_f32_e32 v34, v8, v26
	v_fmac_f32_e32 v22, v10, v27
	;; [unrolled: 1-line block ×5, first 2 shown]
	global_load_dwordx4 v[6:9], v[23:24], off offset:1136
	v_fma_f32 v22, -v11, v28, v22
	v_fmac_f32_e32 v33, v10, v28
	v_fma_f32 v29, -v13, v28, v29
	v_fmac_f32_e32 v35, v12, v28
	global_load_dwordx4 v[10:13], v[23:24], off offset:1120
	s_waitcnt vmcnt(2)
	v_fmac_f32_e32 v14, v37, v27
	v_fmac_f32_e32 v36, v38, v27
	;; [unrolled: 1-line block ×4, first 2 shown]
	v_fma_f32 v14, -v38, v28, v14
	v_fmac_f32_e32 v36, v37, v28
	v_fma_f32 v15, -v40, v28, v15
	v_fmac_f32_e32 v34, v39, v28
	global_load_dwordx4 v[25:28], v[23:24], off offset:1104
	global_load_dwordx4 v[37:40], v[23:24], off offset:1088
	;; [unrolled: 1-line block ×3, first 2 shown]
	s_waitcnt vmcnt(0)
	v_fmac_f32_e32 v22, v37, v41
	v_fmac_f32_e32 v33, v38, v41
	;; [unrolled: 1-line block ×8, first 2 shown]
	v_fma_f32 v2, -v38, v42, v22
	v_fmac_f32_e32 v33, v37, v42
	v_fma_f32 v3, -v40, v42, v29
	v_fmac_f32_e32 v35, v39, v42
	;; [unrolled: 2-line block ×4, first 2 shown]
	v_fmac_f32_e32 v2, v10, v43
	v_fmac_f32_e32 v33, v11, v43
	;; [unrolled: 1-line block ×8, first 2 shown]
	global_load_dwordx4 v[37:40], v[23:24], off offset:1584
	global_load_dwordx4 v[25:28], v[23:24], off offset:1568
	v_fma_f32 v22, -v11, v44, v2
	v_fmac_f32_e32 v33, v10, v44
	v_fma_f32 v29, -v13, v44, v3
	v_fmac_f32_e32 v35, v12, v44
	global_load_dwordx4 v[10:13], v[23:24], off offset:1552
	v_fma_f32 v30, -v7, v44, v14
	v_fmac_f32_e32 v36, v6, v44
	v_fma_f32 v41, -v9, v44, v15
	v_fmac_f32_e32 v34, v8, v44
	global_load_dwordx4 v[6:9], v[23:24], off offset:1536
	global_load_dword v2, v[0:1], off offset:48
	s_waitcnt vmcnt(0)
	v_subrev_u32_e32 v0, s16, v2
	v_lshlrev_b32_e32 v0, 2, v0
	v_ashrrev_i32_e32 v1, 31, v0
	v_lshlrev_b64 v[0:1], 3, v[0:1]
	v_add_co_u32_e32 v14, vcc, s6, v0
	v_addc_co_u32_e32 v15, vcc, v5, v1, vcc
	global_load_dwordx4 v[0:3], v[14:15], off
	s_waitcnt vmcnt(0)
	v_fmac_f32_e32 v22, v6, v0
	v_fmac_f32_e32 v33, v7, v0
	;; [unrolled: 1-line block ×4, first 2 shown]
	v_fma_f32 v22, -v7, v1, v22
	v_fmac_f32_e32 v33, v6, v1
	v_fma_f32 v29, -v9, v1, v29
	v_fmac_f32_e32 v35, v8, v1
	v_fmac_f32_e32 v30, v10, v0
	;; [unrolled: 1-line block ×5, first 2 shown]
	v_fma_f32 v0, -v11, v1, v30
	v_fmac_f32_e32 v36, v10, v1
	v_fma_f32 v30, -v13, v1, v41
	v_fmac_f32_e32 v34, v12, v1
	v_fmac_f32_e32 v22, v25, v2
	;; [unrolled: 1-line block ×5, first 2 shown]
	global_load_dwordx4 v[10:13], v[23:24], off offset:1616
	v_fma_f32 v1, -v26, v3, v22
	v_fmac_f32_e32 v33, v25, v3
	v_fma_f32 v22, -v28, v3, v29
	v_fmac_f32_e32 v35, v27, v3
	global_load_dwordx4 v[25:28], v[23:24], off offset:1600
	v_fmac_f32_e32 v0, v37, v2
	v_fmac_f32_e32 v36, v38, v2
	;; [unrolled: 1-line block ×4, first 2 shown]
	global_load_dwordx4 v[6:9], v[23:24], off offset:1632
	v_fma_f32 v0, -v38, v3, v0
	v_fmac_f32_e32 v36, v37, v3
	v_fma_f32 v2, -v40, v3, v30
	v_fmac_f32_e32 v34, v39, v3
	global_load_dwordx4 v[37:40], v[14:15], off offset:16
	global_load_dwordx4 v[41:44], v[23:24], off offset:1648
	v_add_co_u32_e32 v23, vcc, 0x800, v23
	v_addc_co_u32_e32 v24, vcc, 0, v24, vcc
	v_cmp_ge_i32_e32 vcc, v21, v32
	s_or_b64 s[8:9], vcc, s[8:9]
	s_waitcnt vmcnt(1)
	v_fmac_f32_e32 v1, v25, v37
	v_fmac_f32_e32 v33, v26, v37
	;; [unrolled: 1-line block ×8, first 2 shown]
	v_fma_f32 v1, -v26, v38, v1
	v_fmac_f32_e32 v33, v25, v38
	v_fma_f32 v3, -v28, v38, v22
	v_fmac_f32_e32 v35, v27, v38
	;; [unrolled: 2-line block ×4, first 2 shown]
	v_fmac_f32_e32 v1, v6, v39
	v_fmac_f32_e32 v33, v7, v39
	;; [unrolled: 1-line block ×4, first 2 shown]
	s_waitcnt vmcnt(0)
	v_fmac_f32_e32 v0, v41, v39
	v_fmac_f32_e32 v36, v42, v39
	;; [unrolled: 1-line block ×4, first 2 shown]
	v_fma_f32 v7, -v7, v40, v1
	v_fmac_f32_e32 v33, v6, v40
	v_fma_f32 v6, -v9, v40, v3
	v_fmac_f32_e32 v35, v8, v40
	;; [unrolled: 2-line block ×4, first 2 shown]
	s_andn2_b64 exec, exec, s[8:9]
	s_cbranch_execnz .LBB10_31
; %bb.32:
	s_or_b64 exec, exec, s[8:9]
.LBB10_33:
	s_or_b64 exec, exec, s[0:1]
.LBB10_34:
	s_or_b64 exec, exec, s[2:3]
.LBB10_35:
	v_mov_b32_dpp v0, v7 row_shr:1 row_mask:0xf bank_mask:0xf
	v_add_f32_e32 v0, v7, v0
	v_mov_b32_dpp v4, v33 row_shr:1 row_mask:0xf bank_mask:0xf
	v_mov_b32_dpp v7, v6 row_shr:1 row_mask:0xf bank_mask:0xf
	;; [unrolled: 1-line block ×7, first 2 shown]
	v_add_f32_e32 v4, v33, v4
	v_add_f32_e32 v6, v6, v7
	;; [unrolled: 1-line block ×7, first 2 shown]
	v_mov_b32_dpp v1, v0 row_shr:2 row_mask:0xf bank_mask:0xf
	v_mov_b32_dpp v5, v4 row_shr:2 row_mask:0xf bank_mask:0xf
	;; [unrolled: 1-line block ×8, first 2 shown]
	v_cmp_eq_u32_e32 vcc, 3, v31
	s_and_b64 exec, exec, vcc
	s_cbranch_execz .LBB10_8
; %bb.36:
	s_load_dwordx2 s[2:3], s[4:5], 0x50
	v_add_f32_e32 v21, v0, v1
	v_add_f32_e32 v0, v4, v5
	;; [unrolled: 1-line block ×8, first 2 shown]
	v_cmp_eq_f32_e32 vcc, 0, v16
	v_cmp_eq_f32_e64 s[0:1], 0, v17
	v_mul_f32_e64 v4, v0, -v19
	v_mul_f32_e32 v5, v18, v0
	v_mul_f32_e64 v6, v1, -v19
	v_mul_f32_e32 v7, v18, v1
	v_mul_f32_e64 v0, v3, -v19
	v_mul_f32_e32 v1, v18, v3
	v_mul_f32_e64 v2, v8, -v19
	v_mul_f32_e32 v3, v18, v8
	s_and_b64 s[0:1], vcc, s[0:1]
	v_fmac_f32_e32 v4, v18, v21
	v_fmac_f32_e32 v5, v19, v21
	v_lshlrev_b32_e32 v8, 2, v20
	v_fmac_f32_e32 v6, v18, v22
	v_fmac_f32_e32 v7, v19, v22
	v_fmac_f32_e32 v0, v18, v9
	v_fmac_f32_e32 v1, v19, v9
	v_fmac_f32_e32 v2, v18, v10
	v_fmac_f32_e32 v3, v19, v10
	s_and_saveexec_b64 s[4:5], s[0:1]
	s_xor_b64 s[0:1], exec, s[4:5]
	s_cbranch_execz .LBB10_38
; %bb.37:
	v_ashrrev_i32_e32 v9, 31, v8
	v_lshlrev_b64 v[8:9], 3, v[8:9]
	s_waitcnt lgkmcnt(0)
	v_mov_b32_e32 v10, s3
	v_add_co_u32_e32 v8, vcc, s2, v8
	v_addc_co_u32_e32 v9, vcc, v10, v9, vcc
	global_store_dwordx4 v[8:9], v[4:7], off
	global_store_dwordx4 v[8:9], v[0:3], off offset:16
                                        ; implicit-def: $vgpr16_vgpr17
                                        ; implicit-def: $vgpr4
                                        ; implicit-def: $vgpr8
                                        ; implicit-def: $vgpr0
.LBB10_38:
	s_andn2_saveexec_b64 s[0:1], s[0:1]
	s_cbranch_execz .LBB10_8
; %bb.39:
	v_ashrrev_i32_e32 v9, 31, v8
	v_lshlrev_b64 v[8:9], 3, v[8:9]
	s_waitcnt lgkmcnt(0)
	v_mov_b32_e32 v10, s3
	v_add_co_u32_e32 v18, vcc, s2, v8
	v_addc_co_u32_e32 v19, vcc, v10, v9, vcc
	global_load_dwordx4 v[8:11], v[18:19], off
	global_load_dwordx4 v[12:15], v[18:19], off offset:16
	s_waitcnt vmcnt(1)
	v_fmac_f32_e32 v4, v16, v8
	v_fmac_f32_e32 v5, v17, v8
	;; [unrolled: 1-line block ×4, first 2 shown]
	s_waitcnt vmcnt(0)
	v_fmac_f32_e32 v0, v16, v12
	v_fmac_f32_e32 v1, v17, v12
	;; [unrolled: 1-line block ×4, first 2 shown]
	v_fma_f32 v4, -v17, v9, v4
	v_fmac_f32_e32 v5, v16, v9
	v_fma_f32 v6, -v17, v11, v6
	v_fmac_f32_e32 v7, v16, v11
	;; [unrolled: 2-line block ×4, first 2 shown]
	global_store_dwordx4 v[18:19], v[4:7], off
	global_store_dwordx4 v[18:19], v[0:3], off offset:16
	s_endpgm
	.section	.rodata,"a",@progbits
	.p2align	6, 0x0
	.amdhsa_kernel _ZN9rocsparseL18bsrxmvn_4x4_kernelILj128ELj4E21rocsparse_complex_numIfEiiS2_S2_S2_EEvT3_20rocsparse_direction_NS_24const_host_device_scalarIT1_EES3_PKS3_PKT2_SC_S9_PKT4_PKT5_S7_PT6_21rocsparse_index_base_b
		.amdhsa_group_segment_fixed_size 0
		.amdhsa_private_segment_fixed_size 0
		.amdhsa_kernarg_size 96
		.amdhsa_user_sgpr_count 6
		.amdhsa_user_sgpr_private_segment_buffer 1
		.amdhsa_user_sgpr_dispatch_ptr 0
		.amdhsa_user_sgpr_queue_ptr 0
		.amdhsa_user_sgpr_kernarg_segment_ptr 1
		.amdhsa_user_sgpr_dispatch_id 0
		.amdhsa_user_sgpr_flat_scratch_init 0
		.amdhsa_user_sgpr_private_segment_size 0
		.amdhsa_uses_dynamic_stack 0
		.amdhsa_system_sgpr_private_segment_wavefront_offset 0
		.amdhsa_system_sgpr_workgroup_id_x 1
		.amdhsa_system_sgpr_workgroup_id_y 0
		.amdhsa_system_sgpr_workgroup_id_z 0
		.amdhsa_system_sgpr_workgroup_info 0
		.amdhsa_system_vgpr_workitem_id 0
		.amdhsa_next_free_vgpr 65
		.amdhsa_next_free_sgpr 18
		.amdhsa_reserve_vcc 1
		.amdhsa_reserve_flat_scratch 0
		.amdhsa_float_round_mode_32 0
		.amdhsa_float_round_mode_16_64 0
		.amdhsa_float_denorm_mode_32 3
		.amdhsa_float_denorm_mode_16_64 3
		.amdhsa_dx10_clamp 1
		.amdhsa_ieee_mode 1
		.amdhsa_fp16_overflow 0
		.amdhsa_exception_fp_ieee_invalid_op 0
		.amdhsa_exception_fp_denorm_src 0
		.amdhsa_exception_fp_ieee_div_zero 0
		.amdhsa_exception_fp_ieee_overflow 0
		.amdhsa_exception_fp_ieee_underflow 0
		.amdhsa_exception_fp_ieee_inexact 0
		.amdhsa_exception_int_div_zero 0
	.end_amdhsa_kernel
	.section	.text._ZN9rocsparseL18bsrxmvn_4x4_kernelILj128ELj4E21rocsparse_complex_numIfEiiS2_S2_S2_EEvT3_20rocsparse_direction_NS_24const_host_device_scalarIT1_EES3_PKS3_PKT2_SC_S9_PKT4_PKT5_S7_PT6_21rocsparse_index_base_b,"axG",@progbits,_ZN9rocsparseL18bsrxmvn_4x4_kernelILj128ELj4E21rocsparse_complex_numIfEiiS2_S2_S2_EEvT3_20rocsparse_direction_NS_24const_host_device_scalarIT1_EES3_PKS3_PKT2_SC_S9_PKT4_PKT5_S7_PT6_21rocsparse_index_base_b,comdat
.Lfunc_end10:
	.size	_ZN9rocsparseL18bsrxmvn_4x4_kernelILj128ELj4E21rocsparse_complex_numIfEiiS2_S2_S2_EEvT3_20rocsparse_direction_NS_24const_host_device_scalarIT1_EES3_PKS3_PKT2_SC_S9_PKT4_PKT5_S7_PT6_21rocsparse_index_base_b, .Lfunc_end10-_ZN9rocsparseL18bsrxmvn_4x4_kernelILj128ELj4E21rocsparse_complex_numIfEiiS2_S2_S2_EEvT3_20rocsparse_direction_NS_24const_host_device_scalarIT1_EES3_PKS3_PKT2_SC_S9_PKT4_PKT5_S7_PT6_21rocsparse_index_base_b
                                        ; -- End function
	.set _ZN9rocsparseL18bsrxmvn_4x4_kernelILj128ELj4E21rocsparse_complex_numIfEiiS2_S2_S2_EEvT3_20rocsparse_direction_NS_24const_host_device_scalarIT1_EES3_PKS3_PKT2_SC_S9_PKT4_PKT5_S7_PT6_21rocsparse_index_base_b.num_vgpr, 65
	.set _ZN9rocsparseL18bsrxmvn_4x4_kernelILj128ELj4E21rocsparse_complex_numIfEiiS2_S2_S2_EEvT3_20rocsparse_direction_NS_24const_host_device_scalarIT1_EES3_PKS3_PKT2_SC_S9_PKT4_PKT5_S7_PT6_21rocsparse_index_base_b.num_agpr, 0
	.set _ZN9rocsparseL18bsrxmvn_4x4_kernelILj128ELj4E21rocsparse_complex_numIfEiiS2_S2_S2_EEvT3_20rocsparse_direction_NS_24const_host_device_scalarIT1_EES3_PKS3_PKT2_SC_S9_PKT4_PKT5_S7_PT6_21rocsparse_index_base_b.numbered_sgpr, 18
	.set _ZN9rocsparseL18bsrxmvn_4x4_kernelILj128ELj4E21rocsparse_complex_numIfEiiS2_S2_S2_EEvT3_20rocsparse_direction_NS_24const_host_device_scalarIT1_EES3_PKS3_PKT2_SC_S9_PKT4_PKT5_S7_PT6_21rocsparse_index_base_b.num_named_barrier, 0
	.set _ZN9rocsparseL18bsrxmvn_4x4_kernelILj128ELj4E21rocsparse_complex_numIfEiiS2_S2_S2_EEvT3_20rocsparse_direction_NS_24const_host_device_scalarIT1_EES3_PKS3_PKT2_SC_S9_PKT4_PKT5_S7_PT6_21rocsparse_index_base_b.private_seg_size, 0
	.set _ZN9rocsparseL18bsrxmvn_4x4_kernelILj128ELj4E21rocsparse_complex_numIfEiiS2_S2_S2_EEvT3_20rocsparse_direction_NS_24const_host_device_scalarIT1_EES3_PKS3_PKT2_SC_S9_PKT4_PKT5_S7_PT6_21rocsparse_index_base_b.uses_vcc, 1
	.set _ZN9rocsparseL18bsrxmvn_4x4_kernelILj128ELj4E21rocsparse_complex_numIfEiiS2_S2_S2_EEvT3_20rocsparse_direction_NS_24const_host_device_scalarIT1_EES3_PKS3_PKT2_SC_S9_PKT4_PKT5_S7_PT6_21rocsparse_index_base_b.uses_flat_scratch, 0
	.set _ZN9rocsparseL18bsrxmvn_4x4_kernelILj128ELj4E21rocsparse_complex_numIfEiiS2_S2_S2_EEvT3_20rocsparse_direction_NS_24const_host_device_scalarIT1_EES3_PKS3_PKT2_SC_S9_PKT4_PKT5_S7_PT6_21rocsparse_index_base_b.has_dyn_sized_stack, 0
	.set _ZN9rocsparseL18bsrxmvn_4x4_kernelILj128ELj4E21rocsparse_complex_numIfEiiS2_S2_S2_EEvT3_20rocsparse_direction_NS_24const_host_device_scalarIT1_EES3_PKS3_PKT2_SC_S9_PKT4_PKT5_S7_PT6_21rocsparse_index_base_b.has_recursion, 0
	.set _ZN9rocsparseL18bsrxmvn_4x4_kernelILj128ELj4E21rocsparse_complex_numIfEiiS2_S2_S2_EEvT3_20rocsparse_direction_NS_24const_host_device_scalarIT1_EES3_PKS3_PKT2_SC_S9_PKT4_PKT5_S7_PT6_21rocsparse_index_base_b.has_indirect_call, 0
	.section	.AMDGPU.csdata,"",@progbits
; Kernel info:
; codeLenInByte = 6236
; TotalNumSgprs: 22
; NumVgprs: 65
; ScratchSize: 0
; MemoryBound: 0
; FloatMode: 240
; IeeeMode: 1
; LDSByteSize: 0 bytes/workgroup (compile time only)
; SGPRBlocks: 2
; VGPRBlocks: 16
; NumSGPRsForWavesPerEU: 22
; NumVGPRsForWavesPerEU: 65
; Occupancy: 3
; WaveLimiterHint : 1
; COMPUTE_PGM_RSRC2:SCRATCH_EN: 0
; COMPUTE_PGM_RSRC2:USER_SGPR: 6
; COMPUTE_PGM_RSRC2:TRAP_HANDLER: 0
; COMPUTE_PGM_RSRC2:TGID_X_EN: 1
; COMPUTE_PGM_RSRC2:TGID_Y_EN: 0
; COMPUTE_PGM_RSRC2:TGID_Z_EN: 0
; COMPUTE_PGM_RSRC2:TIDIG_COMP_CNT: 0
	.section	.text._ZN9rocsparseL18bsrxmvn_4x4_kernelILj128ELj8E21rocsparse_complex_numIfEiiS2_S2_S2_EEvT3_20rocsparse_direction_NS_24const_host_device_scalarIT1_EES3_PKS3_PKT2_SC_S9_PKT4_PKT5_S7_PT6_21rocsparse_index_base_b,"axG",@progbits,_ZN9rocsparseL18bsrxmvn_4x4_kernelILj128ELj8E21rocsparse_complex_numIfEiiS2_S2_S2_EEvT3_20rocsparse_direction_NS_24const_host_device_scalarIT1_EES3_PKS3_PKT2_SC_S9_PKT4_PKT5_S7_PT6_21rocsparse_index_base_b,comdat
	.globl	_ZN9rocsparseL18bsrxmvn_4x4_kernelILj128ELj8E21rocsparse_complex_numIfEiiS2_S2_S2_EEvT3_20rocsparse_direction_NS_24const_host_device_scalarIT1_EES3_PKS3_PKT2_SC_S9_PKT4_PKT5_S7_PT6_21rocsparse_index_base_b ; -- Begin function _ZN9rocsparseL18bsrxmvn_4x4_kernelILj128ELj8E21rocsparse_complex_numIfEiiS2_S2_S2_EEvT3_20rocsparse_direction_NS_24const_host_device_scalarIT1_EES3_PKS3_PKT2_SC_S9_PKT4_PKT5_S7_PT6_21rocsparse_index_base_b
	.p2align	8
	.type	_ZN9rocsparseL18bsrxmvn_4x4_kernelILj128ELj8E21rocsparse_complex_numIfEiiS2_S2_S2_EEvT3_20rocsparse_direction_NS_24const_host_device_scalarIT1_EES3_PKS3_PKT2_SC_S9_PKT4_PKT5_S7_PT6_21rocsparse_index_base_b,@function
_ZN9rocsparseL18bsrxmvn_4x4_kernelILj128ELj8E21rocsparse_complex_numIfEiiS2_S2_S2_EEvT3_20rocsparse_direction_NS_24const_host_device_scalarIT1_EES3_PKS3_PKT2_SC_S9_PKT4_PKT5_S7_PT6_21rocsparse_index_base_b: ; @_ZN9rocsparseL18bsrxmvn_4x4_kernelILj128ELj8E21rocsparse_complex_numIfEiiS2_S2_S2_EEvT3_20rocsparse_direction_NS_24const_host_device_scalarIT1_EES3_PKS3_PKT2_SC_S9_PKT4_PKT5_S7_PT6_21rocsparse_index_base_b
; %bb.0:
	s_load_dwordx2 s[0:1], s[4:5], 0x8
	s_load_dwordx2 s[16:17], s[4:5], 0x58
	s_add_u32 s7, s4, 8
	s_addc_u32 s8, s5, 0
	s_add_u32 s9, s4, 0x48
	s_load_dwordx2 s[2:3], s[4:5], 0x48
	s_addc_u32 s10, s5, 0
	s_waitcnt lgkmcnt(0)
	s_bitcmp1_b32 s17, 0
	s_cselect_b32 s1, s8, s1
	s_cselect_b32 s0, s7, s0
	v_mov_b32_e32 v1, s0
	v_mov_b32_e32 v2, s1
	flat_load_dwordx2 v[18:19], v[1:2]
	s_cselect_b32 s0, s10, s3
	s_cselect_b32 s1, s9, s2
	v_mov_b32_e32 v1, s1
	v_mov_b32_e32 v2, s0
	flat_load_dwordx2 v[16:17], v[1:2]
	s_waitcnt vmcnt(0) lgkmcnt(0)
	v_cmp_eq_f32_e32 vcc, 0, v18
	v_cmp_eq_f32_e64 s[0:1], 0, v19
	s_and_b64 s[8:9], vcc, s[0:1]
	s_mov_b64 s[0:1], -1
	s_and_saveexec_b64 s[2:3], s[8:9]
; %bb.1:
	v_cmp_neq_f32_e32 vcc, 1.0, v16
	v_cmp_neq_f32_e64 s[0:1], 0, v17
	s_or_b64 s[0:1], vcc, s[0:1]
	s_orn2_b64 s[0:1], s[0:1], exec
; %bb.2:
	s_or_b64 exec, exec, s[2:3]
	s_and_saveexec_b64 s[2:3], s[0:1]
	s_cbranch_execz .LBB11_8
; %bb.3:
	s_load_dwordx2 s[8:9], s[4:5], 0x18
	s_load_dwordx2 s[0:1], s[4:5], 0x0
	v_lshrrev_b32_e32 v1, 3, v0
	v_lshl_or_b32 v20, s6, 4, v1
	s_mov_b64 s[2:3], 0
	s_waitcnt lgkmcnt(0)
	s_cmp_lg_u64 s[8:9], 0
	s_cbranch_scc0 .LBB11_9
; %bb.4:
	s_load_dword s6, s[4:5], 0x10
                                        ; implicit-def: $vgpr1
	s_waitcnt lgkmcnt(0)
	v_cmp_gt_i32_e32 vcc, s6, v20
	s_and_saveexec_b64 s[6:7], vcc
	s_xor_b64 s[6:7], exec, s[6:7]
	s_cbranch_execz .LBB11_6
; %bb.5:
	v_ashrrev_i32_e32 v21, 31, v20
	v_lshlrev_b64 v[1:2], 2, v[20:21]
	v_mov_b32_e32 v3, s9
	v_add_co_u32_e32 v1, vcc, s8, v1
	v_addc_co_u32_e32 v2, vcc, v3, v2, vcc
	global_load_dword v1, v[1:2], off
	s_mov_b64 s[2:3], exec
	s_waitcnt vmcnt(0)
	v_subrev_u32_e32 v1, s16, v1
.LBB11_6:
	s_or_b64 exec, exec, s[6:7]
	s_branch .LBB11_10
.LBB11_7:
	v_cmp_gt_i32_e32 vcc, s0, v20
	s_andn2_b64 s[2:3], s[2:3], exec
	s_and_b64 s[6:7], vcc, exec
	s_or_b64 s[2:3], s[2:3], s[6:7]
	s_and_b64 exec, exec, s[2:3]
	s_cbranch_execnz .LBB11_11
.LBB11_8:
	s_endpgm
.LBB11_9:
                                        ; implicit-def: $vgpr1
	s_cbranch_execnz .LBB11_7
.LBB11_10:
	v_mov_b32_e32 v20, v1
	s_and_b64 exec, exec, s[2:3]
	s_cbranch_execz .LBB11_8
.LBB11_11:
	s_load_dwordx8 s[8:15], s[4:5], 0x20
	v_ashrrev_i32_e32 v21, 31, v20
	v_lshlrev_b64 v[1:2], 2, v[20:21]
	v_and_b32_e32 v31, 7, v0
	s_load_dwordx2 s[6:7], s[4:5], 0x40
	s_waitcnt lgkmcnt(0)
	v_mov_b32_e32 v4, s9
	v_add_co_u32_e32 v3, vcc, s8, v1
	v_addc_co_u32_e32 v4, vcc, v4, v2, vcc
	global_load_dword v37, v[3:4], off
	v_add_co_u32_e32 v3, vcc, 4, v3
	v_addc_co_u32_e32 v4, vcc, 0, v4, vcc
	v_mov_b32_e32 v5, s11
	v_add_co_u32_e32 v1, vcc, s10, v1
	s_cmp_eq_u64 s[10:11], 0
	v_addc_co_u32_e32 v2, vcc, v5, v2, vcc
	s_cselect_b64 vcc, -1, 0
	v_cndmask_b32_e32 v2, v2, v4, vcc
	v_cndmask_b32_e32 v1, v1, v3, vcc
	global_load_dword v1, v[1:2], off
	v_mov_b32_e32 v2, s15
	s_cmp_eq_u32 s1, 1
	s_waitcnt vmcnt(1)
	v_subrev_u32_e32 v0, s16, v37
	v_add_u32_e32 v21, v0, v31
	v_ashrrev_i32_e32 v22, 31, v21
	s_waitcnt vmcnt(0)
	v_subrev_u32_e32 v32, s16, v1
	v_lshlrev_b64 v[0:1], 7, v[21:22]
	v_cmp_lt_i32_e64 s[0:1], v21, v32
	v_add_co_u32_e32 v23, vcc, s14, v0
	v_addc_co_u32_e32 v24, vcc, v2, v1, vcc
	s_cbranch_scc1 .LBB11_23
; %bb.12:
	v_mov_b32_e32 v34, 0
	v_mov_b32_e32 v7, 0
	v_mov_b32_e32 v2, 0
	v_mov_b32_e32 v33, 0
	v_mov_b32_e32 v3, 0
	v_mov_b32_e32 v36, 0
	v_mov_b32_e32 v6, 0
	v_mov_b32_e32 v35, 0
	s_and_saveexec_b64 s[8:9], s[0:1]
	s_cbranch_execz .LBB11_22
; %bb.13:
	v_add_u32_e32 v0, v37, v31
	v_subrev_u32_e32 v0, s16, v0
	v_add_u32_e32 v0, 8, v0
	v_max_i32_e32 v0, v0, v32
	v_not_b32_e32 v1, v37
	v_add3_u32 v0, s16, v0, v1
	v_sub_u32_e32 v0, v0, v31
	v_and_b32_e32 v1, 24, v0
	v_mov_b32_e32 v28, v24
	v_cmp_ne_u32_e32 vcc, 24, v1
	v_mov_b32_e32 v35, 0
	v_mov_b32_e32 v6, 0
	;; [unrolled: 1-line block ×10, first 2 shown]
	s_and_saveexec_b64 s[10:11], vcc
	s_cbranch_execz .LBB11_17
; %bb.14:
	v_lshrrev_b32_e32 v1, 3, v0
	v_add_u32_e32 v1, 1, v1
	v_and_b32_e32 v1, 3, v1
	v_mov_b32_e32 v28, v24
	v_sub_u32_e32 v1, 0, v1
	v_mov_b32_e32 v34, 0
	s_mov_b64 s[14:15], 0
	v_mov_b32_e32 v4, s13
	v_mov_b32_e32 v5, s7
	;; [unrolled: 1-line block ×11, first 2 shown]
.LBB11_15:                              ; =>This Inner Loop Header: Depth=1
	v_ashrrev_i32_e32 v26, 31, v25
	v_lshlrev_b64 v[29:30], 2, v[25:26]
	global_load_dwordx4 v[8:11], v[27:28], off offset:32
	global_load_dwordx4 v[12:15], v[27:28], off offset:64
	;; [unrolled: 1-line block ×3, first 2 shown]
	global_load_dwordx4 v[42:45], v[27:28], off
	global_load_dwordx4 v[46:49], v[27:28], off offset:16
	v_add_co_u32_e32 v29, vcc, s12, v29
	v_addc_co_u32_e32 v30, vcc, v4, v30, vcc
	global_load_dword v22, v[29:30], off
	v_add_co_u32_e64 v1, s[2:3], 1, v1
	v_add_u32_e32 v25, 8, v25
	s_or_b64 s[14:15], s[2:3], s[14:15]
	s_waitcnt vmcnt(0)
	v_subrev_u32_e32 v22, s16, v22
	v_lshlrev_b32_e32 v29, 2, v22
	v_ashrrev_i32_e32 v30, 31, v29
	v_lshlrev_b64 v[29:30], 3, v[29:30]
	v_add_co_u32_e32 v29, vcc, s6, v29
	v_addc_co_u32_e32 v30, vcc, v5, v30, vcc
	global_load_dwordx4 v[50:53], v[29:30], off
	global_load_dwordx4 v[54:57], v[29:30], off offset:16
	s_waitcnt vmcnt(1)
	v_fmac_f32_e32 v7, v42, v50
	v_fmac_f32_e32 v34, v43, v50
	;; [unrolled: 1-line block ×4, first 2 shown]
	v_fma_f32 v7, -v43, v51, v7
	v_fmac_f32_e32 v34, v42, v51
	v_fma_f32 v6, -v9, v51, v6
	v_fmac_f32_e32 v35, v8, v51
	v_fmac_f32_e32 v7, v44, v52
	;; [unrolled: 1-line block ×7, first 2 shown]
	v_fma_f32 v22, -v45, v53, v7
	v_fmac_f32_e32 v34, v44, v53
	global_load_dwordx4 v[42:45], v[27:28], off offset:48
	v_fma_f32 v26, -v11, v53, v6
	v_fmac_f32_e32 v35, v10, v53
	global_load_dwordx4 v[6:9], v[27:28], off offset:80
	;; [unrolled: 3-line block ×3, first 2 shown]
	v_fmac_f32_e32 v2, v38, v50
	v_fmac_f32_e32 v33, v39, v50
	v_fma_f32 v2, -v39, v51, v2
	v_fmac_f32_e32 v33, v38, v51
	v_fmac_f32_e32 v3, v14, v52
	;; [unrolled: 1-line block ×5, first 2 shown]
	v_fma_f32 v3, -v15, v53, v3
	v_fmac_f32_e32 v36, v14, v53
	v_fma_f32 v2, -v41, v53, v2
	v_fmac_f32_e32 v33, v40, v53
	s_waitcnt vmcnt(3)
	v_fmac_f32_e32 v22, v46, v54
	v_fmac_f32_e32 v34, v47, v54
	v_fma_f32 v14, -v47, v55, v22
	v_fmac_f32_e32 v34, v46, v55
	v_add_co_u32_e32 v27, vcc, 0x400, v27
	v_fmac_f32_e32 v14, v48, v56
	v_fmac_f32_e32 v34, v49, v56
	v_addc_co_u32_e32 v28, vcc, 0, v28, vcc
	v_fmac_f32_e32 v34, v48, v57
	s_waitcnt vmcnt(2)
	v_fmac_f32_e32 v26, v42, v54
	v_fmac_f32_e32 v35, v43, v54
	v_fma_f32 v15, -v43, v55, v26
	s_waitcnt vmcnt(1)
	v_fmac_f32_e32 v3, v6, v54
	v_fmac_f32_e32 v36, v7, v54
	;; [unrolled: 1-line block ×3, first 2 shown]
	s_waitcnt vmcnt(0)
	v_fmac_f32_e32 v2, v10, v54
	v_fmac_f32_e32 v33, v11, v54
	v_fma_f32 v3, -v7, v55, v3
	v_fmac_f32_e32 v36, v6, v55
	v_fma_f32 v2, -v11, v55, v2
	v_fmac_f32_e32 v33, v10, v55
	v_fmac_f32_e32 v15, v44, v56
	;; [unrolled: 1-line block ×7, first 2 shown]
	v_fma_f32 v7, -v49, v57, v14
	v_fma_f32 v6, -v45, v57, v15
	v_fmac_f32_e32 v35, v44, v57
	v_fma_f32 v3, -v9, v57, v3
	v_fmac_f32_e32 v36, v8, v57
	;; [unrolled: 2-line block ×3, first 2 shown]
	s_andn2_b64 exec, exec, s[14:15]
	s_cbranch_execnz .LBB11_15
; %bb.16:
	s_or_b64 exec, exec, s[14:15]
.LBB11_17:
	s_or_b64 exec, exec, s[10:11]
	v_cmp_lt_u32_e32 vcc, 23, v0
	s_and_saveexec_b64 s[2:3], vcc
	s_cbranch_execz .LBB11_21
; %bb.18:
	s_mov_b64 s[10:11], 0
	v_mov_b32_e32 v22, s13
	v_mov_b32_e32 v38, s7
.LBB11_19:                              ; =>This Inner Loop Header: Depth=1
	v_ashrrev_i32_e32 v26, 31, v25
	v_lshlrev_b64 v[0:1], 2, v[25:26]
	global_load_dwordx4 v[8:11], v[27:28], off offset:32
	global_load_dwordx4 v[12:15], v[27:28], off
	global_load_dwordx4 v[39:42], v[27:28], off offset:64
	v_add_co_u32_e32 v29, vcc, s12, v0
	v_addc_co_u32_e32 v30, vcc, v22, v1, vcc
	global_load_dword v0, v[29:30], off
	v_add_u32_e32 v25, 32, v25
	s_waitcnt vmcnt(0)
	v_subrev_u32_e32 v0, s16, v0
	v_lshlrev_b32_e32 v0, 2, v0
	v_ashrrev_i32_e32 v1, 31, v0
	v_lshlrev_b64 v[0:1], 3, v[0:1]
	v_add_co_u32_e32 v47, vcc, s6, v0
	v_addc_co_u32_e32 v48, vcc, v38, v1, vcc
	global_load_dwordx4 v[43:46], v[47:48], off
	s_waitcnt vmcnt(0)
	v_fmac_f32_e32 v7, v12, v43
	v_fmac_f32_e32 v34, v13, v43
	v_fma_f32 v0, -v13, v44, v7
	v_fmac_f32_e32 v34, v12, v44
	v_fmac_f32_e32 v0, v14, v45
	v_fmac_f32_e32 v34, v15, v45
	v_fma_f32 v26, -v15, v46, v0
	v_fmac_f32_e32 v34, v14, v46
	global_load_dwordx4 v[12:15], v[27:28], off offset:96
	v_fmac_f32_e32 v6, v8, v43
	v_fma_f32 v0, -v9, v44, v6
	v_fmac_f32_e32 v0, v10, v45
	v_fmac_f32_e32 v3, v39, v43
	v_fma_f32 v49, -v11, v46, v0
	v_fma_f32 v0, -v40, v44, v3
	v_fmac_f32_e32 v35, v9, v43
	v_fmac_f32_e32 v36, v40, v43
	;; [unrolled: 1-line block ×5, first 2 shown]
	v_fma_f32 v50, -v42, v46, v0
	v_fmac_f32_e32 v35, v11, v45
	v_fmac_f32_e32 v36, v42, v45
	;; [unrolled: 1-line block ×3, first 2 shown]
	global_load_dwordx4 v[4:7], v[27:28], off offset:48
	global_load_dwordx4 v[8:11], v[27:28], off offset:16
	v_fmac_f32_e32 v36, v41, v46
	s_waitcnt vmcnt(2)
	v_fmac_f32_e32 v2, v12, v43
	v_fmac_f32_e32 v33, v13, v43
	v_fma_f32 v0, -v13, v44, v2
	v_fmac_f32_e32 v33, v12, v44
	v_fmac_f32_e32 v0, v14, v45
	;; [unrolled: 1-line block ×3, first 2 shown]
	v_fma_f32 v43, -v15, v46, v0
	v_fmac_f32_e32 v33, v14, v46
	global_load_dwordx4 v[0:3], v[27:28], off offset:112
	global_load_dwordx4 v[12:15], v[27:28], off offset:80
	;; [unrolled: 1-line block ×3, first 2 shown]
	s_waitcnt vmcnt(0)
	v_fmac_f32_e32 v33, v1, v39
	v_fmac_f32_e32 v43, v0, v39
	v_fmac_f32_e32 v33, v0, v40
	global_load_dword v0, v[29:30], off offset:32
	v_fma_f32 v1, -v1, v40, v43
	v_fmac_f32_e32 v1, v2, v41
	v_fmac_f32_e32 v26, v8, v39
	;; [unrolled: 1-line block ×7, first 2 shown]
	v_fma_f32 v39, -v3, v42, v1
	v_fma_f32 v9, -v9, v40, v26
	v_fmac_f32_e32 v34, v8, v40
	v_fma_f32 v13, -v13, v40, v50
	v_fmac_f32_e32 v36, v12, v40
	v_fmac_f32_e32 v9, v10, v41
	v_fmac_f32_e32 v34, v11, v41
	v_fmac_f32_e32 v13, v14, v41
	v_fmac_f32_e32 v36, v15, v41
	v_fmac_f32_e32 v33, v3, v41
	v_fma_f32 v26, -v11, v42, v9
	v_fmac_f32_e32 v34, v10, v42
	global_load_dwordx4 v[8:11], v[27:28], off offset:1056
	v_fma_f32 v46, -v15, v42, v13
	v_fmac_f32_e32 v36, v14, v42
	global_load_dwordx4 v[12:15], v[27:28], off offset:1088
	v_fmac_f32_e32 v33, v2, v42
	v_fma_f32 v5, -v5, v40, v49
	v_fmac_f32_e32 v35, v4, v40
	v_fmac_f32_e32 v5, v6, v41
	;; [unrolled: 1-line block ×3, first 2 shown]
	v_fma_f32 v45, -v7, v42, v5
	v_fmac_f32_e32 v35, v6, v42
	global_load_dwordx4 v[4:7], v[27:28], off offset:1024
	s_waitcnt vmcnt(3)
	v_subrev_u32_e32 v0, s16, v0
	v_lshlrev_b32_e32 v0, 2, v0
	v_ashrrev_i32_e32 v1, 31, v0
	v_lshlrev_b64 v[0:1], 3, v[0:1]
	v_add_co_u32_e32 v43, vcc, s6, v0
	v_addc_co_u32_e32 v44, vcc, v38, v1, vcc
	global_load_dwordx4 v[0:3], v[43:44], off
	s_waitcnt vmcnt(0)
	v_fmac_f32_e32 v46, v12, v0
	v_fmac_f32_e32 v36, v13, v0
	v_fma_f32 v13, -v13, v1, v46
	v_fmac_f32_e32 v36, v12, v1
	v_fmac_f32_e32 v13, v14, v2
	v_fmac_f32_e32 v36, v15, v2
	v_fma_f32 v46, -v15, v3, v13
	v_fmac_f32_e32 v36, v14, v3
	global_load_dwordx4 v[12:15], v[27:28], off offset:1040
	v_fmac_f32_e32 v26, v4, v0
	v_fmac_f32_e32 v34, v5, v0
	v_fma_f32 v5, -v5, v1, v26
	v_fmac_f32_e32 v34, v4, v1
	v_fmac_f32_e32 v5, v6, v2
	v_fmac_f32_e32 v34, v7, v2
	v_fma_f32 v26, -v7, v3, v5
	v_fmac_f32_e32 v34, v6, v3
	global_load_dwordx4 v[4:7], v[27:28], off offset:1120
	;; [unrolled: 9-line block ×3, first 2 shown]
	s_waitcnt vmcnt(1)
	v_fmac_f32_e32 v39, v4, v0
	v_fmac_f32_e32 v33, v5, v0
	v_fma_f32 v0, -v5, v1, v39
	v_fmac_f32_e32 v33, v4, v1
	v_fmac_f32_e32 v0, v6, v2
	;; [unrolled: 1-line block ×3, first 2 shown]
	v_fma_f32 v47, -v7, v3, v0
	v_fmac_f32_e32 v33, v6, v3
	global_load_dwordx4 v[0:3], v[27:28], off offset:1136
	global_load_dwordx4 v[4:7], v[27:28], off offset:1104
	;; [unrolled: 1-line block ×3, first 2 shown]
	s_waitcnt vmcnt(0)
	v_fmac_f32_e32 v33, v1, v39
	v_fmac_f32_e32 v47, v0, v39
	;; [unrolled: 1-line block ×3, first 2 shown]
	global_load_dword v0, v[29:30], off offset:64
	v_fmac_f32_e32 v26, v12, v39
	v_fmac_f32_e32 v34, v13, v39
	;; [unrolled: 1-line block ×6, first 2 shown]
	v_fma_f32 v1, -v1, v40, v47
	v_fma_f32 v13, -v13, v40, v26
	v_fmac_f32_e32 v34, v12, v40
	v_fma_f32 v9, -v9, v40, v45
	v_fmac_f32_e32 v35, v8, v40
	;; [unrolled: 2-line block ×3, first 2 shown]
	v_fmac_f32_e32 v1, v2, v41
	v_fmac_f32_e32 v13, v14, v41
	;; [unrolled: 1-line block ×8, first 2 shown]
	v_fma_f32 v41, -v3, v42, v1
	v_fma_f32 v26, -v15, v42, v13
	v_fmac_f32_e32 v34, v14, v42
	global_load_dwordx4 v[12:15], v[27:28], off offset:2080
	v_fma_f32 v44, -v7, v42, v5
	v_fmac_f32_e32 v36, v6, v42
	global_load_dwordx4 v[4:7], v[27:28], off offset:2112
	v_fmac_f32_e32 v33, v2, v42
	v_fma_f32 v43, -v11, v42, v9
	v_fmac_f32_e32 v35, v10, v42
	global_load_dwordx4 v[8:11], v[27:28], off offset:2048
	s_waitcnt vmcnt(3)
	v_subrev_u32_e32 v0, s16, v0
	v_lshlrev_b32_e32 v0, 2, v0
	v_ashrrev_i32_e32 v1, 31, v0
	v_lshlrev_b64 v[0:1], 3, v[0:1]
	v_add_co_u32_e32 v39, vcc, s6, v0
	v_addc_co_u32_e32 v40, vcc, v38, v1, vcc
	global_load_dwordx4 v[0:3], v[39:40], off
	s_waitcnt vmcnt(0)
	v_fmac_f32_e32 v44, v4, v0
	v_fmac_f32_e32 v36, v5, v0
	v_fma_f32 v5, -v5, v1, v44
	v_fmac_f32_e32 v36, v4, v1
	v_fmac_f32_e32 v5, v6, v2
	v_fmac_f32_e32 v36, v7, v2
	v_fma_f32 v47, -v7, v3, v5
	v_fmac_f32_e32 v36, v6, v3
	global_load_dwordx4 v[4:7], v[27:28], off offset:2064
	v_fmac_f32_e32 v26, v8, v0
	v_fmac_f32_e32 v34, v9, v0
	v_fma_f32 v9, -v9, v1, v26
	v_fmac_f32_e32 v34, v8, v1
	v_fmac_f32_e32 v9, v10, v2
	v_fmac_f32_e32 v34, v11, v2
	v_fma_f32 v26, -v11, v3, v9
	v_fmac_f32_e32 v34, v10, v3
	global_load_dwordx4 v[8:11], v[27:28], off offset:2144
	;; [unrolled: 9-line block ×3, first 2 shown]
	s_waitcnt vmcnt(1)
	v_fmac_f32_e32 v41, v8, v0
	v_fmac_f32_e32 v33, v9, v0
	v_fma_f32 v0, -v9, v1, v41
	v_fmac_f32_e32 v33, v8, v1
	v_fmac_f32_e32 v0, v10, v2
	;; [unrolled: 1-line block ×3, first 2 shown]
	v_fma_f32 v48, -v11, v3, v0
	v_fmac_f32_e32 v33, v10, v3
	global_load_dwordx4 v[8:11], v[27:28], off offset:2160
	global_load_dwordx4 v[0:3], v[27:28], off offset:2128
	;; [unrolled: 1-line block ×3, first 2 shown]
	s_waitcnt vmcnt(0)
	v_fmac_f32_e32 v26, v4, v42
	v_fmac_f32_e32 v34, v5, v42
	v_fmac_f32_e32 v46, v12, v42
	v_fmac_f32_e32 v35, v13, v42
	v_fmac_f32_e32 v47, v0, v42
	v_fmac_f32_e32 v36, v1, v42
	v_fmac_f32_e32 v48, v8, v42
	v_fmac_f32_e32 v33, v9, v42
	v_fma_f32 v5, -v5, v43, v26
	v_fmac_f32_e32 v34, v4, v43
	v_fma_f32 v13, -v13, v43, v46
	v_fmac_f32_e32 v35, v12, v43
	;; [unrolled: 2-line block ×4, first 2 shown]
	v_fmac_f32_e32 v5, v6, v44
	v_fmac_f32_e32 v34, v7, v44
	;; [unrolled: 1-line block ×8, first 2 shown]
	v_fma_f32 v41, -v7, v45, v5
	v_fmac_f32_e32 v34, v6, v45
	global_load_dwordx4 v[4:7], v[27:28], off offset:3104
	v_fma_f32 v40, -v15, v45, v13
	v_fmac_f32_e32 v35, v14, v45
	global_load_dwordx4 v[12:15], v[27:28], off offset:3072
	;; [unrolled: 3-line block ×4, first 2 shown]
	global_load_dword v42, v[29:30], off offset:96
	s_waitcnt vmcnt(0)
	v_subrev_u32_e32 v29, s16, v42
	v_lshlrev_b32_e32 v29, 2, v29
	v_ashrrev_i32_e32 v30, 31, v29
	v_lshlrev_b64 v[29:30], 3, v[29:30]
	v_add_co_u32_e32 v29, vcc, s6, v29
	v_addc_co_u32_e32 v30, vcc, v38, v30, vcc
	global_load_dwordx4 v[42:45], v[29:30], off
	s_waitcnt vmcnt(0)
	v_fmac_f32_e32 v41, v12, v42
	v_fmac_f32_e32 v34, v13, v42
	v_fmac_f32_e32 v40, v4, v42
	v_fmac_f32_e32 v35, v5, v42
	v_fmac_f32_e32 v39, v8, v42
	v_fmac_f32_e32 v36, v9, v42
	v_fmac_f32_e32 v26, v0, v42
	v_fmac_f32_e32 v33, v1, v42
	v_fma_f32 v13, -v13, v43, v41
	v_fmac_f32_e32 v34, v12, v43
	v_fma_f32 v5, -v5, v43, v40
	v_fmac_f32_e32 v35, v4, v43
	;; [unrolled: 2-line block ×4, first 2 shown]
	v_fmac_f32_e32 v13, v14, v44
	v_fmac_f32_e32 v34, v15, v44
	;; [unrolled: 1-line block ×8, first 2 shown]
	v_fma_f32 v46, -v15, v45, v13
	v_fmac_f32_e32 v34, v14, v45
	global_load_dwordx4 v[12:15], v[27:28], off offset:3120
	v_fma_f32 v47, -v7, v45, v5
	v_fmac_f32_e32 v35, v6, v45
	global_load_dwordx4 v[4:7], v[27:28], off offset:3088
	;; [unrolled: 3-line block ×4, first 2 shown]
	global_load_dwordx4 v[39:42], v[29:30], off offset:16
	v_add_co_u32_e32 v27, vcc, 0x1000, v27
	v_addc_co_u32_e32 v28, vcc, 0, v28, vcc
	v_cmp_ge_i32_e32 vcc, v25, v32
	s_or_b64 s[10:11], vcc, s[10:11]
	s_waitcnt vmcnt(0)
	v_fmac_f32_e32 v46, v4, v39
	v_fmac_f32_e32 v34, v5, v39
	;; [unrolled: 1-line block ×8, first 2 shown]
	v_fma_f32 v5, -v5, v40, v46
	v_fmac_f32_e32 v34, v4, v40
	v_fma_f32 v4, -v13, v40, v47
	v_fmac_f32_e32 v35, v12, v40
	;; [unrolled: 2-line block ×4, first 2 shown]
	v_fmac_f32_e32 v5, v6, v41
	v_fmac_f32_e32 v34, v7, v41
	;; [unrolled: 1-line block ×8, first 2 shown]
	v_fma_f32 v7, -v7, v42, v5
	v_fmac_f32_e32 v34, v6, v42
	v_fma_f32 v6, -v15, v42, v4
	v_fmac_f32_e32 v35, v14, v42
	v_fma_f32 v3, -v3, v42, v1
	v_fmac_f32_e32 v36, v2, v42
	v_fma_f32 v2, -v11, v42, v0
	v_fmac_f32_e32 v33, v10, v42
	s_andn2_b64 exec, exec, s[10:11]
	s_cbranch_execnz .LBB11_19
; %bb.20:
	s_or_b64 exec, exec, s[10:11]
.LBB11_21:
	s_or_b64 exec, exec, s[2:3]
.LBB11_22:
	s_or_b64 exec, exec, s[8:9]
	s_cbranch_execz .LBB11_24
	s_branch .LBB11_35
.LBB11_23:
                                        ; implicit-def: $vgpr34
                                        ; implicit-def: $vgpr7
                                        ; implicit-def: $vgpr2
                                        ; implicit-def: $vgpr33
                                        ; implicit-def: $vgpr3
                                        ; implicit-def: $vgpr36
                                        ; implicit-def: $vgpr6
                                        ; implicit-def: $vgpr35
.LBB11_24:
	v_mov_b32_e32 v34, 0
	v_mov_b32_e32 v7, 0
	;; [unrolled: 1-line block ×8, first 2 shown]
	s_and_saveexec_b64 s[2:3], s[0:1]
	s_cbranch_execz .LBB11_34
; %bb.25:
	v_add_u32_e32 v0, v37, v31
	v_subrev_u32_e32 v0, s16, v0
	v_add_u32_e32 v0, 8, v0
	v_max_i32_e32 v0, v0, v32
	v_not_b32_e32 v1, v37
	v_add3_u32 v0, s16, v0, v1
	v_sub_u32_e32 v0, v0, v31
	v_and_b32_e32 v1, 24, v0
	v_cmp_ne_u32_e32 vcc, 24, v1
	v_mov_b32_e32 v35, 0
	v_mov_b32_e32 v6, 0
	;; [unrolled: 1-line block ×8, first 2 shown]
	s_and_saveexec_b64 s[8:9], vcc
	s_cbranch_execz .LBB11_29
; %bb.26:
	v_lshrrev_b32_e32 v1, 3, v0
	v_add_u32_e32 v1, 1, v1
	v_and_b32_e32 v1, 3, v1
	v_sub_u32_e32 v1, 0, v1
	v_mov_b32_e32 v34, 0
	s_mov_b64 s[10:11], 0
	v_mov_b32_e32 v4, s13
	v_mov_b32_e32 v5, s7
	;; [unrolled: 1-line block ×9, first 2 shown]
.LBB11_27:                              ; =>This Inner Loop Header: Depth=1
	v_ashrrev_i32_e32 v22, 31, v21
	v_lshlrev_b64 v[8:9], 2, v[21:22]
	v_add_co_u32_e64 v1, s[0:1], 1, v1
	v_add_co_u32_e32 v29, vcc, s12, v8
	v_addc_co_u32_e32 v30, vcc, v4, v9, vcc
	global_load_dword v22, v[29:30], off
	global_load_dwordx4 v[8:11], v[23:24], off offset:16
	global_load_dwordx4 v[12:15], v[23:24], off
	global_load_dwordx4 v[25:28], v[23:24], off offset:32
	global_load_dwordx4 v[37:40], v[23:24], off offset:48
	;; [unrolled: 1-line block ×5, first 2 shown]
	v_add_u32_e32 v21, 8, v21
	s_or_b64 s[10:11], s[0:1], s[10:11]
	s_waitcnt vmcnt(7)
	v_subrev_u32_e32 v22, s16, v22
	v_lshlrev_b32_e32 v29, 2, v22
	v_ashrrev_i32_e32 v30, 31, v29
	v_lshlrev_b64 v[29:30], 3, v[29:30]
	v_add_co_u32_e32 v29, vcc, s6, v29
	v_addc_co_u32_e32 v30, vcc, v5, v30, vcc
	global_load_dwordx4 v[53:56], v[29:30], off
	global_load_dwordx4 v[57:60], v[29:30], off offset:16
	global_load_dwordx4 v[61:64], v[23:24], off offset:112
	v_add_co_u32_e32 v23, vcc, 0x400, v23
	v_addc_co_u32_e32 v24, vcc, 0, v24, vcc
	s_waitcnt vmcnt(2)
	v_fmac_f32_e32 v7, v12, v53
	v_fmac_f32_e32 v34, v13, v53
	;; [unrolled: 1-line block ×8, first 2 shown]
	v_fma_f32 v7, -v13, v54, v7
	v_fmac_f32_e32 v34, v12, v54
	v_fma_f32 v6, -v15, v54, v6
	v_fmac_f32_e32 v35, v14, v54
	;; [unrolled: 2-line block ×4, first 2 shown]
	v_fmac_f32_e32 v7, v25, v55
	v_fmac_f32_e32 v34, v26, v55
	;; [unrolled: 1-line block ×8, first 2 shown]
	v_fma_f32 v7, -v26, v56, v7
	v_fmac_f32_e32 v34, v25, v56
	v_fma_f32 v6, -v28, v56, v6
	v_fmac_f32_e32 v35, v27, v56
	;; [unrolled: 2-line block ×4, first 2 shown]
	s_waitcnt vmcnt(1)
	v_fmac_f32_e32 v7, v49, v57
	v_fmac_f32_e32 v34, v50, v57
	;; [unrolled: 1-line block ×8, first 2 shown]
	v_fma_f32 v7, -v50, v58, v7
	v_fmac_f32_e32 v34, v49, v58
	v_fma_f32 v6, -v52, v58, v6
	v_fmac_f32_e32 v35, v51, v58
	;; [unrolled: 2-line block ×4, first 2 shown]
	v_fmac_f32_e32 v7, v41, v59
	v_fmac_f32_e32 v34, v42, v59
	;; [unrolled: 1-line block ×4, first 2 shown]
	s_waitcnt vmcnt(0)
	v_fmac_f32_e32 v3, v61, v59
	v_fmac_f32_e32 v36, v62, v59
	v_fmac_f32_e32 v2, v63, v59
	v_fmac_f32_e32 v33, v64, v59
	v_fma_f32 v7, -v42, v60, v7
	v_fmac_f32_e32 v34, v41, v60
	v_fma_f32 v6, -v44, v60, v6
	v_fmac_f32_e32 v35, v43, v60
	;; [unrolled: 2-line block ×4, first 2 shown]
	s_andn2_b64 exec, exec, s[10:11]
	s_cbranch_execnz .LBB11_27
; %bb.28:
	s_or_b64 exec, exec, s[10:11]
.LBB11_29:
	s_or_b64 exec, exec, s[8:9]
	v_cmp_lt_u32_e32 vcc, 23, v0
	s_and_saveexec_b64 s[0:1], vcc
	s_cbranch_execz .LBB11_33
; %bb.30:
	s_mov_b64 s[8:9], 0
	v_mov_b32_e32 v4, s13
	v_mov_b32_e32 v5, s7
.LBB11_31:                              ; =>This Inner Loop Header: Depth=1
	v_ashrrev_i32_e32 v22, 31, v21
	v_lshlrev_b64 v[0:1], 2, v[21:22]
	global_load_dwordx4 v[8:11], v[23:24], off offset:32
	global_load_dwordx4 v[12:15], v[23:24], off offset:16
	global_load_dwordx4 v[25:28], v[23:24], off
	v_add_co_u32_e32 v0, vcc, s12, v0
	v_addc_co_u32_e32 v1, vcc, v4, v1, vcc
	global_load_dword v22, v[0:1], off
	v_add_u32_e32 v21, 32, v21
	s_waitcnt vmcnt(0)
	v_subrev_u32_e32 v22, s16, v22
	v_lshlrev_b32_e32 v29, 2, v22
	v_ashrrev_i32_e32 v30, 31, v29
	v_lshlrev_b64 v[29:30], 3, v[29:30]
	v_add_co_u32_e32 v29, vcc, s6, v29
	v_addc_co_u32_e32 v30, vcc, v5, v30, vcc
	global_load_dwordx4 v[37:40], v[29:30], off
	s_waitcnt vmcnt(0)
	v_fmac_f32_e32 v7, v25, v37
	v_fmac_f32_e32 v34, v26, v37
	;; [unrolled: 1-line block ×4, first 2 shown]
	v_fma_f32 v7, -v26, v38, v7
	v_fmac_f32_e32 v34, v25, v38
	v_fma_f32 v6, -v28, v38, v6
	v_fmac_f32_e32 v35, v27, v38
	global_load_dwordx4 v[25:28], v[23:24], off offset:48
	v_fmac_f32_e32 v3, v12, v37
	v_fmac_f32_e32 v36, v13, v37
	;; [unrolled: 1-line block ×4, first 2 shown]
	v_fma_f32 v3, -v13, v38, v3
	v_fmac_f32_e32 v36, v12, v38
	v_fma_f32 v2, -v15, v38, v2
	v_fmac_f32_e32 v33, v14, v38
	v_fmac_f32_e32 v7, v8, v39
	;; [unrolled: 1-line block ×5, first 2 shown]
	v_fma_f32 v22, -v9, v40, v7
	v_fmac_f32_e32 v34, v8, v40
	v_fma_f32 v11, -v11, v40, v6
	global_load_dwordx4 v[6:9], v[23:24], off offset:96
	global_load_dwordx4 v[12:15], v[23:24], off offset:112
	v_fmac_f32_e32 v35, v10, v40
	s_waitcnt vmcnt(2)
	v_fmac_f32_e32 v3, v25, v39
	v_fmac_f32_e32 v36, v26, v39
	;; [unrolled: 1-line block ×4, first 2 shown]
	v_fma_f32 v3, -v26, v40, v3
	v_fmac_f32_e32 v36, v25, v40
	v_fma_f32 v2, -v28, v40, v2
	v_fmac_f32_e32 v33, v27, v40
	global_load_dwordx4 v[25:28], v[23:24], off offset:80
	global_load_dwordx4 v[37:40], v[23:24], off offset:64
	;; [unrolled: 1-line block ×3, first 2 shown]
	s_waitcnt vmcnt(0)
	v_fmac_f32_e32 v2, v27, v41
	v_fmac_f32_e32 v33, v28, v41
	v_fma_f32 v2, -v28, v42, v2
	v_fmac_f32_e32 v33, v27, v42
	v_fmac_f32_e32 v2, v14, v43
	;; [unrolled: 1-line block ×3, first 2 shown]
	v_fma_f32 v15, -v15, v44, v2
	global_load_dword v2, v[0:1], off offset:32
	v_fmac_f32_e32 v3, v25, v41
	v_fma_f32 v3, -v26, v42, v3
	v_fmac_f32_e32 v3, v12, v43
	v_fma_f32 v30, -v13, v44, v3
	v_fmac_f32_e32 v22, v37, v41
	v_fmac_f32_e32 v34, v38, v41
	;; [unrolled: 1-line block ×5, first 2 shown]
	v_fma_f32 v10, -v38, v42, v22
	v_fmac_f32_e32 v34, v37, v42
	v_fma_f32 v11, -v40, v42, v11
	v_fmac_f32_e32 v35, v39, v42
	v_fmac_f32_e32 v36, v25, v42
	;; [unrolled: 1-line block ×7, first 2 shown]
	global_load_dwordx4 v[25:28], v[23:24], off offset:1040
	v_fma_f32 v22, -v7, v44, v10
	v_fmac_f32_e32 v34, v6, v44
	v_fma_f32 v29, -v9, v44, v11
	v_fmac_f32_e32 v35, v8, v44
	global_load_dwordx4 v[6:9], v[23:24], off offset:1024
	v_fmac_f32_e32 v36, v12, v44
	global_load_dwordx4 v[37:40], v[23:24], off offset:1056
	v_fmac_f32_e32 v33, v14, v44
	s_waitcnt vmcnt(3)
	v_subrev_u32_e32 v2, s16, v2
	v_lshlrev_b32_e32 v2, 2, v2
	v_ashrrev_i32_e32 v3, 31, v2
	v_lshlrev_b64 v[2:3], 3, v[2:3]
	v_add_co_u32_e32 v2, vcc, s6, v2
	v_addc_co_u32_e32 v3, vcc, v5, v3, vcc
	global_load_dwordx4 v[10:13], v[2:3], off
	s_waitcnt vmcnt(0)
	v_fmac_f32_e32 v22, v6, v10
	v_fmac_f32_e32 v34, v7, v10
	;; [unrolled: 1-line block ×4, first 2 shown]
	v_fma_f32 v14, -v7, v11, v22
	v_fmac_f32_e32 v34, v6, v11
	v_fma_f32 v22, -v9, v11, v29
	v_fmac_f32_e32 v35, v8, v11
	global_load_dwordx4 v[6:9], v[23:24], off offset:1072
	v_fmac_f32_e32 v30, v25, v10
	v_fmac_f32_e32 v36, v26, v10
	;; [unrolled: 1-line block ×4, first 2 shown]
	v_fma_f32 v10, -v26, v11, v30
	v_fmac_f32_e32 v36, v25, v11
	v_fma_f32 v15, -v28, v11, v15
	v_fmac_f32_e32 v33, v27, v11
	v_fmac_f32_e32 v14, v37, v12
	;; [unrolled: 1-line block ×5, first 2 shown]
	global_load_dwordx4 v[25:28], v[23:24], off offset:1136
	v_fma_f32 v14, -v38, v13, v14
	v_fmac_f32_e32 v34, v37, v13
	v_fma_f32 v22, -v40, v13, v22
	v_fmac_f32_e32 v35, v39, v13
	global_load_dwordx4 v[37:40], v[23:24], off offset:1120
	s_waitcnt vmcnt(2)
	v_fmac_f32_e32 v10, v6, v12
	v_fmac_f32_e32 v36, v7, v12
	;; [unrolled: 1-line block ×4, first 2 shown]
	v_fma_f32 v29, -v7, v13, v10
	v_fmac_f32_e32 v36, v6, v13
	v_fma_f32 v15, -v9, v13, v15
	v_fmac_f32_e32 v33, v8, v13
	global_load_dwordx4 v[6:9], v[23:24], off offset:1104
	global_load_dwordx4 v[10:13], v[23:24], off offset:1088
	;; [unrolled: 1-line block ×3, first 2 shown]
	s_waitcnt vmcnt(0)
	v_fmac_f32_e32 v14, v10, v41
	v_fma_f32 v2, -v11, v42, v14
	v_fmac_f32_e32 v22, v12, v41
	v_fmac_f32_e32 v2, v37, v43
	v_fma_f32 v3, -v13, v42, v22
	v_fma_f32 v22, -v38, v44, v2
	global_load_dword v2, v[0:1], off offset:64
	v_fmac_f32_e32 v29, v6, v41
	v_fmac_f32_e32 v3, v39, v43
	v_fma_f32 v14, -v7, v42, v29
	v_fma_f32 v29, -v40, v44, v3
	v_fmac_f32_e32 v34, v11, v41
	v_fmac_f32_e32 v35, v13, v41
	;; [unrolled: 1-line block ×8, first 2 shown]
	v_fma_f32 v15, -v9, v42, v15
	v_fmac_f32_e32 v33, v8, v42
	v_fmac_f32_e32 v34, v38, v43
	;; [unrolled: 1-line block ×7, first 2 shown]
	global_load_dwordx4 v[6:9], v[23:24], off offset:2064
	v_fmac_f32_e32 v34, v37, v44
	v_fmac_f32_e32 v35, v39, v44
	global_load_dwordx4 v[37:40], v[23:24], off offset:2048
	v_fma_f32 v14, -v26, v44, v14
	v_fmac_f32_e32 v36, v25, v44
	v_fma_f32 v15, -v28, v44, v15
	v_fmac_f32_e32 v33, v27, v44
	global_load_dwordx4 v[10:13], v[23:24], off offset:2080
	s_waitcnt vmcnt(3)
	v_subrev_u32_e32 v2, s16, v2
	v_lshlrev_b32_e32 v2, 2, v2
	v_ashrrev_i32_e32 v3, 31, v2
	v_lshlrev_b64 v[2:3], 3, v[2:3]
	v_add_co_u32_e32 v2, vcc, s6, v2
	v_addc_co_u32_e32 v3, vcc, v5, v3, vcc
	global_load_dwordx4 v[25:28], v[2:3], off
	s_waitcnt vmcnt(0)
	v_fmac_f32_e32 v22, v37, v25
	v_fmac_f32_e32 v34, v38, v25
	;; [unrolled: 1-line block ×4, first 2 shown]
	v_fma_f32 v22, -v38, v26, v22
	v_fmac_f32_e32 v34, v37, v26
	v_fma_f32 v29, -v40, v26, v29
	v_fmac_f32_e32 v35, v39, v26
	global_load_dwordx4 v[37:40], v[23:24], off offset:2096
	v_fmac_f32_e32 v14, v6, v25
	v_fmac_f32_e32 v36, v7, v25
	;; [unrolled: 1-line block ×4, first 2 shown]
	v_fma_f32 v14, -v7, v26, v14
	v_fmac_f32_e32 v36, v6, v26
	v_fma_f32 v15, -v9, v26, v15
	v_fmac_f32_e32 v33, v8, v26
	v_fmac_f32_e32 v22, v10, v27
	;; [unrolled: 1-line block ×5, first 2 shown]
	global_load_dwordx4 v[6:9], v[23:24], off offset:2160
	v_fma_f32 v22, -v11, v28, v22
	v_fmac_f32_e32 v34, v10, v28
	v_fma_f32 v29, -v13, v28, v29
	v_fmac_f32_e32 v35, v12, v28
	global_load_dwordx4 v[10:13], v[23:24], off offset:2144
	s_waitcnt vmcnt(2)
	v_fmac_f32_e32 v14, v37, v27
	v_fmac_f32_e32 v36, v38, v27
	;; [unrolled: 1-line block ×4, first 2 shown]
	v_fma_f32 v14, -v38, v28, v14
	v_fmac_f32_e32 v36, v37, v28
	v_fma_f32 v15, -v40, v28, v15
	v_fmac_f32_e32 v33, v39, v28
	global_load_dwordx4 v[25:28], v[23:24], off offset:2128
	global_load_dwordx4 v[37:40], v[23:24], off offset:2112
	;; [unrolled: 1-line block ×3, first 2 shown]
	s_waitcnt vmcnt(0)
	v_fmac_f32_e32 v22, v37, v41
	v_fmac_f32_e32 v34, v38, v41
	;; [unrolled: 1-line block ×8, first 2 shown]
	v_fma_f32 v2, -v38, v42, v22
	v_fmac_f32_e32 v34, v37, v42
	v_fma_f32 v3, -v40, v42, v29
	v_fmac_f32_e32 v35, v39, v42
	;; [unrolled: 2-line block ×4, first 2 shown]
	v_fmac_f32_e32 v2, v10, v43
	v_fmac_f32_e32 v34, v11, v43
	;; [unrolled: 1-line block ×8, first 2 shown]
	global_load_dwordx4 v[37:40], v[23:24], off offset:3120
	global_load_dwordx4 v[25:28], v[23:24], off offset:3104
	v_fma_f32 v22, -v11, v44, v2
	v_fmac_f32_e32 v34, v10, v44
	v_fma_f32 v29, -v13, v44, v3
	v_fmac_f32_e32 v35, v12, v44
	global_load_dwordx4 v[10:13], v[23:24], off offset:3088
	v_fma_f32 v30, -v7, v44, v14
	v_fmac_f32_e32 v36, v6, v44
	v_fma_f32 v41, -v9, v44, v15
	v_fmac_f32_e32 v33, v8, v44
	global_load_dwordx4 v[6:9], v[23:24], off offset:3072
	global_load_dword v2, v[0:1], off offset:96
	s_waitcnt vmcnt(0)
	v_subrev_u32_e32 v0, s16, v2
	v_lshlrev_b32_e32 v0, 2, v0
	v_ashrrev_i32_e32 v1, 31, v0
	v_lshlrev_b64 v[0:1], 3, v[0:1]
	v_add_co_u32_e32 v14, vcc, s6, v0
	v_addc_co_u32_e32 v15, vcc, v5, v1, vcc
	global_load_dwordx4 v[0:3], v[14:15], off
	s_waitcnt vmcnt(0)
	v_fmac_f32_e32 v22, v6, v0
	v_fmac_f32_e32 v34, v7, v0
	;; [unrolled: 1-line block ×4, first 2 shown]
	v_fma_f32 v22, -v7, v1, v22
	v_fmac_f32_e32 v34, v6, v1
	v_fma_f32 v29, -v9, v1, v29
	v_fmac_f32_e32 v35, v8, v1
	v_fmac_f32_e32 v30, v10, v0
	;; [unrolled: 1-line block ×5, first 2 shown]
	v_fma_f32 v0, -v11, v1, v30
	v_fmac_f32_e32 v36, v10, v1
	v_fma_f32 v30, -v13, v1, v41
	v_fmac_f32_e32 v33, v12, v1
	v_fmac_f32_e32 v22, v25, v2
	v_fmac_f32_e32 v34, v26, v2
	v_fmac_f32_e32 v29, v27, v2
	v_fmac_f32_e32 v35, v28, v2
	global_load_dwordx4 v[10:13], v[23:24], off offset:3152
	v_fma_f32 v1, -v26, v3, v22
	v_fmac_f32_e32 v34, v25, v3
	v_fma_f32 v22, -v28, v3, v29
	v_fmac_f32_e32 v35, v27, v3
	global_load_dwordx4 v[25:28], v[23:24], off offset:3136
	v_fmac_f32_e32 v0, v37, v2
	v_fmac_f32_e32 v36, v38, v2
	;; [unrolled: 1-line block ×4, first 2 shown]
	global_load_dwordx4 v[6:9], v[23:24], off offset:3168
	v_fma_f32 v0, -v38, v3, v0
	v_fmac_f32_e32 v36, v37, v3
	v_fma_f32 v2, -v40, v3, v30
	v_fmac_f32_e32 v33, v39, v3
	global_load_dwordx4 v[37:40], v[14:15], off offset:16
	global_load_dwordx4 v[41:44], v[23:24], off offset:3184
	v_add_co_u32_e32 v23, vcc, 0x1000, v23
	v_addc_co_u32_e32 v24, vcc, 0, v24, vcc
	v_cmp_ge_i32_e32 vcc, v21, v32
	s_or_b64 s[8:9], vcc, s[8:9]
	s_waitcnt vmcnt(1)
	v_fmac_f32_e32 v1, v25, v37
	v_fmac_f32_e32 v34, v26, v37
	;; [unrolled: 1-line block ×8, first 2 shown]
	v_fma_f32 v1, -v26, v38, v1
	v_fmac_f32_e32 v34, v25, v38
	v_fma_f32 v3, -v28, v38, v22
	v_fmac_f32_e32 v35, v27, v38
	;; [unrolled: 2-line block ×4, first 2 shown]
	v_fmac_f32_e32 v1, v6, v39
	v_fmac_f32_e32 v34, v7, v39
	;; [unrolled: 1-line block ×4, first 2 shown]
	s_waitcnt vmcnt(0)
	v_fmac_f32_e32 v0, v41, v39
	v_fmac_f32_e32 v36, v42, v39
	;; [unrolled: 1-line block ×4, first 2 shown]
	v_fma_f32 v7, -v7, v40, v1
	v_fmac_f32_e32 v34, v6, v40
	v_fma_f32 v6, -v9, v40, v3
	v_fmac_f32_e32 v35, v8, v40
	;; [unrolled: 2-line block ×4, first 2 shown]
	s_andn2_b64 exec, exec, s[8:9]
	s_cbranch_execnz .LBB11_31
; %bb.32:
	s_or_b64 exec, exec, s[8:9]
.LBB11_33:
	s_or_b64 exec, exec, s[0:1]
.LBB11_34:
	s_or_b64 exec, exec, s[2:3]
.LBB11_35:
	v_mov_b32_dpp v0, v7 row_shr:1 row_mask:0xf bank_mask:0xf
	v_add_f32_e32 v0, v7, v0
	v_mov_b32_dpp v4, v34 row_shr:1 row_mask:0xf bank_mask:0xf
	v_mov_b32_dpp v7, v6 row_shr:1 row_mask:0xf bank_mask:0xf
	;; [unrolled: 1-line block ×7, first 2 shown]
	v_add_f32_e32 v4, v34, v4
	v_add_f32_e32 v6, v6, v7
	;; [unrolled: 1-line block ×7, first 2 shown]
	v_mov_b32_dpp v1, v0 row_shr:2 row_mask:0xf bank_mask:0xf
	v_mov_b32_dpp v5, v4 row_shr:2 row_mask:0xf bank_mask:0xf
	;; [unrolled: 1-line block ×8, first 2 shown]
	v_add_f32_e32 v0, v0, v1
	v_add_f32_e32 v4, v4, v5
	;; [unrolled: 1-line block ×8, first 2 shown]
	v_mov_b32_dpp v1, v0 row_shr:4 row_mask:0xf bank_mask:0xe
	v_mov_b32_dpp v5, v4 row_shr:4 row_mask:0xf bank_mask:0xe
	;; [unrolled: 1-line block ×8, first 2 shown]
	v_cmp_eq_u32_e32 vcc, 7, v31
	s_and_b64 exec, exec, vcc
	s_cbranch_execz .LBB11_8
; %bb.36:
	s_load_dwordx2 s[2:3], s[4:5], 0x50
	v_add_f32_e32 v21, v0, v1
	v_add_f32_e32 v0, v4, v5
	;; [unrolled: 1-line block ×8, first 2 shown]
	v_cmp_eq_f32_e32 vcc, 0, v16
	v_cmp_eq_f32_e64 s[0:1], 0, v17
	v_mul_f32_e64 v4, v0, -v19
	v_mul_f32_e32 v5, v18, v0
	v_mul_f32_e64 v6, v1, -v19
	v_mul_f32_e32 v7, v18, v1
	;; [unrolled: 2-line block ×4, first 2 shown]
	s_and_b64 s[0:1], vcc, s[0:1]
	v_fmac_f32_e32 v4, v18, v21
	v_fmac_f32_e32 v5, v19, v21
	v_lshlrev_b32_e32 v8, 2, v20
	v_fmac_f32_e32 v6, v18, v22
	v_fmac_f32_e32 v7, v19, v22
	;; [unrolled: 1-line block ×6, first 2 shown]
	s_and_saveexec_b64 s[4:5], s[0:1]
	s_xor_b64 s[0:1], exec, s[4:5]
	s_cbranch_execz .LBB11_38
; %bb.37:
	v_ashrrev_i32_e32 v9, 31, v8
	v_lshlrev_b64 v[8:9], 3, v[8:9]
	s_waitcnt lgkmcnt(0)
	v_mov_b32_e32 v10, s3
	v_add_co_u32_e32 v8, vcc, s2, v8
	v_addc_co_u32_e32 v9, vcc, v10, v9, vcc
	global_store_dwordx4 v[8:9], v[4:7], off
	global_store_dwordx4 v[8:9], v[0:3], off offset:16
                                        ; implicit-def: $vgpr16_vgpr17
                                        ; implicit-def: $vgpr4
                                        ; implicit-def: $vgpr8
                                        ; implicit-def: $vgpr0
.LBB11_38:
	s_andn2_saveexec_b64 s[0:1], s[0:1]
	s_cbranch_execz .LBB11_8
; %bb.39:
	v_ashrrev_i32_e32 v9, 31, v8
	v_lshlrev_b64 v[8:9], 3, v[8:9]
	s_waitcnt lgkmcnt(0)
	v_mov_b32_e32 v10, s3
	v_add_co_u32_e32 v18, vcc, s2, v8
	v_addc_co_u32_e32 v19, vcc, v10, v9, vcc
	global_load_dwordx4 v[8:11], v[18:19], off
	global_load_dwordx4 v[12:15], v[18:19], off offset:16
	s_waitcnt vmcnt(1)
	v_fmac_f32_e32 v4, v16, v8
	v_fmac_f32_e32 v5, v17, v8
	;; [unrolled: 1-line block ×4, first 2 shown]
	s_waitcnt vmcnt(0)
	v_fmac_f32_e32 v0, v16, v12
	v_fmac_f32_e32 v1, v17, v12
	;; [unrolled: 1-line block ×4, first 2 shown]
	v_fma_f32 v4, -v17, v9, v4
	v_fmac_f32_e32 v5, v16, v9
	v_fma_f32 v6, -v17, v11, v6
	v_fmac_f32_e32 v7, v16, v11
	;; [unrolled: 2-line block ×4, first 2 shown]
	global_store_dwordx4 v[18:19], v[4:7], off
	global_store_dwordx4 v[18:19], v[0:3], off offset:16
	s_endpgm
	.section	.rodata,"a",@progbits
	.p2align	6, 0x0
	.amdhsa_kernel _ZN9rocsparseL18bsrxmvn_4x4_kernelILj128ELj8E21rocsparse_complex_numIfEiiS2_S2_S2_EEvT3_20rocsparse_direction_NS_24const_host_device_scalarIT1_EES3_PKS3_PKT2_SC_S9_PKT4_PKT5_S7_PT6_21rocsparse_index_base_b
		.amdhsa_group_segment_fixed_size 0
		.amdhsa_private_segment_fixed_size 0
		.amdhsa_kernarg_size 96
		.amdhsa_user_sgpr_count 6
		.amdhsa_user_sgpr_private_segment_buffer 1
		.amdhsa_user_sgpr_dispatch_ptr 0
		.amdhsa_user_sgpr_queue_ptr 0
		.amdhsa_user_sgpr_kernarg_segment_ptr 1
		.amdhsa_user_sgpr_dispatch_id 0
		.amdhsa_user_sgpr_flat_scratch_init 0
		.amdhsa_user_sgpr_private_segment_size 0
		.amdhsa_uses_dynamic_stack 0
		.amdhsa_system_sgpr_private_segment_wavefront_offset 0
		.amdhsa_system_sgpr_workgroup_id_x 1
		.amdhsa_system_sgpr_workgroup_id_y 0
		.amdhsa_system_sgpr_workgroup_id_z 0
		.amdhsa_system_sgpr_workgroup_info 0
		.amdhsa_system_vgpr_workitem_id 0
		.amdhsa_next_free_vgpr 65
		.amdhsa_next_free_sgpr 18
		.amdhsa_reserve_vcc 1
		.amdhsa_reserve_flat_scratch 0
		.amdhsa_float_round_mode_32 0
		.amdhsa_float_round_mode_16_64 0
		.amdhsa_float_denorm_mode_32 3
		.amdhsa_float_denorm_mode_16_64 3
		.amdhsa_dx10_clamp 1
		.amdhsa_ieee_mode 1
		.amdhsa_fp16_overflow 0
		.amdhsa_exception_fp_ieee_invalid_op 0
		.amdhsa_exception_fp_denorm_src 0
		.amdhsa_exception_fp_ieee_div_zero 0
		.amdhsa_exception_fp_ieee_overflow 0
		.amdhsa_exception_fp_ieee_underflow 0
		.amdhsa_exception_fp_ieee_inexact 0
		.amdhsa_exception_int_div_zero 0
	.end_amdhsa_kernel
	.section	.text._ZN9rocsparseL18bsrxmvn_4x4_kernelILj128ELj8E21rocsparse_complex_numIfEiiS2_S2_S2_EEvT3_20rocsparse_direction_NS_24const_host_device_scalarIT1_EES3_PKS3_PKT2_SC_S9_PKT4_PKT5_S7_PT6_21rocsparse_index_base_b,"axG",@progbits,_ZN9rocsparseL18bsrxmvn_4x4_kernelILj128ELj8E21rocsparse_complex_numIfEiiS2_S2_S2_EEvT3_20rocsparse_direction_NS_24const_host_device_scalarIT1_EES3_PKS3_PKT2_SC_S9_PKT4_PKT5_S7_PT6_21rocsparse_index_base_b,comdat
.Lfunc_end11:
	.size	_ZN9rocsparseL18bsrxmvn_4x4_kernelILj128ELj8E21rocsparse_complex_numIfEiiS2_S2_S2_EEvT3_20rocsparse_direction_NS_24const_host_device_scalarIT1_EES3_PKS3_PKT2_SC_S9_PKT4_PKT5_S7_PT6_21rocsparse_index_base_b, .Lfunc_end11-_ZN9rocsparseL18bsrxmvn_4x4_kernelILj128ELj8E21rocsparse_complex_numIfEiiS2_S2_S2_EEvT3_20rocsparse_direction_NS_24const_host_device_scalarIT1_EES3_PKS3_PKT2_SC_S9_PKT4_PKT5_S7_PT6_21rocsparse_index_base_b
                                        ; -- End function
	.set _ZN9rocsparseL18bsrxmvn_4x4_kernelILj128ELj8E21rocsparse_complex_numIfEiiS2_S2_S2_EEvT3_20rocsparse_direction_NS_24const_host_device_scalarIT1_EES3_PKS3_PKT2_SC_S9_PKT4_PKT5_S7_PT6_21rocsparse_index_base_b.num_vgpr, 65
	.set _ZN9rocsparseL18bsrxmvn_4x4_kernelILj128ELj8E21rocsparse_complex_numIfEiiS2_S2_S2_EEvT3_20rocsparse_direction_NS_24const_host_device_scalarIT1_EES3_PKS3_PKT2_SC_S9_PKT4_PKT5_S7_PT6_21rocsparse_index_base_b.num_agpr, 0
	.set _ZN9rocsparseL18bsrxmvn_4x4_kernelILj128ELj8E21rocsparse_complex_numIfEiiS2_S2_S2_EEvT3_20rocsparse_direction_NS_24const_host_device_scalarIT1_EES3_PKS3_PKT2_SC_S9_PKT4_PKT5_S7_PT6_21rocsparse_index_base_b.numbered_sgpr, 18
	.set _ZN9rocsparseL18bsrxmvn_4x4_kernelILj128ELj8E21rocsparse_complex_numIfEiiS2_S2_S2_EEvT3_20rocsparse_direction_NS_24const_host_device_scalarIT1_EES3_PKS3_PKT2_SC_S9_PKT4_PKT5_S7_PT6_21rocsparse_index_base_b.num_named_barrier, 0
	.set _ZN9rocsparseL18bsrxmvn_4x4_kernelILj128ELj8E21rocsparse_complex_numIfEiiS2_S2_S2_EEvT3_20rocsparse_direction_NS_24const_host_device_scalarIT1_EES3_PKS3_PKT2_SC_S9_PKT4_PKT5_S7_PT6_21rocsparse_index_base_b.private_seg_size, 0
	.set _ZN9rocsparseL18bsrxmvn_4x4_kernelILj128ELj8E21rocsparse_complex_numIfEiiS2_S2_S2_EEvT3_20rocsparse_direction_NS_24const_host_device_scalarIT1_EES3_PKS3_PKT2_SC_S9_PKT4_PKT5_S7_PT6_21rocsparse_index_base_b.uses_vcc, 1
	.set _ZN9rocsparseL18bsrxmvn_4x4_kernelILj128ELj8E21rocsparse_complex_numIfEiiS2_S2_S2_EEvT3_20rocsparse_direction_NS_24const_host_device_scalarIT1_EES3_PKS3_PKT2_SC_S9_PKT4_PKT5_S7_PT6_21rocsparse_index_base_b.uses_flat_scratch, 0
	.set _ZN9rocsparseL18bsrxmvn_4x4_kernelILj128ELj8E21rocsparse_complex_numIfEiiS2_S2_S2_EEvT3_20rocsparse_direction_NS_24const_host_device_scalarIT1_EES3_PKS3_PKT2_SC_S9_PKT4_PKT5_S7_PT6_21rocsparse_index_base_b.has_dyn_sized_stack, 0
	.set _ZN9rocsparseL18bsrxmvn_4x4_kernelILj128ELj8E21rocsparse_complex_numIfEiiS2_S2_S2_EEvT3_20rocsparse_direction_NS_24const_host_device_scalarIT1_EES3_PKS3_PKT2_SC_S9_PKT4_PKT5_S7_PT6_21rocsparse_index_base_b.has_recursion, 0
	.set _ZN9rocsparseL18bsrxmvn_4x4_kernelILj128ELj8E21rocsparse_complex_numIfEiiS2_S2_S2_EEvT3_20rocsparse_direction_NS_24const_host_device_scalarIT1_EES3_PKS3_PKT2_SC_S9_PKT4_PKT5_S7_PT6_21rocsparse_index_base_b.has_indirect_call, 0
	.section	.AMDGPU.csdata,"",@progbits
; Kernel info:
; codeLenInByte = 6332
; TotalNumSgprs: 22
; NumVgprs: 65
; ScratchSize: 0
; MemoryBound: 0
; FloatMode: 240
; IeeeMode: 1
; LDSByteSize: 0 bytes/workgroup (compile time only)
; SGPRBlocks: 2
; VGPRBlocks: 16
; NumSGPRsForWavesPerEU: 22
; NumVGPRsForWavesPerEU: 65
; Occupancy: 3
; WaveLimiterHint : 1
; COMPUTE_PGM_RSRC2:SCRATCH_EN: 0
; COMPUTE_PGM_RSRC2:USER_SGPR: 6
; COMPUTE_PGM_RSRC2:TRAP_HANDLER: 0
; COMPUTE_PGM_RSRC2:TGID_X_EN: 1
; COMPUTE_PGM_RSRC2:TGID_Y_EN: 0
; COMPUTE_PGM_RSRC2:TGID_Z_EN: 0
; COMPUTE_PGM_RSRC2:TIDIG_COMP_CNT: 0
	.section	.text._ZN9rocsparseL18bsrxmvn_4x4_kernelILj128ELj16E21rocsparse_complex_numIfEiiS2_S2_S2_EEvT3_20rocsparse_direction_NS_24const_host_device_scalarIT1_EES3_PKS3_PKT2_SC_S9_PKT4_PKT5_S7_PT6_21rocsparse_index_base_b,"axG",@progbits,_ZN9rocsparseL18bsrxmvn_4x4_kernelILj128ELj16E21rocsparse_complex_numIfEiiS2_S2_S2_EEvT3_20rocsparse_direction_NS_24const_host_device_scalarIT1_EES3_PKS3_PKT2_SC_S9_PKT4_PKT5_S7_PT6_21rocsparse_index_base_b,comdat
	.globl	_ZN9rocsparseL18bsrxmvn_4x4_kernelILj128ELj16E21rocsparse_complex_numIfEiiS2_S2_S2_EEvT3_20rocsparse_direction_NS_24const_host_device_scalarIT1_EES3_PKS3_PKT2_SC_S9_PKT4_PKT5_S7_PT6_21rocsparse_index_base_b ; -- Begin function _ZN9rocsparseL18bsrxmvn_4x4_kernelILj128ELj16E21rocsparse_complex_numIfEiiS2_S2_S2_EEvT3_20rocsparse_direction_NS_24const_host_device_scalarIT1_EES3_PKS3_PKT2_SC_S9_PKT4_PKT5_S7_PT6_21rocsparse_index_base_b
	.p2align	8
	.type	_ZN9rocsparseL18bsrxmvn_4x4_kernelILj128ELj16E21rocsparse_complex_numIfEiiS2_S2_S2_EEvT3_20rocsparse_direction_NS_24const_host_device_scalarIT1_EES3_PKS3_PKT2_SC_S9_PKT4_PKT5_S7_PT6_21rocsparse_index_base_b,@function
_ZN9rocsparseL18bsrxmvn_4x4_kernelILj128ELj16E21rocsparse_complex_numIfEiiS2_S2_S2_EEvT3_20rocsparse_direction_NS_24const_host_device_scalarIT1_EES3_PKS3_PKT2_SC_S9_PKT4_PKT5_S7_PT6_21rocsparse_index_base_b: ; @_ZN9rocsparseL18bsrxmvn_4x4_kernelILj128ELj16E21rocsparse_complex_numIfEiiS2_S2_S2_EEvT3_20rocsparse_direction_NS_24const_host_device_scalarIT1_EES3_PKS3_PKT2_SC_S9_PKT4_PKT5_S7_PT6_21rocsparse_index_base_b
; %bb.0:
	s_load_dwordx2 s[0:1], s[4:5], 0x8
	s_load_dwordx2 s[16:17], s[4:5], 0x58
	s_add_u32 s7, s4, 8
	s_addc_u32 s8, s5, 0
	s_add_u32 s9, s4, 0x48
	s_load_dwordx2 s[2:3], s[4:5], 0x48
	s_addc_u32 s10, s5, 0
	s_waitcnt lgkmcnt(0)
	s_bitcmp1_b32 s17, 0
	s_cselect_b32 s1, s8, s1
	s_cselect_b32 s0, s7, s0
	v_mov_b32_e32 v1, s0
	v_mov_b32_e32 v2, s1
	flat_load_dwordx2 v[14:15], v[1:2]
	s_cselect_b32 s0, s10, s3
	s_cselect_b32 s1, s9, s2
	v_mov_b32_e32 v1, s1
	v_mov_b32_e32 v2, s0
	flat_load_dwordx2 v[12:13], v[1:2]
	s_waitcnt vmcnt(0) lgkmcnt(0)
	v_cmp_eq_f32_e32 vcc, 0, v14
	v_cmp_eq_f32_e64 s[0:1], 0, v15
	s_and_b64 s[8:9], vcc, s[0:1]
	s_mov_b64 s[0:1], -1
	s_and_saveexec_b64 s[2:3], s[8:9]
; %bb.1:
	v_cmp_neq_f32_e32 vcc, 1.0, v12
	v_cmp_neq_f32_e64 s[0:1], 0, v13
	s_or_b64 s[0:1], vcc, s[0:1]
	s_orn2_b64 s[0:1], s[0:1], exec
; %bb.2:
	s_or_b64 exec, exec, s[2:3]
	s_and_saveexec_b64 s[2:3], s[0:1]
	s_cbranch_execz .LBB12_8
; %bb.3:
	s_load_dwordx2 s[8:9], s[4:5], 0x18
	s_load_dwordx2 s[0:1], s[4:5], 0x0
	v_lshrrev_b32_e32 v1, 4, v0
	v_lshl_or_b32 v16, s6, 3, v1
	s_mov_b64 s[2:3], 0
	s_waitcnt lgkmcnt(0)
	s_cmp_lg_u64 s[8:9], 0
	s_cbranch_scc0 .LBB12_9
; %bb.4:
	s_load_dword s6, s[4:5], 0x10
                                        ; implicit-def: $vgpr1
	s_waitcnt lgkmcnt(0)
	v_cmp_gt_i32_e32 vcc, s6, v16
	s_and_saveexec_b64 s[6:7], vcc
	s_xor_b64 s[6:7], exec, s[6:7]
	s_cbranch_execz .LBB12_6
; %bb.5:
	v_ashrrev_i32_e32 v17, 31, v16
	v_lshlrev_b64 v[1:2], 2, v[16:17]
	v_mov_b32_e32 v3, s9
	v_add_co_u32_e32 v1, vcc, s8, v1
	v_addc_co_u32_e32 v2, vcc, v3, v2, vcc
	global_load_dword v1, v[1:2], off
	s_mov_b64 s[2:3], exec
	s_waitcnt vmcnt(0)
	v_subrev_u32_e32 v1, s16, v1
.LBB12_6:
	s_or_b64 exec, exec, s[6:7]
	s_branch .LBB12_10
.LBB12_7:
	v_cmp_gt_i32_e32 vcc, s0, v16
	s_andn2_b64 s[2:3], s[2:3], exec
	s_and_b64 s[6:7], vcc, exec
	s_or_b64 s[2:3], s[2:3], s[6:7]
	s_and_b64 exec, exec, s[2:3]
	s_cbranch_execnz .LBB12_11
.LBB12_8:
	s_endpgm
.LBB12_9:
                                        ; implicit-def: $vgpr1
	s_cbranch_execnz .LBB12_7
.LBB12_10:
	v_mov_b32_e32 v16, v1
	s_and_b64 exec, exec, s[2:3]
	s_cbranch_execz .LBB12_8
.LBB12_11:
	s_load_dwordx8 s[8:15], s[4:5], 0x20
	v_ashrrev_i32_e32 v17, 31, v16
	v_lshlrev_b64 v[1:2], 2, v[16:17]
	v_and_b32_e32 v29, 15, v0
	s_load_dwordx2 s[6:7], s[4:5], 0x40
	s_waitcnt lgkmcnt(0)
	v_mov_b32_e32 v4, s9
	v_add_co_u32_e32 v3, vcc, s8, v1
	v_addc_co_u32_e32 v4, vcc, v4, v2, vcc
	global_load_dword v35, v[3:4], off
	v_add_co_u32_e32 v3, vcc, 4, v3
	v_addc_co_u32_e32 v4, vcc, 0, v4, vcc
	v_mov_b32_e32 v5, s11
	v_add_co_u32_e32 v1, vcc, s10, v1
	s_cmp_eq_u64 s[10:11], 0
	v_addc_co_u32_e32 v2, vcc, v5, v2, vcc
	s_cselect_b64 vcc, -1, 0
	v_cndmask_b32_e32 v2, v2, v4, vcc
	v_cndmask_b32_e32 v1, v1, v3, vcc
	global_load_dword v1, v[1:2], off
	v_mov_b32_e32 v2, s15
	s_cmp_eq_u32 s1, 1
	s_waitcnt vmcnt(1)
	v_subrev_u32_e32 v0, s16, v35
	v_add_u32_e32 v17, v0, v29
	v_ashrrev_i32_e32 v18, 31, v17
	s_waitcnt vmcnt(0)
	v_subrev_u32_e32 v31, s16, v1
	v_lshlrev_b64 v[0:1], 7, v[17:18]
	v_cmp_lt_i32_e64 s[0:1], v17, v31
	v_add_co_u32_e32 v19, vcc, s14, v0
	v_addc_co_u32_e32 v20, vcc, v2, v1, vcc
	s_cbranch_scc1 .LBB12_23
; %bb.12:
	v_mov_b32_e32 v32, 0
	v_mov_b32_e32 v7, 0
	;; [unrolled: 1-line block ×8, first 2 shown]
	s_and_saveexec_b64 s[8:9], s[0:1]
	s_cbranch_execz .LBB12_22
; %bb.13:
	v_add_u32_e32 v0, v35, v29
	v_subrev_u32_e32 v0, s16, v0
	v_add_u32_e32 v0, 16, v0
	v_max_i32_e32 v0, v0, v31
	v_not_b32_e32 v1, v35
	v_add3_u32 v0, s16, v0, v1
	v_sub_u32_e32 v0, v0, v29
	v_and_b32_e32 v1, 48, v0
	v_mov_b32_e32 v24, v20
	v_cmp_ne_u32_e32 vcc, 48, v1
	v_mov_b32_e32 v34, 0
	v_mov_b32_e32 v6, 0
	;; [unrolled: 1-line block ×10, first 2 shown]
	s_and_saveexec_b64 s[10:11], vcc
	s_cbranch_execz .LBB12_17
; %bb.14:
	v_lshrrev_b32_e32 v1, 4, v0
	v_add_u32_e32 v1, 1, v1
	v_and_b32_e32 v1, 3, v1
	v_mov_b32_e32 v24, v20
	v_sub_u32_e32 v1, 0, v1
	v_mov_b32_e32 v32, 0
	s_mov_b64 s[14:15], 0
	v_mov_b32_e32 v4, s13
	v_mov_b32_e32 v5, s7
	;; [unrolled: 1-line block ×11, first 2 shown]
.LBB12_15:                              ; =>This Inner Loop Header: Depth=1
	v_ashrrev_i32_e32 v22, 31, v21
	v_lshlrev_b64 v[48:49], 2, v[21:22]
	global_load_dwordx4 v[8:11], v[23:24], off offset:32
	global_load_dwordx4 v[25:28], v[23:24], off offset:64
	;; [unrolled: 1-line block ×3, first 2 shown]
	global_load_dwordx4 v[40:43], v[23:24], off
	global_load_dwordx4 v[44:47], v[23:24], off offset:16
	v_add_co_u32_e32 v48, vcc, s12, v48
	v_addc_co_u32_e32 v49, vcc, v4, v49, vcc
	global_load_dword v18, v[48:49], off
	v_add_co_u32_e64 v1, s[2:3], 1, v1
	v_add_u32_e32 v21, 16, v21
	s_or_b64 s[14:15], s[2:3], s[14:15]
	s_waitcnt vmcnt(0)
	v_subrev_u32_e32 v18, s16, v18
	v_lshlrev_b32_e32 v48, 2, v18
	v_ashrrev_i32_e32 v49, 31, v48
	v_lshlrev_b64 v[48:49], 3, v[48:49]
	v_add_co_u32_e32 v56, vcc, s6, v48
	v_addc_co_u32_e32 v57, vcc, v5, v49, vcc
	global_load_dwordx4 v[48:51], v[56:57], off
	global_load_dwordx4 v[52:55], v[56:57], off offset:16
	s_waitcnt vmcnt(1)
	v_fmac_f32_e32 v7, v40, v48
	v_fmac_f32_e32 v32, v41, v48
	;; [unrolled: 1-line block ×5, first 2 shown]
	v_fma_f32 v7, -v41, v49, v7
	v_fmac_f32_e32 v32, v40, v49
	v_fmac_f32_e32 v34, v9, v48
	v_fma_f32 v6, -v9, v49, v6
	v_fma_f32 v3, -v26, v49, v3
	v_fmac_f32_e32 v33, v25, v49
	v_fmac_f32_e32 v7, v42, v50
	;; [unrolled: 1-line block ×7, first 2 shown]
	v_fma_f32 v18, -v43, v51, v7
	v_fmac_f32_e32 v32, v42, v51
	global_load_dwordx4 v[40:43], v[23:24], off offset:48
	v_fmac_f32_e32 v34, v11, v50
	v_fma_f32 v11, -v11, v51, v6
	global_load_dwordx4 v[6:9], v[23:24], off offset:80
	v_fma_f32 v3, -v28, v51, v3
	v_fmac_f32_e32 v33, v27, v51
	global_load_dwordx4 v[25:28], v[23:24], off offset:112
	v_fmac_f32_e32 v2, v36, v48
	v_fmac_f32_e32 v30, v37, v48
	v_fma_f32 v2, -v37, v49, v2
	v_fmac_f32_e32 v30, v36, v49
	v_fmac_f32_e32 v2, v38, v50
	;; [unrolled: 1-line block ×4, first 2 shown]
	v_fma_f32 v2, -v39, v51, v2
	v_fmac_f32_e32 v30, v38, v51
	s_waitcnt vmcnt(3)
	v_fmac_f32_e32 v18, v44, v52
	v_fmac_f32_e32 v32, v45, v52
	v_fma_f32 v10, -v45, v53, v18
	v_fmac_f32_e32 v32, v44, v53
	v_add_co_u32_e32 v23, vcc, 0x800, v23
	v_fmac_f32_e32 v10, v46, v54
	v_fmac_f32_e32 v32, v47, v54
	v_addc_co_u32_e32 v24, vcc, 0, v24, vcc
	v_fmac_f32_e32 v32, v46, v55
	s_waitcnt vmcnt(2)
	v_fmac_f32_e32 v11, v40, v52
	v_fmac_f32_e32 v34, v41, v52
	v_fma_f32 v11, -v41, v53, v11
	s_waitcnt vmcnt(1)
	v_fmac_f32_e32 v3, v6, v52
	v_fmac_f32_e32 v33, v7, v52
	;; [unrolled: 1-line block ×3, first 2 shown]
	s_waitcnt vmcnt(0)
	v_fmac_f32_e32 v2, v25, v52
	v_fmac_f32_e32 v30, v26, v52
	v_fma_f32 v3, -v7, v53, v3
	v_fmac_f32_e32 v33, v6, v53
	v_fma_f32 v2, -v26, v53, v2
	v_fmac_f32_e32 v30, v25, v53
	v_fmac_f32_e32 v11, v42, v54
	;; [unrolled: 1-line block ×7, first 2 shown]
	v_fma_f32 v7, -v47, v55, v10
	v_fma_f32 v6, -v43, v55, v11
	v_fmac_f32_e32 v34, v42, v55
	v_fma_f32 v3, -v9, v55, v3
	v_fmac_f32_e32 v33, v8, v55
	;; [unrolled: 2-line block ×3, first 2 shown]
	s_andn2_b64 exec, exec, s[14:15]
	s_cbranch_execnz .LBB12_15
; %bb.16:
	s_or_b64 exec, exec, s[14:15]
.LBB12_17:
	s_or_b64 exec, exec, s[10:11]
	v_cmp_lt_u32_e32 vcc, 47, v0
	s_and_saveexec_b64 s[10:11], vcc
	s_cbranch_execz .LBB12_21
; %bb.18:
	s_mov_b64 s[14:15], 0
	v_mov_b32_e32 v18, s13
	v_mov_b32_e32 v36, s7
	s_movk_i32 s17, 0x1000
.LBB12_19:                              ; =>This Inner Loop Header: Depth=1
	v_ashrrev_i32_e32 v22, 31, v21
	v_lshlrev_b64 v[0:1], 2, v[21:22]
	global_load_dwordx4 v[8:11], v[23:24], off offset:32
	global_load_dwordx4 v[37:40], v[23:24], off
	global_load_dwordx4 v[41:44], v[23:24], off offset:64
	v_add_co_u32_e32 v25, vcc, s12, v0
	v_addc_co_u32_e32 v26, vcc, v18, v1, vcc
	global_load_dword v0, v[25:26], off
	v_add_u32_e32 v21, 64, v21
	v_cmp_ge_i32_e64 s[2:3], v21, v31
	s_or_b64 s[14:15], s[2:3], s[14:15]
	s_waitcnt vmcnt(0)
	v_subrev_u32_e32 v0, s16, v0
	v_lshlrev_b32_e32 v0, 2, v0
	v_ashrrev_i32_e32 v1, 31, v0
	v_lshlrev_b64 v[0:1], 3, v[0:1]
	v_add_co_u32_e32 v27, vcc, s6, v0
	v_addc_co_u32_e32 v28, vcc, v36, v1, vcc
	global_load_dwordx4 v[45:48], v[27:28], off
	s_waitcnt vmcnt(0)
	v_fmac_f32_e32 v7, v37, v45
	v_fmac_f32_e32 v32, v38, v45
	v_fma_f32 v0, -v38, v46, v7
	v_fmac_f32_e32 v32, v37, v46
	v_fmac_f32_e32 v0, v39, v47
	;; [unrolled: 1-line block ×3, first 2 shown]
	v_fma_f32 v22, -v40, v48, v0
	v_fmac_f32_e32 v32, v39, v48
	global_load_dwordx4 v[37:40], v[23:24], off offset:96
	v_fmac_f32_e32 v6, v8, v45
	v_fma_f32 v0, -v9, v46, v6
	v_fmac_f32_e32 v0, v10, v47
	v_fmac_f32_e32 v3, v41, v45
	v_fma_f32 v49, -v11, v48, v0
	v_fma_f32 v0, -v42, v46, v3
	v_fmac_f32_e32 v34, v9, v45
	v_fmac_f32_e32 v33, v42, v45
	;; [unrolled: 1-line block ×5, first 2 shown]
	v_fma_f32 v50, -v44, v48, v0
	v_fmac_f32_e32 v34, v11, v47
	v_fmac_f32_e32 v33, v44, v47
	;; [unrolled: 1-line block ×3, first 2 shown]
	global_load_dwordx4 v[4:7], v[23:24], off offset:48
	global_load_dwordx4 v[8:11], v[23:24], off offset:16
	v_fmac_f32_e32 v33, v43, v48
	s_waitcnt vmcnt(2)
	v_fmac_f32_e32 v2, v37, v45
	v_fmac_f32_e32 v30, v38, v45
	v_fma_f32 v0, -v38, v46, v2
	v_fmac_f32_e32 v30, v37, v46
	v_fmac_f32_e32 v0, v39, v47
	;; [unrolled: 1-line block ×3, first 2 shown]
	v_fma_f32 v45, -v40, v48, v0
	v_fmac_f32_e32 v30, v39, v48
	global_load_dwordx4 v[0:3], v[23:24], off offset:112
	global_load_dwordx4 v[37:40], v[23:24], off offset:80
	;; [unrolled: 1-line block ×3, first 2 shown]
	s_waitcnt vmcnt(0)
	v_fmac_f32_e32 v30, v1, v41
	v_fmac_f32_e32 v45, v0, v41
	;; [unrolled: 1-line block ×3, first 2 shown]
	global_load_dword v0, v[25:26], off offset:64
	v_fma_f32 v1, -v1, v42, v45
	v_fmac_f32_e32 v1, v2, v43
	v_fmac_f32_e32 v22, v8, v41
	;; [unrolled: 1-line block ×7, first 2 shown]
	v_fma_f32 v41, -v3, v44, v1
	v_fma_f32 v27, -v38, v42, v50
	v_fmac_f32_e32 v27, v39, v43
	v_fma_f32 v9, -v9, v42, v22
	v_fmac_f32_e32 v32, v8, v42
	v_fmac_f32_e32 v33, v37, v42
	v_fma_f32 v47, -v40, v44, v27
	v_fmac_f32_e32 v9, v10, v43
	v_fmac_f32_e32 v32, v11, v43
	;; [unrolled: 1-line block ×4, first 2 shown]
	v_fma_f32 v22, -v11, v44, v9
	v_fmac_f32_e32 v32, v10, v44
	global_load_dwordx4 v[8:11], v[23:24], off offset:2080
	v_fmac_f32_e32 v33, v39, v44
	global_load_dwordx4 v[37:40], v[23:24], off offset:2112
	v_fmac_f32_e32 v30, v2, v44
	v_fma_f32 v5, -v5, v42, v49
	v_fmac_f32_e32 v34, v4, v42
	v_fmac_f32_e32 v5, v6, v43
	;; [unrolled: 1-line block ×3, first 2 shown]
	v_fma_f32 v46, -v7, v44, v5
	v_fmac_f32_e32 v34, v6, v44
	global_load_dwordx4 v[4:7], v[23:24], off offset:2048
	s_waitcnt vmcnt(3)
	v_subrev_u32_e32 v0, s16, v0
	v_lshlrev_b32_e32 v0, 2, v0
	v_ashrrev_i32_e32 v1, 31, v0
	v_lshlrev_b64 v[0:1], 3, v[0:1]
	v_add_co_u32_e32 v27, vcc, s6, v0
	v_addc_co_u32_e32 v28, vcc, v36, v1, vcc
	global_load_dwordx4 v[0:3], v[27:28], off
	s_waitcnt vmcnt(0)
	v_fmac_f32_e32 v47, v37, v0
	v_fmac_f32_e32 v33, v38, v0
	v_fma_f32 v38, -v38, v1, v47
	v_fmac_f32_e32 v33, v37, v1
	v_fmac_f32_e32 v46, v8, v0
	;; [unrolled: 1-line block ×5, first 2 shown]
	v_fma_f32 v9, -v9, v1, v46
	v_fma_f32 v46, -v40, v3, v38
	v_fmac_f32_e32 v33, v39, v3
	global_load_dwordx4 v[37:40], v[23:24], off offset:2064
	v_fmac_f32_e32 v22, v4, v0
	v_fmac_f32_e32 v32, v5, v0
	v_fma_f32 v5, -v5, v1, v22
	v_fmac_f32_e32 v32, v4, v1
	v_fmac_f32_e32 v5, v6, v2
	;; [unrolled: 1-line block ×3, first 2 shown]
	v_fma_f32 v22, -v7, v3, v5
	v_fmac_f32_e32 v32, v6, v3
	global_load_dwordx4 v[4:7], v[23:24], off offset:2144
	v_fmac_f32_e32 v34, v8, v1
	v_fmac_f32_e32 v9, v10, v2
	;; [unrolled: 1-line block ×3, first 2 shown]
	v_fma_f32 v45, -v11, v3, v9
	v_fmac_f32_e32 v34, v10, v3
	global_load_dwordx4 v[8:11], v[23:24], off offset:2096
	s_waitcnt vmcnt(1)
	v_fmac_f32_e32 v41, v4, v0
	v_fmac_f32_e32 v30, v5, v0
	v_fma_f32 v0, -v5, v1, v41
	v_fmac_f32_e32 v30, v4, v1
	v_fmac_f32_e32 v0, v6, v2
	;; [unrolled: 1-line block ×3, first 2 shown]
	v_fma_f32 v47, -v7, v3, v0
	v_fmac_f32_e32 v30, v6, v3
	global_load_dwordx4 v[0:3], v[23:24], off offset:2160
	global_load_dwordx4 v[4:7], v[23:24], off offset:2128
	;; [unrolled: 1-line block ×3, first 2 shown]
	v_add_co_u32_e32 v27, vcc, s17, v23
	v_addc_co_u32_e32 v28, vcc, 0, v24, vcc
	s_waitcnt vmcnt(0)
	v_fmac_f32_e32 v45, v8, v41
	v_fmac_f32_e32 v34, v9, v41
	;; [unrolled: 1-line block ×6, first 2 shown]
	v_fma_f32 v9, -v9, v42, v45
	v_fmac_f32_e32 v34, v8, v42
	v_fma_f32 v5, -v5, v42, v46
	v_fmac_f32_e32 v33, v4, v42
	;; [unrolled: 2-line block ×3, first 2 shown]
	v_fmac_f32_e32 v32, v38, v41
	v_fmac_f32_e32 v9, v10, v43
	;; [unrolled: 1-line block ×9, first 2 shown]
	v_fma_f32 v48, -v11, v44, v9
	v_fmac_f32_e32 v34, v10, v44
	global_load_dwordx4 v[8:11], v[27:28], off
	v_fma_f32 v46, -v7, v44, v5
	v_fmac_f32_e32 v33, v6, v44
	global_load_dwordx4 v[4:7], v[27:28], off offset:32
	v_fma_f32 v41, -v3, v44, v1
	v_fmac_f32_e32 v30, v2, v44
	global_load_dwordx4 v[0:3], v[27:28], off offset:64
	global_load_dword v37, v[25:26], off offset:128
	v_fma_f32 v22, -v38, v42, v22
	v_fmac_f32_e32 v22, v39, v43
	v_fmac_f32_e32 v32, v40, v43
	v_fma_f32 v22, -v40, v44, v22
	v_fmac_f32_e32 v32, v39, v44
	s_waitcnt vmcnt(0)
	v_subrev_u32_e32 v37, s16, v37
	v_lshlrev_b32_e32 v37, 2, v37
	v_ashrrev_i32_e32 v38, 31, v37
	v_lshlrev_b64 v[37:38], 3, v[37:38]
	v_add_co_u32_e32 v44, vcc, s6, v37
	v_addc_co_u32_e32 v45, vcc, v36, v38, vcc
	global_load_dwordx4 v[37:40], v[44:45], off
	s_waitcnt vmcnt(0)
	v_fmac_f32_e32 v22, v8, v37
	v_fmac_f32_e32 v32, v9, v37
	v_fma_f32 v9, -v9, v38, v22
	v_fmac_f32_e32 v32, v8, v38
	v_fmac_f32_e32 v9, v10, v39
	v_fmac_f32_e32 v32, v11, v39
	v_fma_f32 v22, -v11, v40, v9
	v_fmac_f32_e32 v32, v10, v40
	global_load_dwordx4 v[8:11], v[27:28], off offset:96
	v_fmac_f32_e32 v48, v4, v37
	v_fmac_f32_e32 v34, v5, v37
	;; [unrolled: 1-line block ×4, first 2 shown]
	v_fma_f32 v5, -v5, v38, v48
	v_fmac_f32_e32 v34, v4, v38
	v_fma_f32 v1, -v1, v38, v46
	v_fmac_f32_e32 v33, v0, v38
	v_fmac_f32_e32 v5, v6, v39
	;; [unrolled: 1-line block ×5, first 2 shown]
	v_fma_f32 v47, -v7, v40, v5
	v_fmac_f32_e32 v34, v6, v40
	global_load_dwordx4 v[4:7], v[27:28], off offset:48
	v_fma_f32 v46, -v3, v40, v1
	v_fmac_f32_e32 v33, v2, v40
	global_load_dwordx4 v[0:3], v[27:28], off offset:16
	s_waitcnt vmcnt(2)
	v_fmac_f32_e32 v41, v8, v37
	v_fmac_f32_e32 v30, v9, v37
	v_fma_f32 v9, -v9, v38, v41
	v_fmac_f32_e32 v30, v8, v38
	v_fmac_f32_e32 v9, v10, v39
	;; [unrolled: 1-line block ×3, first 2 shown]
	v_fma_f32 v48, -v11, v40, v9
	v_fmac_f32_e32 v30, v10, v40
	global_load_dwordx4 v[8:11], v[27:28], off offset:80
	global_load_dwordx4 v[40:43], v[44:45], off offset:16
	s_waitcnt vmcnt(0)
	v_fmac_f32_e32 v22, v0, v40
	v_fmac_f32_e32 v32, v1, v40
	v_fma_f32 v1, -v1, v41, v22
	v_fmac_f32_e32 v32, v0, v41
	v_fmac_f32_e32 v1, v2, v42
	;; [unrolled: 1-line block ×3, first 2 shown]
	v_fma_f32 v39, -v3, v43, v1
	v_fmac_f32_e32 v32, v2, v43
	global_load_dwordx4 v[0:3], v[27:28], off offset:112
	v_fmac_f32_e32 v46, v8, v40
	v_fmac_f32_e32 v33, v9, v40
	v_fma_f32 v9, -v9, v41, v46
	v_fmac_f32_e32 v33, v8, v41
	v_fmac_f32_e32 v9, v10, v42
	;; [unrolled: 1-line block ×5, first 2 shown]
	v_fma_f32 v37, -v11, v43, v9
	v_fmac_f32_e32 v33, v10, v43
	global_load_dwordx4 v[8:11], v[27:28], off offset:2048
	v_fma_f32 v5, -v5, v41, v47
	v_fmac_f32_e32 v34, v4, v41
	v_fmac_f32_e32 v5, v6, v42
	;; [unrolled: 1-line block ×3, first 2 shown]
	v_fma_f32 v38, -v7, v43, v5
	v_fmac_f32_e32 v34, v6, v43
	global_load_dwordx4 v[4:7], v[27:28], off offset:2080
	s_waitcnt vmcnt(2)
	v_fmac_f32_e32 v48, v0, v40
	v_fmac_f32_e32 v30, v1, v40
	v_fma_f32 v1, -v1, v41, v48
	v_fmac_f32_e32 v30, v0, v41
	v_fmac_f32_e32 v1, v2, v42
	;; [unrolled: 1-line block ×3, first 2 shown]
	v_fma_f32 v22, -v3, v43, v1
	v_fmac_f32_e32 v30, v2, v43
	global_load_dwordx4 v[0:3], v[27:28], off offset:2112
	global_load_dword v40, v[25:26], off offset:192
	global_load_dwordx4 v[44:47], v[27:28], off offset:2096
	s_waitcnt vmcnt(1)
	v_subrev_u32_e32 v25, s16, v40
	v_lshlrev_b32_e32 v25, 2, v25
	v_ashrrev_i32_e32 v26, 31, v25
	v_lshlrev_b64 v[25:26], 3, v[25:26]
	v_add_co_u32_e32 v25, vcc, s6, v25
	v_addc_co_u32_e32 v26, vcc, v36, v26, vcc
	global_load_dwordx4 v[40:43], v[25:26], off
	v_add_co_u32_e32 v23, vcc, 0x2000, v23
	v_addc_co_u32_e32 v24, vcc, 0, v24, vcc
	s_waitcnt vmcnt(0)
	v_fmac_f32_e32 v39, v8, v40
	v_fmac_f32_e32 v32, v9, v40
	v_fma_f32 v9, -v9, v41, v39
	v_fmac_f32_e32 v32, v8, v41
	v_fmac_f32_e32 v9, v10, v42
	;; [unrolled: 1-line block ×3, first 2 shown]
	v_fma_f32 v52, -v11, v43, v9
	v_fmac_f32_e32 v32, v10, v43
	global_load_dwordx4 v[8:11], v[27:28], off offset:2144
	v_fmac_f32_e32 v34, v5, v40
	v_fmac_f32_e32 v38, v4, v40
	;; [unrolled: 1-line block ×3, first 2 shown]
	v_fma_f32 v5, -v5, v41, v38
	v_fmac_f32_e32 v34, v7, v42
	v_fmac_f32_e32 v37, v0, v40
	;; [unrolled: 1-line block ×5, first 2 shown]
	v_fma_f32 v1, -v1, v41, v37
	v_fmac_f32_e32 v33, v0, v41
	v_fmac_f32_e32 v1, v2, v42
	;; [unrolled: 1-line block ×3, first 2 shown]
	v_fma_f32 v4, -v7, v43, v5
	v_fma_f32 v5, -v3, v43, v1
	v_fmac_f32_e32 v33, v2, v43
	global_load_dwordx4 v[0:3], v[27:28], off offset:2064
	s_waitcnt vmcnt(1)
	v_fmac_f32_e32 v22, v8, v40
	v_fmac_f32_e32 v30, v9, v40
	v_fma_f32 v6, -v9, v41, v22
	v_fmac_f32_e32 v30, v8, v41
	v_fmac_f32_e32 v6, v10, v42
	;; [unrolled: 1-line block ×3, first 2 shown]
	v_fma_f32 v11, -v11, v43, v6
	global_load_dwordx4 v[6:9], v[27:28], off offset:2160
	global_load_dwordx4 v[37:40], v[27:28], off offset:2128
	;; [unrolled: 1-line block ×3, first 2 shown]
	v_fmac_f32_e32 v30, v10, v43
	s_waitcnt vmcnt(0)
	v_fmac_f32_e32 v52, v0, v48
	v_fmac_f32_e32 v32, v1, v48
	;; [unrolled: 1-line block ×8, first 2 shown]
	v_fma_f32 v1, -v1, v49, v52
	v_fmac_f32_e32 v32, v0, v49
	v_fma_f32 v0, -v45, v49, v4
	v_fmac_f32_e32 v34, v44, v49
	v_fma_f32 v4, -v38, v49, v5
	v_fmac_f32_e32 v33, v37, v49
	v_fma_f32 v5, -v7, v49, v11
	v_fmac_f32_e32 v30, v6, v49
	v_fmac_f32_e32 v1, v2, v50
	v_fmac_f32_e32 v32, v3, v50
	;; [unrolled: 1-line block ×8, first 2 shown]
	v_fma_f32 v7, -v3, v51, v1
	v_fmac_f32_e32 v32, v2, v51
	v_fma_f32 v6, -v47, v51, v0
	v_fmac_f32_e32 v34, v46, v51
	v_fma_f32 v3, -v40, v51, v4
	v_fmac_f32_e32 v33, v39, v51
	v_fma_f32 v2, -v9, v51, v5
	v_fmac_f32_e32 v30, v8, v51
	s_andn2_b64 exec, exec, s[14:15]
	s_cbranch_execnz .LBB12_19
; %bb.20:
	s_or_b64 exec, exec, s[14:15]
.LBB12_21:
	s_or_b64 exec, exec, s[10:11]
.LBB12_22:
	s_or_b64 exec, exec, s[8:9]
	s_cbranch_execz .LBB12_24
	s_branch .LBB12_35
.LBB12_23:
                                        ; implicit-def: $vgpr32
                                        ; implicit-def: $vgpr7
                                        ; implicit-def: $vgpr2
                                        ; implicit-def: $vgpr30
                                        ; implicit-def: $vgpr3
                                        ; implicit-def: $vgpr33
                                        ; implicit-def: $vgpr6
                                        ; implicit-def: $vgpr34
.LBB12_24:
	v_mov_b32_e32 v32, 0
	v_mov_b32_e32 v7, 0
	;; [unrolled: 1-line block ×8, first 2 shown]
	s_and_saveexec_b64 s[2:3], s[0:1]
	s_cbranch_execz .LBB12_34
; %bb.25:
	v_add_u32_e32 v0, v35, v29
	v_subrev_u32_e32 v0, s16, v0
	v_add_u32_e32 v0, 16, v0
	v_max_i32_e32 v0, v0, v31
	v_not_b32_e32 v1, v35
	v_add3_u32 v0, s16, v0, v1
	v_sub_u32_e32 v0, v0, v29
	v_and_b32_e32 v1, 48, v0
	v_cmp_ne_u32_e32 vcc, 48, v1
	v_mov_b32_e32 v34, 0
	v_mov_b32_e32 v6, 0
	;; [unrolled: 1-line block ×8, first 2 shown]
	s_and_saveexec_b64 s[8:9], vcc
	s_cbranch_execz .LBB12_29
; %bb.26:
	v_lshrrev_b32_e32 v1, 4, v0
	v_add_u32_e32 v1, 1, v1
	v_and_b32_e32 v1, 3, v1
	v_sub_u32_e32 v1, 0, v1
	v_mov_b32_e32 v32, 0
	s_mov_b64 s[10:11], 0
	v_mov_b32_e32 v4, s13
	v_mov_b32_e32 v5, s7
	v_mov_b32_e32 v7, 0
	v_mov_b32_e32 v2, 0
	v_mov_b32_e32 v30, 0
	v_mov_b32_e32 v3, 0
	v_mov_b32_e32 v33, 0
	v_mov_b32_e32 v6, 0
	v_mov_b32_e32 v34, 0
.LBB12_27:                              ; =>This Inner Loop Header: Depth=1
	v_ashrrev_i32_e32 v18, 31, v17
	v_lshlrev_b64 v[8:9], 2, v[17:18]
	v_add_co_u32_e64 v1, s[0:1], 1, v1
	v_add_co_u32_e32 v51, vcc, s12, v8
	v_addc_co_u32_e32 v52, vcc, v4, v9, vcc
	global_load_dword v18, v[51:52], off
	global_load_dwordx4 v[8:11], v[19:20], off offset:16
	global_load_dwordx4 v[21:24], v[19:20], off
	global_load_dwordx4 v[25:28], v[19:20], off offset:32
	global_load_dwordx4 v[35:38], v[19:20], off offset:48
	global_load_dwordx4 v[39:42], v[19:20], off offset:96
	global_load_dwordx4 v[43:46], v[19:20], off offset:80
	global_load_dwordx4 v[47:50], v[19:20], off offset:64
	v_add_u32_e32 v17, 16, v17
	s_or_b64 s[10:11], s[0:1], s[10:11]
	s_waitcnt vmcnt(7)
	v_subrev_u32_e32 v18, s16, v18
	v_lshlrev_b32_e32 v51, 2, v18
	v_ashrrev_i32_e32 v52, 31, v51
	v_lshlrev_b64 v[51:52], 3, v[51:52]
	v_add_co_u32_e32 v63, vcc, s6, v51
	v_addc_co_u32_e32 v64, vcc, v5, v52, vcc
	global_load_dwordx4 v[51:54], v[63:64], off
	global_load_dwordx4 v[55:58], v[63:64], off offset:16
	global_load_dwordx4 v[59:62], v[19:20], off offset:112
	v_add_co_u32_e32 v19, vcc, 0x800, v19
	v_addc_co_u32_e32 v20, vcc, 0, v20, vcc
	s_waitcnt vmcnt(2)
	v_fmac_f32_e32 v7, v21, v51
	v_fmac_f32_e32 v32, v22, v51
	;; [unrolled: 1-line block ×8, first 2 shown]
	v_fma_f32 v7, -v22, v52, v7
	v_fmac_f32_e32 v32, v21, v52
	v_fma_f32 v6, -v24, v52, v6
	v_fmac_f32_e32 v34, v23, v52
	;; [unrolled: 2-line block ×4, first 2 shown]
	v_fmac_f32_e32 v7, v25, v53
	v_fmac_f32_e32 v32, v26, v53
	;; [unrolled: 1-line block ×8, first 2 shown]
	v_fma_f32 v7, -v26, v54, v7
	v_fmac_f32_e32 v32, v25, v54
	v_fma_f32 v6, -v28, v54, v6
	v_fmac_f32_e32 v34, v27, v54
	;; [unrolled: 2-line block ×4, first 2 shown]
	s_waitcnt vmcnt(1)
	v_fmac_f32_e32 v7, v47, v55
	v_fmac_f32_e32 v32, v48, v55
	;; [unrolled: 1-line block ×8, first 2 shown]
	v_fma_f32 v7, -v48, v56, v7
	v_fmac_f32_e32 v32, v47, v56
	v_fma_f32 v6, -v50, v56, v6
	v_fmac_f32_e32 v34, v49, v56
	;; [unrolled: 2-line block ×4, first 2 shown]
	v_fmac_f32_e32 v7, v39, v57
	v_fmac_f32_e32 v32, v40, v57
	;; [unrolled: 1-line block ×4, first 2 shown]
	s_waitcnt vmcnt(0)
	v_fmac_f32_e32 v3, v59, v57
	v_fmac_f32_e32 v33, v60, v57
	v_fmac_f32_e32 v2, v61, v57
	v_fmac_f32_e32 v30, v62, v57
	v_fma_f32 v7, -v40, v58, v7
	v_fmac_f32_e32 v32, v39, v58
	v_fma_f32 v6, -v42, v58, v6
	v_fmac_f32_e32 v34, v41, v58
	;; [unrolled: 2-line block ×4, first 2 shown]
	s_andn2_b64 exec, exec, s[10:11]
	s_cbranch_execnz .LBB12_27
; %bb.28:
	s_or_b64 exec, exec, s[10:11]
.LBB12_29:
	s_or_b64 exec, exec, s[8:9]
	v_cmp_lt_u32_e32 vcc, 47, v0
	s_and_saveexec_b64 s[0:1], vcc
	s_cbranch_execz .LBB12_33
; %bb.30:
	s_mov_b64 s[8:9], 0
	v_mov_b32_e32 v4, s13
	v_mov_b32_e32 v5, s7
	s_movk_i32 s7, 0x1000
.LBB12_31:                              ; =>This Inner Loop Header: Depth=1
	v_ashrrev_i32_e32 v18, 31, v17
	v_lshlrev_b64 v[0:1], 2, v[17:18]
	global_load_dwordx4 v[8:11], v[19:20], off offset:32
	global_load_dwordx4 v[21:24], v[19:20], off offset:16
	global_load_dwordx4 v[25:28], v[19:20], off
	v_add_co_u32_e32 v0, vcc, s12, v0
	v_addc_co_u32_e32 v1, vcc, v4, v1, vcc
	global_load_dword v18, v[0:1], off
	v_add_u32_e32 v17, 64, v17
	s_waitcnt vmcnt(0)
	v_subrev_u32_e32 v18, s16, v18
	v_lshlrev_b32_e32 v35, 2, v18
	v_ashrrev_i32_e32 v36, 31, v35
	v_lshlrev_b64 v[35:36], 3, v[35:36]
	v_add_co_u32_e32 v43, vcc, s6, v35
	v_addc_co_u32_e32 v44, vcc, v5, v36, vcc
	global_load_dwordx4 v[35:38], v[43:44], off
	s_waitcnt vmcnt(0)
	v_fmac_f32_e32 v7, v25, v35
	v_fmac_f32_e32 v32, v26, v35
	;; [unrolled: 1-line block ×4, first 2 shown]
	v_fma_f32 v7, -v26, v36, v7
	v_fmac_f32_e32 v32, v25, v36
	v_fma_f32 v6, -v28, v36, v6
	v_fmac_f32_e32 v34, v27, v36
	global_load_dwordx4 v[25:28], v[19:20], off offset:48
	v_fmac_f32_e32 v3, v21, v35
	v_fmac_f32_e32 v33, v22, v35
	;; [unrolled: 1-line block ×4, first 2 shown]
	v_fma_f32 v3, -v22, v36, v3
	v_fmac_f32_e32 v33, v21, v36
	v_fma_f32 v2, -v24, v36, v2
	v_fmac_f32_e32 v30, v23, v36
	v_fmac_f32_e32 v7, v8, v37
	;; [unrolled: 1-line block ×5, first 2 shown]
	v_fma_f32 v18, -v9, v38, v7
	v_fmac_f32_e32 v32, v8, v38
	v_fma_f32 v11, -v11, v38, v6
	global_load_dwordx4 v[6:9], v[19:20], off offset:96
	global_load_dwordx4 v[21:24], v[19:20], off offset:112
	v_fmac_f32_e32 v34, v10, v38
	s_waitcnt vmcnt(2)
	v_fmac_f32_e32 v3, v25, v37
	v_fmac_f32_e32 v33, v26, v37
	;; [unrolled: 1-line block ×4, first 2 shown]
	v_fma_f32 v3, -v26, v38, v3
	v_fmac_f32_e32 v33, v25, v38
	v_fma_f32 v2, -v28, v38, v2
	v_fmac_f32_e32 v30, v27, v38
	global_load_dwordx4 v[25:28], v[19:20], off offset:80
	global_load_dwordx4 v[35:38], v[19:20], off offset:64
	;; [unrolled: 1-line block ×3, first 2 shown]
	s_waitcnt vmcnt(0)
	v_fmac_f32_e32 v2, v27, v39
	v_fma_f32 v2, -v28, v40, v2
	v_fmac_f32_e32 v2, v23, v41
	v_fmac_f32_e32 v18, v35, v39
	;; [unrolled: 1-line block ×8, first 2 shown]
	v_fma_f32 v39, -v24, v42, v2
	global_load_dword v2, v[0:1], off offset:64
	v_fma_f32 v3, -v26, v40, v3
	v_fmac_f32_e32 v3, v21, v41
	v_fma_f32 v10, -v36, v40, v18
	v_fma_f32 v18, -v22, v42, v3
	v_fmac_f32_e32 v32, v35, v40
	v_fma_f32 v11, -v38, v40, v11
	v_fmac_f32_e32 v34, v37, v40
	v_fmac_f32_e32 v33, v25, v40
	;; [unrolled: 1-line block ×9, first 2 shown]
	global_load_dwordx4 v[25:28], v[19:20], off offset:2064
	v_fma_f32 v10, -v7, v42, v10
	v_fmac_f32_e32 v32, v6, v42
	v_fma_f32 v11, -v9, v42, v11
	v_fmac_f32_e32 v34, v8, v42
	global_load_dwordx4 v[6:9], v[19:20], off offset:2048
	v_fmac_f32_e32 v33, v21, v42
	v_fmac_f32_e32 v30, v23, v42
	global_load_dwordx4 v[35:38], v[19:20], off offset:2080
	s_waitcnt vmcnt(3)
	v_subrev_u32_e32 v2, s16, v2
	v_lshlrev_b32_e32 v2, 2, v2
	v_ashrrev_i32_e32 v3, 31, v2
	v_lshlrev_b64 v[2:3], 3, v[2:3]
	v_add_co_u32_e32 v2, vcc, s6, v2
	v_addc_co_u32_e32 v3, vcc, v5, v3, vcc
	global_load_dwordx4 v[21:24], v[2:3], off
	s_waitcnt vmcnt(0)
	v_fmac_f32_e32 v10, v6, v21
	v_fmac_f32_e32 v32, v7, v21
	;; [unrolled: 1-line block ×4, first 2 shown]
	v_fma_f32 v10, -v7, v22, v10
	v_fmac_f32_e32 v32, v6, v22
	v_fma_f32 v11, -v9, v22, v11
	v_fmac_f32_e32 v34, v8, v22
	global_load_dwordx4 v[6:9], v[19:20], off offset:2096
	v_fmac_f32_e32 v18, v25, v21
	v_fmac_f32_e32 v33, v26, v21
	v_fmac_f32_e32 v39, v27, v21
	v_fmac_f32_e32 v30, v28, v21
	v_fma_f32 v18, -v26, v22, v18
	v_fmac_f32_e32 v33, v25, v22
	v_fma_f32 v21, -v28, v22, v39
	v_fmac_f32_e32 v30, v27, v22
	v_fmac_f32_e32 v10, v35, v23
	;; [unrolled: 1-line block ×5, first 2 shown]
	global_load_dwordx4 v[25:28], v[19:20], off offset:2160
	v_fma_f32 v10, -v36, v24, v10
	v_fmac_f32_e32 v32, v35, v24
	v_fma_f32 v11, -v38, v24, v11
	v_fmac_f32_e32 v34, v37, v24
	global_load_dwordx4 v[35:38], v[19:20], off offset:2144
	s_waitcnt vmcnt(2)
	v_fmac_f32_e32 v18, v6, v23
	v_fmac_f32_e32 v33, v7, v23
	;; [unrolled: 1-line block ×4, first 2 shown]
	v_fma_f32 v18, -v7, v24, v18
	v_fmac_f32_e32 v33, v6, v24
	v_fma_f32 v43, -v9, v24, v21
	v_fmac_f32_e32 v30, v8, v24
	global_load_dwordx4 v[6:9], v[19:20], off offset:2128
	global_load_dwordx4 v[21:24], v[19:20], off offset:2112
	;; [unrolled: 1-line block ×3, first 2 shown]
	v_add_co_u32_e32 v2, vcc, s7, v19
	v_addc_co_u32_e32 v3, vcc, 0, v20, vcc
	s_waitcnt vmcnt(0)
	v_fmac_f32_e32 v10, v21, v39
	v_fmac_f32_e32 v18, v6, v39
	;; [unrolled: 1-line block ×8, first 2 shown]
	v_fma_f32 v10, -v22, v40, v10
	v_fma_f32 v18, -v7, v40, v18
	v_fmac_f32_e32 v33, v6, v40
	v_fma_f32 v39, -v9, v40, v43
	v_fmac_f32_e32 v30, v8, v40
	v_fmac_f32_e32 v10, v35, v41
	;; [unrolled: 1-line block ×7, first 2 shown]
	v_fma_f32 v11, -v24, v40, v11
	v_fmac_f32_e32 v34, v23, v40
	global_load_dwordx4 v[6:9], v[2:3], off
	global_load_dwordx4 v[21:24], v[2:3], off offset:32
	v_fma_f32 v40, -v36, v42, v10
	v_fma_f32 v18, -v26, v42, v18
	v_fmac_f32_e32 v33, v25, v42
	v_fma_f32 v39, -v28, v42, v39
	v_fmac_f32_e32 v30, v27, v42
	global_load_dwordx4 v[25:28], v[2:3], off offset:16
	global_load_dword v10, v[0:1], off offset:128
	v_fmac_f32_e32 v11, v37, v41
	v_fma_f32 v43, -v38, v42, v11
	v_fmac_f32_e32 v32, v36, v41
	v_fmac_f32_e32 v34, v38, v41
	;; [unrolled: 1-line block ×4, first 2 shown]
	s_waitcnt vmcnt(0)
	v_subrev_u32_e32 v10, s16, v10
	v_lshlrev_b32_e32 v10, 2, v10
	v_ashrrev_i32_e32 v11, 31, v10
	v_lshlrev_b64 v[10:11], 3, v[10:11]
	v_add_co_u32_e32 v10, vcc, s6, v10
	v_addc_co_u32_e32 v11, vcc, v5, v11, vcc
	global_load_dwordx4 v[35:38], v[10:11], off
	s_waitcnt vmcnt(0)
	v_fmac_f32_e32 v40, v6, v35
	v_fmac_f32_e32 v32, v7, v35
	;; [unrolled: 1-line block ×4, first 2 shown]
	v_fma_f32 v40, -v7, v36, v40
	v_fmac_f32_e32 v32, v6, v36
	v_fma_f32 v41, -v9, v36, v43
	v_fmac_f32_e32 v34, v8, v36
	global_load_dwordx4 v[6:9], v[2:3], off offset:48
	v_fmac_f32_e32 v18, v25, v35
	v_fmac_f32_e32 v33, v26, v35
	;; [unrolled: 1-line block ×4, first 2 shown]
	v_fma_f32 v18, -v26, v36, v18
	v_fmac_f32_e32 v33, v25, v36
	v_fma_f32 v35, -v28, v36, v39
	v_fmac_f32_e32 v30, v27, v36
	v_fmac_f32_e32 v40, v21, v37
	;; [unrolled: 1-line block ×5, first 2 shown]
	v_fma_f32 v39, -v22, v38, v40
	v_fmac_f32_e32 v32, v21, v38
	v_fma_f32 v40, -v24, v38, v41
	v_fmac_f32_e32 v34, v23, v38
	global_load_dwordx4 v[21:24], v[2:3], off offset:80
	global_load_dwordx4 v[25:28], v[2:3], off offset:96
	s_waitcnt vmcnt(2)
	v_fmac_f32_e32 v18, v6, v37
	v_fmac_f32_e32 v33, v7, v37
	;; [unrolled: 1-line block ×4, first 2 shown]
	v_fma_f32 v18, -v7, v38, v18
	v_fmac_f32_e32 v33, v6, v38
	v_fma_f32 v41, -v9, v38, v35
	v_fmac_f32_e32 v30, v8, v38
	global_load_dwordx4 v[6:9], v[2:3], off offset:64
	global_load_dwordx4 v[35:38], v[10:11], off offset:16
	s_waitcnt vmcnt(0)
	v_fmac_f32_e32 v39, v6, v35
	v_fmac_f32_e32 v32, v7, v35
	;; [unrolled: 1-line block ×4, first 2 shown]
	v_fma_f32 v10, -v7, v36, v39
	v_fmac_f32_e32 v32, v6, v36
	v_fma_f32 v11, -v9, v36, v40
	v_fmac_f32_e32 v34, v8, v36
	global_load_dwordx4 v[6:9], v[2:3], off offset:112
	v_fmac_f32_e32 v18, v21, v35
	v_fmac_f32_e32 v33, v22, v35
	;; [unrolled: 1-line block ×4, first 2 shown]
	v_fma_f32 v18, -v22, v36, v18
	v_fmac_f32_e32 v33, v21, v36
	v_fma_f32 v35, -v24, v36, v41
	v_fmac_f32_e32 v30, v23, v36
	v_fmac_f32_e32 v10, v25, v37
	;; [unrolled: 1-line block ×5, first 2 shown]
	v_fma_f32 v10, -v26, v38, v10
	v_fmac_f32_e32 v32, v25, v38
	v_fma_f32 v11, -v28, v38, v11
	v_fmac_f32_e32 v34, v27, v38
	global_load_dwordx4 v[25:28], v[2:3], off offset:2064
	global_load_dwordx4 v[21:24], v[2:3], off offset:2080
	s_waitcnt vmcnt(2)
	v_fmac_f32_e32 v18, v6, v37
	v_fmac_f32_e32 v33, v7, v37
	v_fmac_f32_e32 v35, v8, v37
	v_fmac_f32_e32 v30, v9, v37
	v_fma_f32 v18, -v7, v38, v18
	v_fmac_f32_e32 v33, v6, v38
	v_fma_f32 v39, -v9, v38, v35
	v_fmac_f32_e32 v30, v8, v38
	global_load_dwordx4 v[6:9], v[2:3], off offset:2048
	global_load_dword v35, v[0:1], off offset:192
	s_waitcnt vmcnt(0)
	v_subrev_u32_e32 v0, s16, v35
	v_lshlrev_b32_e32 v0, 2, v0
	v_ashrrev_i32_e32 v1, 31, v0
	v_lshlrev_b64 v[0:1], 3, v[0:1]
	v_add_co_u32_e32 v0, vcc, s6, v0
	v_addc_co_u32_e32 v1, vcc, v5, v1, vcc
	global_load_dwordx4 v[35:38], v[0:1], off
	v_add_co_u32_e32 v19, vcc, 0x2000, v19
	v_addc_co_u32_e32 v20, vcc, 0, v20, vcc
	v_cmp_ge_i32_e32 vcc, v17, v31
	s_or_b64 s[8:9], vcc, s[8:9]
	s_waitcnt vmcnt(0)
	v_fmac_f32_e32 v10, v6, v35
	v_fmac_f32_e32 v32, v7, v35
	;; [unrolled: 1-line block ×4, first 2 shown]
	v_fma_f32 v10, -v7, v36, v10
	v_fmac_f32_e32 v32, v6, v36
	v_fma_f32 v11, -v9, v36, v11
	v_fmac_f32_e32 v34, v8, v36
	global_load_dwordx4 v[6:9], v[2:3], off offset:2096
	v_fmac_f32_e32 v18, v25, v35
	v_fmac_f32_e32 v33, v26, v35
	;; [unrolled: 1-line block ×4, first 2 shown]
	v_fma_f32 v18, -v26, v36, v18
	v_fmac_f32_e32 v33, v25, v36
	v_fma_f32 v35, -v28, v36, v39
	v_fmac_f32_e32 v30, v27, v36
	v_fmac_f32_e32 v10, v21, v37
	v_fmac_f32_e32 v32, v22, v37
	v_fmac_f32_e32 v11, v23, v37
	v_fmac_f32_e32 v34, v24, v37
	v_fma_f32 v10, -v22, v38, v10
	v_fmac_f32_e32 v32, v21, v38
	v_fma_f32 v11, -v24, v38, v11
	v_fmac_f32_e32 v34, v23, v38
	global_load_dwordx4 v[21:24], v[2:3], off offset:2128
	global_load_dwordx4 v[25:28], v[2:3], off offset:2144
	s_waitcnt vmcnt(2)
	v_fmac_f32_e32 v18, v6, v37
	v_fmac_f32_e32 v33, v7, v37
	;; [unrolled: 1-line block ×4, first 2 shown]
	v_fma_f32 v18, -v7, v38, v18
	v_fmac_f32_e32 v33, v6, v38
	v_fma_f32 v43, -v9, v38, v35
	v_fmac_f32_e32 v30, v8, v38
	global_load_dwordx4 v[6:9], v[2:3], off offset:2112
	global_load_dwordx4 v[35:38], v[0:1], off offset:16
	;; [unrolled: 1-line block ×3, first 2 shown]
	s_waitcnt vmcnt(1)
	v_fmac_f32_e32 v10, v6, v35
	v_fmac_f32_e32 v32, v7, v35
	;; [unrolled: 1-line block ×8, first 2 shown]
	v_fma_f32 v0, -v7, v36, v10
	v_fmac_f32_e32 v32, v6, v36
	v_fma_f32 v1, -v9, v36, v11
	v_fmac_f32_e32 v34, v8, v36
	;; [unrolled: 2-line block ×4, first 2 shown]
	v_fmac_f32_e32 v0, v25, v37
	v_fmac_f32_e32 v32, v26, v37
	;; [unrolled: 1-line block ×4, first 2 shown]
	s_waitcnt vmcnt(0)
	v_fmac_f32_e32 v2, v39, v37
	v_fmac_f32_e32 v33, v40, v37
	;; [unrolled: 1-line block ×4, first 2 shown]
	v_fma_f32 v7, -v26, v38, v0
	v_fmac_f32_e32 v32, v25, v38
	v_fma_f32 v6, -v28, v38, v1
	v_fmac_f32_e32 v34, v27, v38
	;; [unrolled: 2-line block ×4, first 2 shown]
	s_andn2_b64 exec, exec, s[8:9]
	s_cbranch_execnz .LBB12_31
; %bb.32:
	s_or_b64 exec, exec, s[8:9]
.LBB12_33:
	s_or_b64 exec, exec, s[0:1]
.LBB12_34:
	s_or_b64 exec, exec, s[2:3]
.LBB12_35:
	v_mov_b32_dpp v0, v7 row_shr:1 row_mask:0xf bank_mask:0xf
	v_add_f32_e32 v0, v7, v0
	v_mov_b32_dpp v4, v32 row_shr:1 row_mask:0xf bank_mask:0xf
	v_mov_b32_dpp v7, v6 row_shr:1 row_mask:0xf bank_mask:0xf
	;; [unrolled: 1-line block ×7, first 2 shown]
	v_add_f32_e32 v4, v32, v4
	v_add_f32_e32 v6, v6, v7
	v_add_f32_e32 v8, v34, v8
	v_add_f32_e32 v3, v3, v10
	v_add_f32_e32 v11, v33, v11
	v_add_f32_e32 v2, v2, v18
	v_add_f32_e32 v19, v30, v19
	v_mov_b32_dpp v1, v0 row_shr:2 row_mask:0xf bank_mask:0xf
	v_mov_b32_dpp v5, v4 row_shr:2 row_mask:0xf bank_mask:0xf
	;; [unrolled: 1-line block ×8, first 2 shown]
	v_add_f32_e32 v0, v0, v1
	v_add_f32_e32 v4, v4, v5
	;; [unrolled: 1-line block ×8, first 2 shown]
	v_mov_b32_dpp v1, v0 row_shr:4 row_mask:0xf bank_mask:0xe
	v_mov_b32_dpp v5, v4 row_shr:4 row_mask:0xf bank_mask:0xe
	;; [unrolled: 1-line block ×8, first 2 shown]
	v_add_f32_e32 v0, v0, v1
	v_add_f32_e32 v4, v4, v5
	v_add_f32_e32 v6, v6, v7
	v_add_f32_e32 v8, v8, v9
	v_add_f32_e32 v3, v3, v10
	v_add_f32_e32 v11, v11, v17
	v_add_f32_e32 v2, v2, v18
	v_add_f32_e32 v19, v19, v20
	v_mov_b32_dpp v1, v0 row_shr:8 row_mask:0xf bank_mask:0xc
	v_mov_b32_dpp v5, v4 row_shr:8 row_mask:0xf bank_mask:0xc
	;; [unrolled: 1-line block ×8, first 2 shown]
	v_cmp_eq_u32_e32 vcc, 15, v29
	s_and_b64 exec, exec, vcc
	s_cbranch_execz .LBB12_8
; %bb.36:
	s_load_dwordx2 s[2:3], s[4:5], 0x50
	v_add_f32_e32 v21, v0, v1
	v_add_f32_e32 v0, v4, v5
	;; [unrolled: 1-line block ×8, first 2 shown]
	v_cmp_eq_f32_e32 vcc, 0, v12
	v_cmp_eq_f32_e64 s[0:1], 0, v13
	v_mul_f32_e64 v4, v0, -v15
	v_mul_f32_e32 v5, v14, v0
	v_mul_f32_e64 v6, v1, -v15
	v_mul_f32_e32 v7, v14, v1
	;; [unrolled: 2-line block ×4, first 2 shown]
	s_and_b64 s[0:1], vcc, s[0:1]
	v_fmac_f32_e32 v4, v14, v21
	v_fmac_f32_e32 v5, v15, v21
	v_lshlrev_b32_e32 v8, 2, v16
	v_fmac_f32_e32 v6, v14, v22
	v_fmac_f32_e32 v7, v15, v22
	;; [unrolled: 1-line block ×6, first 2 shown]
	s_and_saveexec_b64 s[4:5], s[0:1]
	s_xor_b64 s[0:1], exec, s[4:5]
	s_cbranch_execz .LBB12_38
; %bb.37:
	v_ashrrev_i32_e32 v9, 31, v8
	v_lshlrev_b64 v[8:9], 3, v[8:9]
	s_waitcnt lgkmcnt(0)
	v_mov_b32_e32 v10, s3
	v_add_co_u32_e32 v8, vcc, s2, v8
	v_addc_co_u32_e32 v9, vcc, v10, v9, vcc
	global_store_dwordx4 v[8:9], v[4:7], off
	global_store_dwordx4 v[8:9], v[0:3], off offset:16
                                        ; implicit-def: $vgpr12_vgpr13
                                        ; implicit-def: $vgpr4
                                        ; implicit-def: $vgpr8
                                        ; implicit-def: $vgpr0
.LBB12_38:
	s_andn2_saveexec_b64 s[0:1], s[0:1]
	s_cbranch_execz .LBB12_8
; %bb.39:
	v_ashrrev_i32_e32 v9, 31, v8
	v_lshlrev_b64 v[8:9], 3, v[8:9]
	s_waitcnt lgkmcnt(0)
	v_mov_b32_e32 v10, s3
	v_add_co_u32_e32 v18, vcc, s2, v8
	v_addc_co_u32_e32 v19, vcc, v10, v9, vcc
	global_load_dwordx4 v[8:11], v[18:19], off
	global_load_dwordx4 v[14:17], v[18:19], off offset:16
	s_waitcnt vmcnt(1)
	v_fmac_f32_e32 v4, v12, v8
	v_fmac_f32_e32 v5, v13, v8
	;; [unrolled: 1-line block ×4, first 2 shown]
	s_waitcnt vmcnt(0)
	v_fmac_f32_e32 v0, v12, v14
	v_fmac_f32_e32 v1, v13, v14
	;; [unrolled: 1-line block ×4, first 2 shown]
	v_fma_f32 v4, -v13, v9, v4
	v_fmac_f32_e32 v5, v12, v9
	v_fma_f32 v6, -v13, v11, v6
	v_fmac_f32_e32 v7, v12, v11
	;; [unrolled: 2-line block ×4, first 2 shown]
	global_store_dwordx4 v[18:19], v[4:7], off
	global_store_dwordx4 v[18:19], v[0:3], off offset:16
	s_endpgm
	.section	.rodata,"a",@progbits
	.p2align	6, 0x0
	.amdhsa_kernel _ZN9rocsparseL18bsrxmvn_4x4_kernelILj128ELj16E21rocsparse_complex_numIfEiiS2_S2_S2_EEvT3_20rocsparse_direction_NS_24const_host_device_scalarIT1_EES3_PKS3_PKT2_SC_S9_PKT4_PKT5_S7_PT6_21rocsparse_index_base_b
		.amdhsa_group_segment_fixed_size 0
		.amdhsa_private_segment_fixed_size 0
		.amdhsa_kernarg_size 96
		.amdhsa_user_sgpr_count 6
		.amdhsa_user_sgpr_private_segment_buffer 1
		.amdhsa_user_sgpr_dispatch_ptr 0
		.amdhsa_user_sgpr_queue_ptr 0
		.amdhsa_user_sgpr_kernarg_segment_ptr 1
		.amdhsa_user_sgpr_dispatch_id 0
		.amdhsa_user_sgpr_flat_scratch_init 0
		.amdhsa_user_sgpr_private_segment_size 0
		.amdhsa_uses_dynamic_stack 0
		.amdhsa_system_sgpr_private_segment_wavefront_offset 0
		.amdhsa_system_sgpr_workgroup_id_x 1
		.amdhsa_system_sgpr_workgroup_id_y 0
		.amdhsa_system_sgpr_workgroup_id_z 0
		.amdhsa_system_sgpr_workgroup_info 0
		.amdhsa_system_vgpr_workitem_id 0
		.amdhsa_next_free_vgpr 65
		.amdhsa_next_free_sgpr 18
		.amdhsa_reserve_vcc 1
		.amdhsa_reserve_flat_scratch 0
		.amdhsa_float_round_mode_32 0
		.amdhsa_float_round_mode_16_64 0
		.amdhsa_float_denorm_mode_32 3
		.amdhsa_float_denorm_mode_16_64 3
		.amdhsa_dx10_clamp 1
		.amdhsa_ieee_mode 1
		.amdhsa_fp16_overflow 0
		.amdhsa_exception_fp_ieee_invalid_op 0
		.amdhsa_exception_fp_denorm_src 0
		.amdhsa_exception_fp_ieee_div_zero 0
		.amdhsa_exception_fp_ieee_overflow 0
		.amdhsa_exception_fp_ieee_underflow 0
		.amdhsa_exception_fp_ieee_inexact 0
		.amdhsa_exception_int_div_zero 0
	.end_amdhsa_kernel
	.section	.text._ZN9rocsparseL18bsrxmvn_4x4_kernelILj128ELj16E21rocsparse_complex_numIfEiiS2_S2_S2_EEvT3_20rocsparse_direction_NS_24const_host_device_scalarIT1_EES3_PKS3_PKT2_SC_S9_PKT4_PKT5_S7_PT6_21rocsparse_index_base_b,"axG",@progbits,_ZN9rocsparseL18bsrxmvn_4x4_kernelILj128ELj16E21rocsparse_complex_numIfEiiS2_S2_S2_EEvT3_20rocsparse_direction_NS_24const_host_device_scalarIT1_EES3_PKS3_PKT2_SC_S9_PKT4_PKT5_S7_PT6_21rocsparse_index_base_b,comdat
.Lfunc_end12:
	.size	_ZN9rocsparseL18bsrxmvn_4x4_kernelILj128ELj16E21rocsparse_complex_numIfEiiS2_S2_S2_EEvT3_20rocsparse_direction_NS_24const_host_device_scalarIT1_EES3_PKS3_PKT2_SC_S9_PKT4_PKT5_S7_PT6_21rocsparse_index_base_b, .Lfunc_end12-_ZN9rocsparseL18bsrxmvn_4x4_kernelILj128ELj16E21rocsparse_complex_numIfEiiS2_S2_S2_EEvT3_20rocsparse_direction_NS_24const_host_device_scalarIT1_EES3_PKS3_PKT2_SC_S9_PKT4_PKT5_S7_PT6_21rocsparse_index_base_b
                                        ; -- End function
	.set _ZN9rocsparseL18bsrxmvn_4x4_kernelILj128ELj16E21rocsparse_complex_numIfEiiS2_S2_S2_EEvT3_20rocsparse_direction_NS_24const_host_device_scalarIT1_EES3_PKS3_PKT2_SC_S9_PKT4_PKT5_S7_PT6_21rocsparse_index_base_b.num_vgpr, 65
	.set _ZN9rocsparseL18bsrxmvn_4x4_kernelILj128ELj16E21rocsparse_complex_numIfEiiS2_S2_S2_EEvT3_20rocsparse_direction_NS_24const_host_device_scalarIT1_EES3_PKS3_PKT2_SC_S9_PKT4_PKT5_S7_PT6_21rocsparse_index_base_b.num_agpr, 0
	.set _ZN9rocsparseL18bsrxmvn_4x4_kernelILj128ELj16E21rocsparse_complex_numIfEiiS2_S2_S2_EEvT3_20rocsparse_direction_NS_24const_host_device_scalarIT1_EES3_PKS3_PKT2_SC_S9_PKT4_PKT5_S7_PT6_21rocsparse_index_base_b.numbered_sgpr, 18
	.set _ZN9rocsparseL18bsrxmvn_4x4_kernelILj128ELj16E21rocsparse_complex_numIfEiiS2_S2_S2_EEvT3_20rocsparse_direction_NS_24const_host_device_scalarIT1_EES3_PKS3_PKT2_SC_S9_PKT4_PKT5_S7_PT6_21rocsparse_index_base_b.num_named_barrier, 0
	.set _ZN9rocsparseL18bsrxmvn_4x4_kernelILj128ELj16E21rocsparse_complex_numIfEiiS2_S2_S2_EEvT3_20rocsparse_direction_NS_24const_host_device_scalarIT1_EES3_PKS3_PKT2_SC_S9_PKT4_PKT5_S7_PT6_21rocsparse_index_base_b.private_seg_size, 0
	.set _ZN9rocsparseL18bsrxmvn_4x4_kernelILj128ELj16E21rocsparse_complex_numIfEiiS2_S2_S2_EEvT3_20rocsparse_direction_NS_24const_host_device_scalarIT1_EES3_PKS3_PKT2_SC_S9_PKT4_PKT5_S7_PT6_21rocsparse_index_base_b.uses_vcc, 1
	.set _ZN9rocsparseL18bsrxmvn_4x4_kernelILj128ELj16E21rocsparse_complex_numIfEiiS2_S2_S2_EEvT3_20rocsparse_direction_NS_24const_host_device_scalarIT1_EES3_PKS3_PKT2_SC_S9_PKT4_PKT5_S7_PT6_21rocsparse_index_base_b.uses_flat_scratch, 0
	.set _ZN9rocsparseL18bsrxmvn_4x4_kernelILj128ELj16E21rocsparse_complex_numIfEiiS2_S2_S2_EEvT3_20rocsparse_direction_NS_24const_host_device_scalarIT1_EES3_PKS3_PKT2_SC_S9_PKT4_PKT5_S7_PT6_21rocsparse_index_base_b.has_dyn_sized_stack, 0
	.set _ZN9rocsparseL18bsrxmvn_4x4_kernelILj128ELj16E21rocsparse_complex_numIfEiiS2_S2_S2_EEvT3_20rocsparse_direction_NS_24const_host_device_scalarIT1_EES3_PKS3_PKT2_SC_S9_PKT4_PKT5_S7_PT6_21rocsparse_index_base_b.has_recursion, 0
	.set _ZN9rocsparseL18bsrxmvn_4x4_kernelILj128ELj16E21rocsparse_complex_numIfEiiS2_S2_S2_EEvT3_20rocsparse_direction_NS_24const_host_device_scalarIT1_EES3_PKS3_PKT2_SC_S9_PKT4_PKT5_S7_PT6_21rocsparse_index_base_b.has_indirect_call, 0
	.section	.AMDGPU.csdata,"",@progbits
; Kernel info:
; codeLenInByte = 6472
; TotalNumSgprs: 22
; NumVgprs: 65
; ScratchSize: 0
; MemoryBound: 0
; FloatMode: 240
; IeeeMode: 1
; LDSByteSize: 0 bytes/workgroup (compile time only)
; SGPRBlocks: 2
; VGPRBlocks: 16
; NumSGPRsForWavesPerEU: 22
; NumVGPRsForWavesPerEU: 65
; Occupancy: 3
; WaveLimiterHint : 1
; COMPUTE_PGM_RSRC2:SCRATCH_EN: 0
; COMPUTE_PGM_RSRC2:USER_SGPR: 6
; COMPUTE_PGM_RSRC2:TRAP_HANDLER: 0
; COMPUTE_PGM_RSRC2:TGID_X_EN: 1
; COMPUTE_PGM_RSRC2:TGID_Y_EN: 0
; COMPUTE_PGM_RSRC2:TGID_Z_EN: 0
; COMPUTE_PGM_RSRC2:TIDIG_COMP_CNT: 0
	.section	.text._ZN9rocsparseL18bsrxmvn_4x4_kernelILj128ELj32E21rocsparse_complex_numIfEiiS2_S2_S2_EEvT3_20rocsparse_direction_NS_24const_host_device_scalarIT1_EES3_PKS3_PKT2_SC_S9_PKT4_PKT5_S7_PT6_21rocsparse_index_base_b,"axG",@progbits,_ZN9rocsparseL18bsrxmvn_4x4_kernelILj128ELj32E21rocsparse_complex_numIfEiiS2_S2_S2_EEvT3_20rocsparse_direction_NS_24const_host_device_scalarIT1_EES3_PKS3_PKT2_SC_S9_PKT4_PKT5_S7_PT6_21rocsparse_index_base_b,comdat
	.globl	_ZN9rocsparseL18bsrxmvn_4x4_kernelILj128ELj32E21rocsparse_complex_numIfEiiS2_S2_S2_EEvT3_20rocsparse_direction_NS_24const_host_device_scalarIT1_EES3_PKS3_PKT2_SC_S9_PKT4_PKT5_S7_PT6_21rocsparse_index_base_b ; -- Begin function _ZN9rocsparseL18bsrxmvn_4x4_kernelILj128ELj32E21rocsparse_complex_numIfEiiS2_S2_S2_EEvT3_20rocsparse_direction_NS_24const_host_device_scalarIT1_EES3_PKS3_PKT2_SC_S9_PKT4_PKT5_S7_PT6_21rocsparse_index_base_b
	.p2align	8
	.type	_ZN9rocsparseL18bsrxmvn_4x4_kernelILj128ELj32E21rocsparse_complex_numIfEiiS2_S2_S2_EEvT3_20rocsparse_direction_NS_24const_host_device_scalarIT1_EES3_PKS3_PKT2_SC_S9_PKT4_PKT5_S7_PT6_21rocsparse_index_base_b,@function
_ZN9rocsparseL18bsrxmvn_4x4_kernelILj128ELj32E21rocsparse_complex_numIfEiiS2_S2_S2_EEvT3_20rocsparse_direction_NS_24const_host_device_scalarIT1_EES3_PKS3_PKT2_SC_S9_PKT4_PKT5_S7_PT6_21rocsparse_index_base_b: ; @_ZN9rocsparseL18bsrxmvn_4x4_kernelILj128ELj32E21rocsparse_complex_numIfEiiS2_S2_S2_EEvT3_20rocsparse_direction_NS_24const_host_device_scalarIT1_EES3_PKS3_PKT2_SC_S9_PKT4_PKT5_S7_PT6_21rocsparse_index_base_b
; %bb.0:
	s_load_dwordx2 s[0:1], s[4:5], 0x8
	s_load_dwordx2 s[16:17], s[4:5], 0x58
	s_add_u32 s7, s4, 8
	s_addc_u32 s8, s5, 0
	s_add_u32 s9, s4, 0x48
	s_load_dwordx2 s[2:3], s[4:5], 0x48
	s_addc_u32 s10, s5, 0
	s_waitcnt lgkmcnt(0)
	s_bitcmp1_b32 s17, 0
	s_cselect_b32 s1, s8, s1
	s_cselect_b32 s0, s7, s0
	v_mov_b32_e32 v1, s0
	v_mov_b32_e32 v2, s1
	flat_load_dwordx2 v[14:15], v[1:2]
	s_cselect_b32 s0, s10, s3
	s_cselect_b32 s1, s9, s2
	v_mov_b32_e32 v1, s1
	v_mov_b32_e32 v2, s0
	flat_load_dwordx2 v[12:13], v[1:2]
	s_waitcnt vmcnt(0) lgkmcnt(0)
	v_cmp_eq_f32_e32 vcc, 0, v14
	v_cmp_eq_f32_e64 s[0:1], 0, v15
	s_and_b64 s[8:9], vcc, s[0:1]
	s_mov_b64 s[0:1], -1
	s_and_saveexec_b64 s[2:3], s[8:9]
; %bb.1:
	v_cmp_neq_f32_e32 vcc, 1.0, v12
	v_cmp_neq_f32_e64 s[0:1], 0, v13
	s_or_b64 s[0:1], vcc, s[0:1]
	s_orn2_b64 s[0:1], s[0:1], exec
; %bb.2:
	s_or_b64 exec, exec, s[2:3]
	s_and_saveexec_b64 s[2:3], s[0:1]
	s_cbranch_execz .LBB13_8
; %bb.3:
	s_load_dwordx2 s[8:9], s[4:5], 0x18
	s_load_dwordx2 s[0:1], s[4:5], 0x0
	v_lshrrev_b32_e32 v1, 5, v0
	v_lshl_or_b32 v16, s6, 2, v1
	s_mov_b64 s[2:3], 0
	s_waitcnt lgkmcnt(0)
	s_cmp_lg_u64 s[8:9], 0
	s_cbranch_scc0 .LBB13_9
; %bb.4:
	s_load_dword s6, s[4:5], 0x10
                                        ; implicit-def: $vgpr1
	s_waitcnt lgkmcnt(0)
	v_cmp_gt_i32_e32 vcc, s6, v16
	s_and_saveexec_b64 s[6:7], vcc
	s_xor_b64 s[6:7], exec, s[6:7]
	s_cbranch_execz .LBB13_6
; %bb.5:
	v_ashrrev_i32_e32 v17, 31, v16
	v_lshlrev_b64 v[1:2], 2, v[16:17]
	v_mov_b32_e32 v3, s9
	v_add_co_u32_e32 v1, vcc, s8, v1
	v_addc_co_u32_e32 v2, vcc, v3, v2, vcc
	global_load_dword v1, v[1:2], off
	s_mov_b64 s[2:3], exec
	s_waitcnt vmcnt(0)
	v_subrev_u32_e32 v1, s16, v1
.LBB13_6:
	s_or_b64 exec, exec, s[6:7]
	s_branch .LBB13_10
.LBB13_7:
	v_cmp_gt_i32_e32 vcc, s0, v16
	s_andn2_b64 s[2:3], s[2:3], exec
	s_and_b64 s[6:7], vcc, exec
	s_or_b64 s[2:3], s[2:3], s[6:7]
	s_and_b64 exec, exec, s[2:3]
	s_cbranch_execnz .LBB13_11
.LBB13_8:
	s_endpgm
.LBB13_9:
                                        ; implicit-def: $vgpr1
	s_cbranch_execnz .LBB13_7
.LBB13_10:
	v_mov_b32_e32 v16, v1
	s_and_b64 exec, exec, s[2:3]
	s_cbranch_execz .LBB13_8
.LBB13_11:
	s_load_dwordx8 s[8:15], s[4:5], 0x20
	v_ashrrev_i32_e32 v17, 31, v16
	v_lshlrev_b64 v[1:2], 2, v[16:17]
	v_and_b32_e32 v33, 31, v0
	s_waitcnt lgkmcnt(0)
	v_mov_b32_e32 v4, s9
	v_add_co_u32_e32 v3, vcc, s8, v1
	v_addc_co_u32_e32 v4, vcc, v4, v2, vcc
	global_load_dword v39, v[3:4], off
	v_add_co_u32_e32 v3, vcc, 4, v3
	v_addc_co_u32_e32 v4, vcc, 0, v4, vcc
	v_mov_b32_e32 v5, s11
	v_add_co_u32_e32 v1, vcc, s10, v1
	s_cmp_eq_u64 s[10:11], 0
	v_addc_co_u32_e32 v2, vcc, v5, v2, vcc
	s_cselect_b64 vcc, -1, 0
	v_cndmask_b32_e32 v2, v2, v4, vcc
	v_cndmask_b32_e32 v1, v1, v3, vcc
	global_load_dword v1, v[1:2], off
	s_load_dwordx2 s[8:9], s[4:5], 0x40
	v_mov_b32_e32 v2, s15
	s_cmp_eq_u32 s1, 1
	s_waitcnt vmcnt(1)
	v_subrev_u32_e32 v0, s16, v39
	v_add_u32_e32 v17, v0, v33
	v_ashrrev_i32_e32 v18, 31, v17
	s_waitcnt vmcnt(0)
	v_subrev_u32_e32 v35, s16, v1
	v_lshlrev_b64 v[0:1], 7, v[17:18]
	v_cmp_lt_i32_e64 s[0:1], v17, v35
	v_add_co_u32_e32 v19, vcc, s14, v0
	v_addc_co_u32_e32 v20, vcc, v2, v1, vcc
	s_cbranch_scc1 .LBB13_23
; %bb.12:
	v_mov_b32_e32 v37, 0
	v_mov_b32_e32 v7, 0
	;; [unrolled: 1-line block ×8, first 2 shown]
	s_and_saveexec_b64 s[10:11], s[0:1]
	s_cbranch_execz .LBB13_22
; %bb.13:
	v_add_u32_e32 v0, v39, v33
	v_subrev_u32_e32 v0, s16, v0
	v_add_u32_e32 v0, 32, v0
	v_max_i32_e32 v0, v0, v35
	v_not_b32_e32 v1, v39
	v_add3_u32 v0, s16, v0, v1
	v_sub_u32_e32 v0, v0, v33
	s_movk_i32 s2, 0x60
	v_and_b32_e32 v1, 0x60, v0
	v_mov_b32_e32 v24, v20
	v_cmp_ne_u32_e32 vcc, s2, v1
	v_mov_b32_e32 v38, 0
	v_mov_b32_e32 v6, 0
	;; [unrolled: 1-line block ×10, first 2 shown]
	s_and_saveexec_b64 s[6:7], vcc
	s_cbranch_execz .LBB13_17
; %bb.14:
	v_lshrrev_b32_e32 v1, 5, v0
	v_add_u32_e32 v1, 1, v1
	v_and_b32_e32 v1, 3, v1
	v_mov_b32_e32 v24, v20
	v_sub_u32_e32 v1, 0, v1
	v_mov_b32_e32 v37, 0
	s_mov_b64 s[14:15], 0
	v_mov_b32_e32 v4, s13
	s_waitcnt lgkmcnt(0)
	v_mov_b32_e32 v5, s9
	v_mov_b32_e32 v21, v17
	;; [unrolled: 1-line block ×10, first 2 shown]
.LBB13_15:                              ; =>This Inner Loop Header: Depth=1
	v_ashrrev_i32_e32 v22, 31, v21
	v_lshlrev_b64 v[48:49], 2, v[21:22]
	global_load_dwordx4 v[8:11], v[23:24], off offset:32
	global_load_dwordx4 v[25:28], v[23:24], off offset:64
	;; [unrolled: 1-line block ×3, first 2 shown]
	global_load_dwordx4 v[40:43], v[23:24], off
	global_load_dwordx4 v[44:47], v[23:24], off offset:16
	v_add_co_u32_e32 v48, vcc, s12, v48
	v_addc_co_u32_e32 v49, vcc, v4, v49, vcc
	global_load_dword v18, v[48:49], off
	v_add_co_u32_e64 v1, s[2:3], 1, v1
	v_add_u32_e32 v21, 32, v21
	s_or_b64 s[14:15], s[2:3], s[14:15]
	s_waitcnt vmcnt(0)
	v_subrev_u32_e32 v18, s16, v18
	v_lshlrev_b32_e32 v48, 2, v18
	v_ashrrev_i32_e32 v49, 31, v48
	v_lshlrev_b64 v[48:49], 3, v[48:49]
	v_add_co_u32_e32 v56, vcc, s8, v48
	v_addc_co_u32_e32 v57, vcc, v5, v49, vcc
	global_load_dwordx4 v[48:51], v[56:57], off
	global_load_dwordx4 v[52:55], v[56:57], off offset:16
	s_waitcnt vmcnt(1)
	v_fmac_f32_e32 v7, v40, v48
	v_fmac_f32_e32 v37, v41, v48
	;; [unrolled: 1-line block ×5, first 2 shown]
	v_fma_f32 v7, -v41, v49, v7
	v_fmac_f32_e32 v37, v40, v49
	v_fmac_f32_e32 v38, v9, v48
	v_fma_f32 v6, -v9, v49, v6
	v_fma_f32 v3, -v26, v49, v3
	v_fmac_f32_e32 v36, v25, v49
	v_fmac_f32_e32 v7, v42, v50
	;; [unrolled: 1-line block ×7, first 2 shown]
	v_fma_f32 v18, -v43, v51, v7
	v_fmac_f32_e32 v37, v42, v51
	global_load_dwordx4 v[40:43], v[23:24], off offset:48
	v_fmac_f32_e32 v38, v11, v50
	v_fma_f32 v11, -v11, v51, v6
	global_load_dwordx4 v[6:9], v[23:24], off offset:80
	v_fma_f32 v3, -v28, v51, v3
	v_fmac_f32_e32 v36, v27, v51
	global_load_dwordx4 v[25:28], v[23:24], off offset:112
	v_fmac_f32_e32 v2, v29, v48
	v_fmac_f32_e32 v34, v30, v48
	v_fma_f32 v2, -v30, v49, v2
	v_fmac_f32_e32 v34, v29, v49
	v_fmac_f32_e32 v2, v31, v50
	;; [unrolled: 1-line block ×4, first 2 shown]
	v_fma_f32 v2, -v32, v51, v2
	v_fmac_f32_e32 v34, v31, v51
	s_waitcnt vmcnt(3)
	v_fmac_f32_e32 v18, v44, v52
	v_fmac_f32_e32 v37, v45, v52
	v_fma_f32 v10, -v45, v53, v18
	v_fmac_f32_e32 v37, v44, v53
	v_add_co_u32_e32 v23, vcc, 0x1000, v23
	v_fmac_f32_e32 v10, v46, v54
	v_fmac_f32_e32 v37, v47, v54
	v_addc_co_u32_e32 v24, vcc, 0, v24, vcc
	v_fmac_f32_e32 v37, v46, v55
	s_waitcnt vmcnt(2)
	v_fmac_f32_e32 v11, v40, v52
	v_fmac_f32_e32 v38, v41, v52
	v_fma_f32 v11, -v41, v53, v11
	s_waitcnt vmcnt(1)
	v_fmac_f32_e32 v3, v6, v52
	v_fmac_f32_e32 v36, v7, v52
	;; [unrolled: 1-line block ×3, first 2 shown]
	s_waitcnt vmcnt(0)
	v_fmac_f32_e32 v2, v25, v52
	v_fmac_f32_e32 v34, v26, v52
	v_fma_f32 v3, -v7, v53, v3
	v_fmac_f32_e32 v36, v6, v53
	v_fma_f32 v2, -v26, v53, v2
	v_fmac_f32_e32 v34, v25, v53
	v_fmac_f32_e32 v11, v42, v54
	;; [unrolled: 1-line block ×7, first 2 shown]
	v_fma_f32 v7, -v47, v55, v10
	v_fma_f32 v6, -v43, v55, v11
	v_fmac_f32_e32 v38, v42, v55
	v_fma_f32 v3, -v9, v55, v3
	v_fmac_f32_e32 v36, v8, v55
	;; [unrolled: 2-line block ×3, first 2 shown]
	s_andn2_b64 exec, exec, s[14:15]
	s_cbranch_execnz .LBB13_15
; %bb.16:
	s_or_b64 exec, exec, s[14:15]
.LBB13_17:
	s_or_b64 exec, exec, s[6:7]
	s_movk_i32 s2, 0x5f
	v_cmp_lt_u32_e32 vcc, s2, v0
	s_and_saveexec_b64 s[14:15], vcc
	s_cbranch_execz .LBB13_21
; %bb.18:
	s_mov_b64 s[18:19], 0
	v_mov_b32_e32 v18, s13
	s_waitcnt lgkmcnt(0)
	v_mov_b32_e32 v40, s9
	s_movk_i32 s17, 0x1000
	s_movk_i32 s20, 0x2000
	;; [unrolled: 1-line block ×3, first 2 shown]
.LBB13_19:                              ; =>This Inner Loop Header: Depth=1
	v_ashrrev_i32_e32 v22, 31, v21
	v_lshlrev_b64 v[0:1], 2, v[21:22]
	global_load_dwordx4 v[8:11], v[23:24], off offset:32
	global_load_dwordx4 v[29:32], v[23:24], off
	global_load_dwordx4 v[41:44], v[23:24], off offset:64
	v_add_co_u32_e32 v27, vcc, s12, v0
	v_addc_co_u32_e32 v28, vcc, v18, v1, vcc
	global_load_dword v0, v[27:28], off
	global_load_dwordx4 v[49:52], v[23:24], off offset:48
	global_load_dwordx4 v[53:56], v[23:24], off offset:16
	v_add_u32_e32 v21, 0x80, v21
	s_waitcnt vmcnt(2)
	v_subrev_u32_e32 v0, s16, v0
	v_lshlrev_b32_e32 v0, 2, v0
	v_ashrrev_i32_e32 v1, 31, v0
	v_lshlrev_b64 v[0:1], 3, v[0:1]
	v_add_co_u32_e32 v25, vcc, s8, v0
	v_addc_co_u32_e32 v26, vcc, v40, v1, vcc
	global_load_dwordx4 v[45:48], v[25:26], off
	s_waitcnt vmcnt(0)
	v_fmac_f32_e32 v7, v29, v45
	v_fmac_f32_e32 v37, v30, v45
	v_fma_f32 v0, -v30, v46, v7
	v_fmac_f32_e32 v37, v29, v46
	v_fmac_f32_e32 v0, v31, v47
	;; [unrolled: 1-line block ×3, first 2 shown]
	v_fma_f32 v57, -v32, v48, v0
	v_fmac_f32_e32 v37, v31, v48
	global_load_dwordx4 v[29:32], v[23:24], off offset:96
	v_fmac_f32_e32 v6, v8, v45
	v_fma_f32 v0, -v9, v46, v6
	v_fmac_f32_e32 v0, v10, v47
	v_fmac_f32_e32 v3, v41, v45
	v_fma_f32 v58, -v11, v48, v0
	v_fma_f32 v0, -v42, v46, v3
	v_fmac_f32_e32 v38, v9, v45
	v_fmac_f32_e32 v0, v43, v47
	;; [unrolled: 1-line block ×3, first 2 shown]
	v_fma_f32 v22, -v44, v48, v0
	v_fmac_f32_e32 v38, v11, v47
	v_fmac_f32_e32 v36, v42, v45
	;; [unrolled: 1-line block ×6, first 2 shown]
	s_waitcnt vmcnt(0)
	v_fmac_f32_e32 v2, v29, v45
	v_fma_f32 v0, -v30, v46, v2
	v_fmac_f32_e32 v0, v31, v47
	v_fma_f32 v41, -v32, v48, v0
	global_load_dwordx4 v[0:3], v[23:24], off offset:112
	global_load_dwordx4 v[8:11], v[23:24], off offset:80
	;; [unrolled: 1-line block ×3, first 2 shown]
	v_fmac_f32_e32 v34, v30, v45
	v_fmac_f32_e32 v34, v29, v46
	;; [unrolled: 1-line block ×4, first 2 shown]
	v_add_co_u32_e64 v31, s[6:7], s17, v23
	v_add_co_u32_e32 v29, vcc, s20, v23
	v_addc_co_u32_e64 v32, s[6:7], 0, v24, s[6:7]
	v_addc_co_u32_e32 v30, vcc, 0, v24, vcc
	s_waitcnt vmcnt(0)
	v_fmac_f32_e32 v22, v8, v4
	v_fmac_f32_e32 v36, v9, v4
	;; [unrolled: 1-line block ×4, first 2 shown]
	v_fma_f32 v9, -v9, v5, v22
	v_fmac_f32_e32 v36, v8, v5
	v_fma_f32 v1, -v1, v5, v41
	v_fmac_f32_e32 v34, v0, v5
	v_fmac_f32_e32 v9, v10, v6
	;; [unrolled: 1-line block ×9, first 2 shown]
	v_fma_f32 v22, -v11, v7, v9
	v_fmac_f32_e32 v36, v10, v7
	global_load_dwordx4 v[8:11], v[29:30], off offset:-4096
	v_fma_f32 v41, -v3, v7, v1
	v_fmac_f32_e32 v34, v2, v7
	global_load_dwordx4 v[0:3], v[31:32], off offset:32
	global_load_dword v4, v[27:28], off offset:128
	v_fma_f32 v25, -v54, v5, v57
	v_fmac_f32_e32 v25, v55, v6
	v_fma_f32 v42, -v56, v7, v25
	v_fma_f32 v25, -v50, v5, v58
	v_fmac_f32_e32 v37, v53, v5
	v_fmac_f32_e32 v38, v49, v5
	v_fmac_f32_e32 v25, v51, v6
	v_fma_f32 v43, -v52, v7, v25
	v_add_co_u32_e64 v25, s[2:3], s21, v23
	v_addc_co_u32_e64 v26, vcc, 0, v24, s[2:3]
	v_fmac_f32_e32 v37, v56, v6
	v_fmac_f32_e32 v38, v52, v6
	;; [unrolled: 1-line block ×4, first 2 shown]
	v_cmp_ge_i32_e64 s[2:3], v21, v35
	s_or_b64 s[18:19], s[2:3], s[18:19]
	s_waitcnt vmcnt(0)
	v_subrev_u32_e32 v4, s16, v4
	v_lshlrev_b32_e32 v4, 2, v4
	v_ashrrev_i32_e32 v5, 31, v4
	v_lshlrev_b64 v[4:5], 3, v[4:5]
	v_add_co_u32_e32 v44, vcc, s8, v4
	v_addc_co_u32_e32 v45, vcc, v40, v5, vcc
	global_load_dwordx4 v[4:7], v[44:45], off
	s_waitcnt vmcnt(0)
	v_fmac_f32_e32 v42, v8, v4
	v_fmac_f32_e32 v37, v9, v4
	v_fma_f32 v9, -v9, v5, v42
	v_fmac_f32_e32 v37, v8, v5
	v_fmac_f32_e32 v9, v10, v6
	v_fmac_f32_e32 v37, v11, v6
	v_fma_f32 v42, -v11, v7, v9
	v_fmac_f32_e32 v37, v10, v7
	global_load_dwordx4 v[8:11], v[31:32], off offset:64
	v_fmac_f32_e32 v43, v0, v4
	v_fmac_f32_e32 v38, v1, v4
	v_fma_f32 v1, -v1, v5, v43
	v_fmac_f32_e32 v38, v0, v5
	v_fmac_f32_e32 v1, v2, v6
	;; [unrolled: 1-line block ×3, first 2 shown]
	v_fma_f32 v46, -v3, v7, v1
	v_fmac_f32_e32 v38, v2, v7
	global_load_dwordx4 v[0:3], v[31:32], off offset:96
	s_waitcnt vmcnt(1)
	v_fmac_f32_e32 v22, v8, v4
	v_fmac_f32_e32 v36, v9, v4
	v_fma_f32 v9, -v9, v5, v22
	v_fmac_f32_e32 v36, v8, v5
	v_fmac_f32_e32 v9, v10, v6
	;; [unrolled: 1-line block ×3, first 2 shown]
	v_fma_f32 v22, -v11, v7, v9
	v_fmac_f32_e32 v36, v10, v7
	global_load_dwordx4 v[8:11], v[31:32], off offset:48
	s_waitcnt vmcnt(1)
	v_fmac_f32_e32 v41, v0, v4
	v_fmac_f32_e32 v34, v1, v4
	v_fma_f32 v1, -v1, v5, v41
	v_fmac_f32_e32 v34, v0, v5
	v_fmac_f32_e32 v1, v2, v6
	;; [unrolled: 1-line block ×3, first 2 shown]
	v_fma_f32 v47, -v3, v7, v1
	v_fmac_f32_e32 v34, v2, v7
	global_load_dwordx4 v[0:3], v[31:32], off offset:16
	global_load_dwordx4 v[4:7], v[44:45], off offset:16
	s_waitcnt vmcnt(0)
	v_fmac_f32_e32 v42, v0, v4
	v_fmac_f32_e32 v37, v1, v4
	v_fma_f32 v1, -v1, v5, v42
	v_fmac_f32_e32 v37, v0, v5
	v_fmac_f32_e32 v1, v2, v6
	v_fmac_f32_e32 v37, v3, v6
	v_fma_f32 v45, -v3, v7, v1
	v_fmac_f32_e32 v37, v2, v7
	global_load_dwordx4 v[0:3], v[31:32], off offset:80
	global_load_dwordx4 v[41:44], v[31:32], off offset:112
	v_fmac_f32_e32 v46, v8, v4
	v_fmac_f32_e32 v38, v9, v4
	v_fma_f32 v9, -v9, v5, v46
	v_fmac_f32_e32 v38, v8, v5
	v_fmac_f32_e32 v9, v10, v6
	;; [unrolled: 1-line block ×3, first 2 shown]
	v_fma_f32 v46, -v11, v7, v9
	v_fmac_f32_e32 v38, v10, v7
	global_load_dwordx4 v[8:11], v[29:30], off
	s_waitcnt vmcnt(2)
	v_fmac_f32_e32 v22, v0, v4
	s_waitcnt vmcnt(1)
	v_fmac_f32_e32 v47, v41, v4
	v_fmac_f32_e32 v36, v1, v4
	;; [unrolled: 1-line block ×3, first 2 shown]
	v_fma_f32 v4, -v42, v5, v47
	v_fmac_f32_e32 v4, v43, v6
	v_fma_f32 v47, -v44, v7, v4
	global_load_dword v4, v[27:28], off offset:256
	v_fma_f32 v1, -v1, v5, v22
	v_fmac_f32_e32 v36, v0, v5
	v_fmac_f32_e32 v34, v41, v5
	;; [unrolled: 1-line block ×5, first 2 shown]
	v_fma_f32 v22, -v3, v7, v1
	v_fmac_f32_e32 v36, v2, v7
	global_load_dwordx4 v[0:3], v[29:30], off offset:32
	v_fmac_f32_e32 v34, v43, v7
	global_load_dwordx4 v[41:44], v[29:30], off offset:48
	s_waitcnt vmcnt(2)
	v_subrev_u32_e32 v4, s16, v4
	v_lshlrev_b32_e32 v4, 2, v4
	v_ashrrev_i32_e32 v5, 31, v4
	v_lshlrev_b64 v[4:5], 3, v[4:5]
	v_add_co_u32_e32 v31, vcc, s8, v4
	v_addc_co_u32_e32 v32, vcc, v40, v5, vcc
	global_load_dwordx4 v[4:7], v[31:32], off
	s_waitcnt vmcnt(0)
	v_fmac_f32_e32 v45, v8, v4
	v_fmac_f32_e32 v37, v9, v4
	;; [unrolled: 1-line block ×4, first 2 shown]
	v_fma_f32 v9, -v9, v5, v45
	v_fmac_f32_e32 v37, v8, v5
	v_fma_f32 v1, -v1, v5, v46
	v_fmac_f32_e32 v38, v0, v5
	v_fmac_f32_e32 v9, v10, v6
	;; [unrolled: 1-line block ×5, first 2 shown]
	v_fma_f32 v49, -v11, v7, v9
	v_fmac_f32_e32 v37, v10, v7
	global_load_dwordx4 v[8:11], v[29:30], off offset:64
	v_fma_f32 v50, -v3, v7, v1
	v_fmac_f32_e32 v38, v2, v7
	global_load_dwordx4 v[0:3], v[29:30], off offset:96
	s_waitcnt vmcnt(1)
	v_fmac_f32_e32 v22, v8, v4
	v_fmac_f32_e32 v36, v9, v4
	v_fma_f32 v9, -v9, v5, v22
	s_waitcnt vmcnt(0)
	v_fmac_f32_e32 v47, v0, v4
	v_fmac_f32_e32 v34, v1, v4
	;; [unrolled: 1-line block ×3, first 2 shown]
	v_fma_f32 v1, -v1, v5, v47
	v_fmac_f32_e32 v34, v0, v5
	v_fmac_f32_e32 v9, v10, v6
	;; [unrolled: 1-line block ×5, first 2 shown]
	v_fma_f32 v8, -v11, v7, v9
	v_fmac_f32_e32 v36, v10, v7
	v_fma_f32 v22, -v3, v7, v1
	v_fmac_f32_e32 v34, v2, v7
	global_load_dwordx4 v[0:3], v[29:30], off offset:16
	global_load_dwordx4 v[4:7], v[29:30], off offset:80
	global_load_dwordx4 v[45:48], v[31:32], off offset:16
	s_waitcnt vmcnt(0)
	v_fmac_f32_e32 v49, v0, v45
	v_fmac_f32_e32 v37, v1, v45
	v_fma_f32 v1, -v1, v46, v49
	v_fmac_f32_e32 v37, v0, v46
	v_fmac_f32_e32 v1, v2, v47
	;; [unrolled: 1-line block ×3, first 2 shown]
	v_fma_f32 v11, -v3, v48, v1
	v_fmac_f32_e32 v37, v2, v48
	global_load_dwordx4 v[0:3], v[29:30], off offset:112
	v_fmac_f32_e32 v50, v41, v45
	v_fmac_f32_e32 v8, v4, v45
	v_fmac_f32_e32 v36, v5, v45
	v_fma_f32 v9, -v42, v46, v50
	v_fma_f32 v5, -v5, v46, v8
	v_fmac_f32_e32 v36, v4, v46
	v_fmac_f32_e32 v9, v43, v47
	;; [unrolled: 1-line block ×4, first 2 shown]
	v_fma_f32 v10, -v44, v48, v9
	global_load_dwordx4 v[29:32], v[25:26], off
	v_fma_f32 v9, -v7, v48, v5
	v_fmac_f32_e32 v36, v6, v48
	global_load_dwordx4 v[4:7], v[25:26], off offset:32
	v_fmac_f32_e32 v38, v42, v45
	v_fmac_f32_e32 v38, v41, v46
	;; [unrolled: 1-line block ×4, first 2 shown]
	s_waitcnt vmcnt(2)
	v_fmac_f32_e32 v22, v0, v45
	v_fmac_f32_e32 v34, v1, v45
	v_fma_f32 v1, -v1, v46, v22
	v_fmac_f32_e32 v34, v0, v46
	v_fmac_f32_e32 v1, v2, v47
	v_fmac_f32_e32 v34, v3, v47
	v_fma_f32 v8, -v3, v48, v1
	v_fmac_f32_e32 v34, v2, v48
	global_load_dwordx4 v[0:3], v[25:26], off offset:64
	global_load_dword v22, v[27:28], off offset:384
	global_load_dwordx4 v[45:48], v[25:26], off offset:48
	s_waitcnt vmcnt(1)
	v_subrev_u32_e32 v22, s16, v22
	v_lshlrev_b32_e32 v27, 2, v22
	v_ashrrev_i32_e32 v28, 31, v27
	v_lshlrev_b64 v[27:28], 3, v[27:28]
	v_add_co_u32_e32 v49, vcc, s8, v27
	v_addc_co_u32_e32 v50, vcc, v40, v28, vcc
	global_load_dwordx4 v[41:44], v[49:50], off
	v_add_co_u32_e32 v23, vcc, 0x4000, v23
	v_addc_co_u32_e32 v24, vcc, 0, v24, vcc
	s_waitcnt vmcnt(0)
	v_fmac_f32_e32 v11, v29, v41
	v_fmac_f32_e32 v37, v30, v41
	v_fma_f32 v11, -v30, v42, v11
	v_fmac_f32_e32 v37, v29, v42
	global_load_dwordx4 v[27:30], v[25:26], off offset:96
	v_fmac_f32_e32 v38, v5, v41
	v_fmac_f32_e32 v10, v4, v41
	v_fmac_f32_e32 v38, v4, v42
	v_fma_f32 v5, -v5, v42, v10
	v_fmac_f32_e32 v38, v7, v43
	v_fmac_f32_e32 v9, v0, v41
	;; [unrolled: 1-line block ×5, first 2 shown]
	v_fma_f32 v1, -v1, v42, v9
	v_fmac_f32_e32 v36, v0, v42
	v_fmac_f32_e32 v11, v31, v43
	;; [unrolled: 1-line block ×5, first 2 shown]
	v_fma_f32 v11, -v32, v44, v11
	v_fmac_f32_e32 v37, v31, v44
	v_fma_f32 v4, -v7, v44, v5
	v_fma_f32 v5, -v3, v44, v1
	v_fmac_f32_e32 v36, v2, v44
	global_load_dwordx4 v[0:3], v[25:26], off offset:16
	s_waitcnt vmcnt(1)
	v_fmac_f32_e32 v8, v27, v41
	v_fmac_f32_e32 v34, v28, v41
	v_fma_f32 v6, -v28, v42, v8
	v_fmac_f32_e32 v34, v27, v42
	v_fmac_f32_e32 v6, v29, v43
	;; [unrolled: 1-line block ×3, first 2 shown]
	v_fma_f32 v10, -v30, v44, v6
	v_fmac_f32_e32 v34, v29, v44
	global_load_dwordx4 v[6:9], v[25:26], off offset:112
	global_load_dwordx4 v[27:30], v[25:26], off offset:80
	;; [unrolled: 1-line block ×3, first 2 shown]
	s_waitcnt vmcnt(0)
	v_fmac_f32_e32 v11, v0, v41
	v_fmac_f32_e32 v37, v1, v41
	;; [unrolled: 1-line block ×8, first 2 shown]
	v_fma_f32 v1, -v1, v42, v11
	v_fmac_f32_e32 v37, v0, v42
	v_fma_f32 v0, -v46, v42, v4
	v_fmac_f32_e32 v38, v45, v42
	;; [unrolled: 2-line block ×4, first 2 shown]
	v_fmac_f32_e32 v1, v2, v43
	v_fmac_f32_e32 v37, v3, v43
	;; [unrolled: 1-line block ×8, first 2 shown]
	v_fma_f32 v7, -v3, v44, v1
	v_fmac_f32_e32 v37, v2, v44
	v_fma_f32 v6, -v48, v44, v0
	v_fmac_f32_e32 v38, v47, v44
	;; [unrolled: 2-line block ×4, first 2 shown]
	s_andn2_b64 exec, exec, s[18:19]
	s_cbranch_execnz .LBB13_19
; %bb.20:
	s_or_b64 exec, exec, s[18:19]
.LBB13_21:
	s_or_b64 exec, exec, s[14:15]
.LBB13_22:
	s_or_b64 exec, exec, s[10:11]
	s_cbranch_execz .LBB13_24
	s_branch .LBB13_35
.LBB13_23:
                                        ; implicit-def: $vgpr37
                                        ; implicit-def: $vgpr7
                                        ; implicit-def: $vgpr2
                                        ; implicit-def: $vgpr34
                                        ; implicit-def: $vgpr3
                                        ; implicit-def: $vgpr36
                                        ; implicit-def: $vgpr6
                                        ; implicit-def: $vgpr38
.LBB13_24:
	v_mov_b32_e32 v37, 0
	v_mov_b32_e32 v7, 0
	;; [unrolled: 1-line block ×8, first 2 shown]
	s_and_saveexec_b64 s[6:7], s[0:1]
	s_cbranch_execz .LBB13_34
; %bb.25:
	v_add_u32_e32 v0, v39, v33
	v_subrev_u32_e32 v0, s16, v0
	v_add_u32_e32 v0, 32, v0
	v_max_i32_e32 v0, v0, v35
	v_not_b32_e32 v1, v39
	v_add3_u32 v0, s16, v0, v1
	v_sub_u32_e32 v0, v0, v33
	s_movk_i32 s0, 0x60
	v_and_b32_e32 v1, 0x60, v0
	v_cmp_ne_u32_e32 vcc, s0, v1
	v_mov_b32_e32 v38, 0
	v_mov_b32_e32 v6, 0
	v_mov_b32_e32 v36, 0
	v_mov_b32_e32 v3, 0
	v_mov_b32_e32 v34, 0
	v_mov_b32_e32 v2, 0
	v_mov_b32_e32 v7, 0
	v_mov_b32_e32 v37, 0
	s_and_saveexec_b64 s[2:3], vcc
	s_cbranch_execz .LBB13_29
; %bb.26:
	v_lshrrev_b32_e32 v1, 5, v0
	v_add_u32_e32 v1, 1, v1
	v_and_b32_e32 v1, 3, v1
	v_sub_u32_e32 v1, 0, v1
	v_mov_b32_e32 v37, 0
	s_mov_b64 s[10:11], 0
	v_mov_b32_e32 v4, s13
	s_waitcnt lgkmcnt(0)
	v_mov_b32_e32 v5, s9
	v_mov_b32_e32 v7, 0
	;; [unrolled: 1-line block ×8, first 2 shown]
.LBB13_27:                              ; =>This Inner Loop Header: Depth=1
	v_ashrrev_i32_e32 v18, 31, v17
	v_lshlrev_b64 v[8:9], 2, v[17:18]
	v_add_co_u32_e64 v1, s[0:1], 1, v1
	v_add_co_u32_e32 v51, vcc, s12, v8
	v_addc_co_u32_e32 v52, vcc, v4, v9, vcc
	global_load_dword v18, v[51:52], off
	global_load_dwordx4 v[8:11], v[19:20], off offset:16
	global_load_dwordx4 v[21:24], v[19:20], off
	global_load_dwordx4 v[25:28], v[19:20], off offset:32
	global_load_dwordx4 v[29:32], v[19:20], off offset:48
	;; [unrolled: 1-line block ×5, first 2 shown]
	v_add_u32_e32 v17, 32, v17
	s_or_b64 s[10:11], s[0:1], s[10:11]
	s_waitcnt vmcnt(7)
	v_subrev_u32_e32 v18, s16, v18
	v_lshlrev_b32_e32 v51, 2, v18
	v_ashrrev_i32_e32 v52, 31, v51
	v_lshlrev_b64 v[51:52], 3, v[51:52]
	v_add_co_u32_e32 v63, vcc, s8, v51
	v_addc_co_u32_e32 v64, vcc, v5, v52, vcc
	global_load_dwordx4 v[51:54], v[63:64], off
	global_load_dwordx4 v[55:58], v[63:64], off offset:16
	global_load_dwordx4 v[59:62], v[19:20], off offset:112
	v_add_co_u32_e32 v19, vcc, 0x1000, v19
	v_addc_co_u32_e32 v20, vcc, 0, v20, vcc
	s_waitcnt vmcnt(2)
	v_fmac_f32_e32 v7, v21, v51
	v_fmac_f32_e32 v37, v22, v51
	;; [unrolled: 1-line block ×8, first 2 shown]
	v_fma_f32 v7, -v22, v52, v7
	v_fmac_f32_e32 v37, v21, v52
	v_fma_f32 v6, -v24, v52, v6
	v_fmac_f32_e32 v38, v23, v52
	;; [unrolled: 2-line block ×4, first 2 shown]
	v_fmac_f32_e32 v7, v25, v53
	v_fmac_f32_e32 v37, v26, v53
	;; [unrolled: 1-line block ×8, first 2 shown]
	v_fma_f32 v7, -v26, v54, v7
	v_fmac_f32_e32 v37, v25, v54
	v_fma_f32 v6, -v28, v54, v6
	v_fmac_f32_e32 v38, v27, v54
	;; [unrolled: 2-line block ×4, first 2 shown]
	s_waitcnt vmcnt(1)
	v_fmac_f32_e32 v7, v47, v55
	v_fmac_f32_e32 v37, v48, v55
	;; [unrolled: 1-line block ×8, first 2 shown]
	v_fma_f32 v7, -v48, v56, v7
	v_fmac_f32_e32 v37, v47, v56
	v_fma_f32 v6, -v50, v56, v6
	v_fmac_f32_e32 v38, v49, v56
	v_fma_f32 v3, -v44, v56, v3
	v_fmac_f32_e32 v36, v43, v56
	v_fma_f32 v2, -v46, v56, v2
	v_fmac_f32_e32 v34, v45, v56
	v_fmac_f32_e32 v7, v39, v57
	v_fmac_f32_e32 v37, v40, v57
	;; [unrolled: 1-line block ×4, first 2 shown]
	s_waitcnt vmcnt(0)
	v_fmac_f32_e32 v3, v59, v57
	v_fmac_f32_e32 v36, v60, v57
	;; [unrolled: 1-line block ×4, first 2 shown]
	v_fma_f32 v7, -v40, v58, v7
	v_fmac_f32_e32 v37, v39, v58
	v_fma_f32 v6, -v42, v58, v6
	v_fmac_f32_e32 v38, v41, v58
	;; [unrolled: 2-line block ×4, first 2 shown]
	s_andn2_b64 exec, exec, s[10:11]
	s_cbranch_execnz .LBB13_27
; %bb.28:
	s_or_b64 exec, exec, s[10:11]
.LBB13_29:
	s_or_b64 exec, exec, s[2:3]
	s_movk_i32 s0, 0x5f
	v_cmp_lt_u32_e32 vcc, s0, v0
	s_and_saveexec_b64 s[10:11], vcc
	s_cbranch_execz .LBB13_33
; %bb.30:
	s_mov_b64 s[14:15], 0
	v_mov_b32_e32 v4, s13
	s_waitcnt lgkmcnt(0)
	v_mov_b32_e32 v5, s9
	s_movk_i32 s9, 0x1000
	s_movk_i32 s13, 0x2000
	;; [unrolled: 1-line block ×3, first 2 shown]
.LBB13_31:                              ; =>This Inner Loop Header: Depth=1
	v_ashrrev_i32_e32 v18, 31, v17
	v_lshlrev_b64 v[0:1], 2, v[17:18]
	global_load_dwordx4 v[8:11], v[19:20], off offset:32
	global_load_dwordx4 v[21:24], v[19:20], off offset:16
	global_load_dwordx4 v[25:28], v[19:20], off
	v_add_co_u32_e32 v0, vcc, s12, v0
	v_addc_co_u32_e32 v1, vcc, v4, v1, vcc
	global_load_dword v18, v[0:1], off
	v_add_u32_e32 v17, 0x80, v17
	s_waitcnt vmcnt(0)
	v_subrev_u32_e32 v18, s16, v18
	v_lshlrev_b32_e32 v29, 2, v18
	v_ashrrev_i32_e32 v30, 31, v29
	v_lshlrev_b64 v[29:30], 3, v[29:30]
	v_add_co_u32_e32 v43, vcc, s8, v29
	v_addc_co_u32_e32 v44, vcc, v5, v30, vcc
	global_load_dwordx4 v[29:32], v[43:44], off
	s_waitcnt vmcnt(0)
	v_fmac_f32_e32 v7, v25, v29
	v_fmac_f32_e32 v37, v26, v29
	;; [unrolled: 1-line block ×4, first 2 shown]
	v_fma_f32 v7, -v26, v30, v7
	v_fmac_f32_e32 v37, v25, v30
	v_fma_f32 v6, -v28, v30, v6
	v_fmac_f32_e32 v38, v27, v30
	global_load_dwordx4 v[25:28], v[19:20], off offset:48
	v_fmac_f32_e32 v3, v21, v29
	v_fmac_f32_e32 v36, v22, v29
	;; [unrolled: 1-line block ×4, first 2 shown]
	v_fma_f32 v3, -v22, v30, v3
	v_fmac_f32_e32 v36, v21, v30
	v_fma_f32 v2, -v24, v30, v2
	v_fmac_f32_e32 v34, v23, v30
	v_fmac_f32_e32 v7, v8, v31
	;; [unrolled: 1-line block ×5, first 2 shown]
	v_fma_f32 v18, -v9, v32, v7
	v_fmac_f32_e32 v37, v8, v32
	v_fma_f32 v11, -v11, v32, v6
	global_load_dwordx4 v[6:9], v[19:20], off offset:64
	global_load_dwordx4 v[21:24], v[19:20], off offset:112
	v_fmac_f32_e32 v38, v10, v32
	v_add_co_u32_e32 v10, vcc, s13, v19
	s_waitcnt vmcnt(2)
	v_fmac_f32_e32 v3, v25, v31
	v_fmac_f32_e32 v36, v26, v31
	;; [unrolled: 1-line block ×4, first 2 shown]
	v_fma_f32 v3, -v26, v32, v3
	v_fmac_f32_e32 v36, v25, v32
	v_fma_f32 v2, -v28, v32, v2
	v_fmac_f32_e32 v34, v27, v32
	global_load_dwordx4 v[25:28], v[19:20], off offset:96
	global_load_dwordx4 v[29:32], v[19:20], off offset:80
	;; [unrolled: 1-line block ×3, first 2 shown]
	v_add_co_u32_e64 v43, s[0:1], s9, v19
	s_waitcnt vmcnt(0)
	v_fmac_f32_e32 v18, v6, v39
	v_fmac_f32_e32 v37, v7, v39
	;; [unrolled: 1-line block ×7, first 2 shown]
	v_fma_f32 v7, -v7, v40, v18
	v_fmac_f32_e32 v37, v6, v40
	v_fma_f32 v6, -v9, v40, v11
	v_fma_f32 v18, -v30, v40, v3
	v_fmac_f32_e32 v36, v29, v40
	v_fma_f32 v29, -v32, v40, v2
	v_fmac_f32_e32 v34, v31, v40
	v_fmac_f32_e32 v38, v9, v39
	v_addc_co_u32_e32 v11, vcc, 0, v20, vcc
	v_addc_co_u32_e64 v44, vcc, 0, v20, s[0:1]
	v_fmac_f32_e32 v7, v25, v41
	v_fmac_f32_e32 v37, v26, v41
	;; [unrolled: 1-line block ×8, first 2 shown]
	v_fma_f32 v31, -v26, v42, v7
	v_fmac_f32_e32 v37, v25, v42
	v_fma_f32 v32, -v28, v42, v6
	global_load_dwordx4 v[6:9], v[10:11], off offset:-4096
	v_fma_f32 v18, -v22, v42, v18
	v_fmac_f32_e32 v36, v21, v42
	v_fma_f32 v39, -v24, v42, v29
	v_fmac_f32_e32 v34, v23, v42
	global_load_dwordx4 v[21:24], v[43:44], off offset:16
	global_load_dword v25, v[0:1], off offset:128
	v_add_co_u32_e64 v2, s[2:3], s17, v19
	v_addc_co_u32_e64 v3, vcc, 0, v20, s[2:3]
	v_fmac_f32_e32 v38, v28, v41
	v_fmac_f32_e32 v38, v27, v42
	v_cmp_ge_i32_e64 s[0:1], v17, v35
	s_or_b64 s[14:15], s[0:1], s[14:15]
	s_waitcnt vmcnt(0)
	v_subrev_u32_e32 v25, s16, v25
	v_lshlrev_b32_e32 v25, 2, v25
	v_ashrrev_i32_e32 v26, 31, v25
	v_lshlrev_b64 v[25:26], 3, v[25:26]
	v_add_co_u32_e32 v29, vcc, s8, v25
	v_addc_co_u32_e32 v30, vcc, v5, v26, vcc
	global_load_dwordx4 v[25:28], v[29:30], off
	s_waitcnt vmcnt(0)
	v_fmac_f32_e32 v31, v6, v25
	v_fmac_f32_e32 v37, v7, v25
	;; [unrolled: 1-line block ×8, first 2 shown]
	v_fma_f32 v31, -v7, v26, v31
	v_fmac_f32_e32 v37, v6, v26
	v_fma_f32 v32, -v9, v26, v32
	v_fmac_f32_e32 v38, v8, v26
	global_load_dwordx4 v[6:9], v[43:44], off offset:32
	v_fma_f32 v18, -v22, v26, v18
	v_fmac_f32_e32 v36, v21, v26
	v_fma_f32 v25, -v24, v26, v39
	v_fmac_f32_e32 v34, v23, v26
	global_load_dwordx4 v[21:24], v[43:44], off offset:48
	s_waitcnt vmcnt(1)
	v_fmac_f32_e32 v31, v6, v27
	v_fmac_f32_e32 v37, v7, v27
	;; [unrolled: 1-line block ×4, first 2 shown]
	v_fma_f32 v31, -v7, v28, v31
	s_waitcnt vmcnt(0)
	v_fmac_f32_e32 v18, v21, v27
	v_fmac_f32_e32 v36, v22, v27
	;; [unrolled: 1-line block ×5, first 2 shown]
	v_fma_f32 v32, -v9, v28, v32
	v_fmac_f32_e32 v38, v8, v28
	global_load_dwordx4 v[6:9], v[43:44], off offset:64
	v_fma_f32 v18, -v22, v28, v18
	v_fmac_f32_e32 v36, v21, v28
	v_fma_f32 v39, -v24, v28, v25
	v_fmac_f32_e32 v34, v23, v28
	global_load_dwordx4 v[21:24], v[43:44], off offset:80
	global_load_dwordx4 v[25:28], v[29:30], off offset:16
	s_waitcnt vmcnt(0)
	v_fmac_f32_e32 v31, v6, v25
	v_fmac_f32_e32 v37, v7, v25
	;; [unrolled: 1-line block ×4, first 2 shown]
	v_fma_f32 v40, -v7, v26, v31
	v_fmac_f32_e32 v37, v6, v26
	v_fma_f32 v41, -v9, v26, v32
	v_fmac_f32_e32 v38, v8, v26
	global_load_dwordx4 v[6:9], v[43:44], off offset:96
	global_load_dwordx4 v[29:32], v[43:44], off offset:112
	v_fmac_f32_e32 v36, v22, v25
	v_fmac_f32_e32 v39, v23, v25
	;; [unrolled: 1-line block ×5, first 2 shown]
	v_fma_f32 v25, -v24, v26, v39
	v_fma_f32 v18, -v22, v26, v18
	v_fmac_f32_e32 v34, v23, v26
	global_load_dwordx4 v[21:24], v[10:11], off
	s_waitcnt vmcnt(2)
	v_fmac_f32_e32 v40, v6, v27
	s_waitcnt vmcnt(1)
	v_fmac_f32_e32 v36, v30, v27
	v_fmac_f32_e32 v25, v31, v27
	v_fmac_f32_e32 v18, v29, v27
	v_fmac_f32_e32 v36, v29, v28
	v_fma_f32 v29, -v32, v28, v25
	global_load_dword v25, v[0:1], off offset:256
	v_fmac_f32_e32 v37, v7, v27
	v_fmac_f32_e32 v41, v8, v27
	;; [unrolled: 1-line block ×3, first 2 shown]
	v_fma_f32 v42, -v7, v28, v40
	v_fmac_f32_e32 v34, v32, v27
	v_fmac_f32_e32 v37, v6, v28
	v_fma_f32 v41, -v9, v28, v41
	v_fmac_f32_e32 v38, v8, v28
	global_load_dwordx4 v[6:9], v[10:11], off offset:16
	v_fma_f32 v18, -v30, v28, v18
	v_fmac_f32_e32 v34, v31, v28
	s_waitcnt vmcnt(1)
	v_subrev_u32_e32 v25, s16, v25
	v_lshlrev_b32_e32 v25, 2, v25
	v_ashrrev_i32_e32 v26, 31, v25
	v_lshlrev_b64 v[25:26], 3, v[25:26]
	v_add_co_u32_e32 v39, vcc, s8, v25
	v_addc_co_u32_e32 v40, vcc, v5, v26, vcc
	global_load_dwordx4 v[25:28], v[39:40], off
	s_waitcnt vmcnt(0)
	v_fmac_f32_e32 v42, v21, v25
	v_fmac_f32_e32 v37, v22, v25
	;; [unrolled: 1-line block ×8, first 2 shown]
	v_fma_f32 v30, -v22, v26, v42
	v_fmac_f32_e32 v37, v21, v26
	v_fma_f32 v31, -v24, v26, v41
	v_fmac_f32_e32 v38, v23, v26
	global_load_dwordx4 v[21:24], v[10:11], off offset:32
	v_fma_f32 v18, -v7, v26, v18
	v_fmac_f32_e32 v36, v6, v26
	v_fma_f32 v25, -v9, v26, v29
	v_fmac_f32_e32 v34, v8, v26
	global_load_dwordx4 v[6:9], v[10:11], off offset:48
	s_waitcnt vmcnt(1)
	v_fmac_f32_e32 v30, v21, v27
	v_fmac_f32_e32 v37, v22, v27
	;; [unrolled: 1-line block ×4, first 2 shown]
	v_fma_f32 v41, -v22, v28, v30
	s_waitcnt vmcnt(0)
	v_fmac_f32_e32 v18, v6, v27
	v_fmac_f32_e32 v36, v7, v27
	;; [unrolled: 1-line block ×5, first 2 shown]
	v_fma_f32 v42, -v24, v28, v31
	v_fmac_f32_e32 v38, v23, v28
	global_load_dwordx4 v[21:24], v[10:11], off offset:96
	v_fma_f32 v18, -v7, v28, v18
	v_fmac_f32_e32 v36, v6, v28
	v_fma_f32 v43, -v9, v28, v25
	v_fmac_f32_e32 v34, v8, v28
	global_load_dwordx4 v[6:9], v[10:11], off offset:80
	global_load_dwordx4 v[25:28], v[10:11], off offset:64
	;; [unrolled: 1-line block ×3, first 2 shown]
	s_waitcnt vmcnt(0)
	v_fmac_f32_e32 v41, v25, v29
	v_fmac_f32_e32 v37, v26, v29
	;; [unrolled: 1-line block ×4, first 2 shown]
	v_fma_f32 v39, -v26, v30, v41
	v_fmac_f32_e32 v37, v25, v30
	v_fma_f32 v40, -v28, v30, v42
	v_fmac_f32_e32 v38, v27, v30
	global_load_dwordx4 v[25:28], v[10:11], off offset:112
	v_fmac_f32_e32 v18, v6, v29
	v_fmac_f32_e32 v36, v7, v29
	;; [unrolled: 1-line block ×4, first 2 shown]
	v_fma_f32 v10, -v7, v30, v18
	v_fmac_f32_e32 v36, v6, v30
	v_fma_f32 v11, -v9, v30, v43
	v_fmac_f32_e32 v34, v8, v30
	v_fmac_f32_e32 v39, v21, v31
	;; [unrolled: 1-line block ×5, first 2 shown]
	global_load_dwordx4 v[6:9], v[2:3], off
	v_fma_f32 v18, -v22, v32, v39
	v_fmac_f32_e32 v37, v21, v32
	v_fma_f32 v39, -v24, v32, v40
	v_fmac_f32_e32 v38, v23, v32
	global_load_dwordx4 v[21:24], v[2:3], off offset:32
	s_waitcnt vmcnt(2)
	v_fmac_f32_e32 v10, v25, v31
	v_fmac_f32_e32 v36, v26, v31
	;; [unrolled: 1-line block ×4, first 2 shown]
	v_fma_f32 v10, -v26, v32, v10
	v_fmac_f32_e32 v36, v25, v32
	v_fma_f32 v11, -v28, v32, v11
	v_fmac_f32_e32 v34, v27, v32
	global_load_dwordx4 v[25:28], v[2:3], off offset:16
	global_load_dword v29, v[0:1], off offset:384
	s_waitcnt vmcnt(0)
	v_subrev_u32_e32 v0, s16, v29
	v_lshlrev_b32_e32 v0, 2, v0
	v_ashrrev_i32_e32 v1, 31, v0
	v_lshlrev_b64 v[0:1], 3, v[0:1]
	v_add_co_u32_e32 v0, vcc, s8, v0
	v_addc_co_u32_e32 v1, vcc, v5, v1, vcc
	global_load_dwordx4 v[29:32], v[0:1], off
	v_add_co_u32_e32 v19, vcc, 0x4000, v19
	v_addc_co_u32_e32 v20, vcc, 0, v20, vcc
	s_waitcnt vmcnt(0)
	v_fmac_f32_e32 v18, v6, v29
	v_fmac_f32_e32 v37, v7, v29
	v_fmac_f32_e32 v39, v8, v29
	v_fmac_f32_e32 v38, v9, v29
	v_fma_f32 v18, -v7, v30, v18
	v_fmac_f32_e32 v37, v6, v30
	v_fma_f32 v39, -v9, v30, v39
	v_fmac_f32_e32 v38, v8, v30
	global_load_dwordx4 v[6:9], v[2:3], off offset:48
	v_fmac_f32_e32 v10, v25, v29
	v_fmac_f32_e32 v36, v26, v29
	;; [unrolled: 1-line block ×4, first 2 shown]
	v_fma_f32 v10, -v26, v30, v10
	v_fmac_f32_e32 v36, v25, v30
	v_fma_f32 v11, -v28, v30, v11
	v_fmac_f32_e32 v34, v27, v30
	v_fmac_f32_e32 v18, v21, v31
	;; [unrolled: 1-line block ×5, first 2 shown]
	v_fma_f32 v18, -v22, v32, v18
	v_fmac_f32_e32 v37, v21, v32
	v_fma_f32 v43, -v24, v32, v39
	v_fmac_f32_e32 v38, v23, v32
	global_load_dwordx4 v[21:24], v[2:3], off offset:80
	global_load_dwordx4 v[25:28], v[2:3], off offset:96
	s_waitcnt vmcnt(2)
	v_fmac_f32_e32 v10, v6, v31
	v_fmac_f32_e32 v36, v7, v31
	;; [unrolled: 1-line block ×4, first 2 shown]
	v_fma_f32 v10, -v7, v32, v10
	v_fmac_f32_e32 v36, v6, v32
	v_fma_f32 v11, -v9, v32, v11
	v_fmac_f32_e32 v34, v8, v32
	global_load_dwordx4 v[6:9], v[2:3], off offset:64
	global_load_dwordx4 v[29:32], v[0:1], off offset:16
	;; [unrolled: 1-line block ×3, first 2 shown]
	s_waitcnt vmcnt(1)
	v_fmac_f32_e32 v18, v6, v29
	v_fmac_f32_e32 v37, v7, v29
	;; [unrolled: 1-line block ×8, first 2 shown]
	v_fma_f32 v0, -v7, v30, v18
	v_fmac_f32_e32 v37, v6, v30
	v_fma_f32 v1, -v9, v30, v43
	v_fmac_f32_e32 v38, v8, v30
	;; [unrolled: 2-line block ×4, first 2 shown]
	v_fmac_f32_e32 v0, v25, v31
	v_fmac_f32_e32 v37, v26, v31
	;; [unrolled: 1-line block ×4, first 2 shown]
	s_waitcnt vmcnt(0)
	v_fmac_f32_e32 v2, v39, v31
	v_fmac_f32_e32 v36, v40, v31
	;; [unrolled: 1-line block ×4, first 2 shown]
	v_fma_f32 v7, -v26, v32, v0
	v_fmac_f32_e32 v37, v25, v32
	v_fma_f32 v6, -v28, v32, v1
	v_fmac_f32_e32 v38, v27, v32
	;; [unrolled: 2-line block ×4, first 2 shown]
	s_andn2_b64 exec, exec, s[14:15]
	s_cbranch_execnz .LBB13_31
; %bb.32:
	s_or_b64 exec, exec, s[14:15]
.LBB13_33:
	s_or_b64 exec, exec, s[10:11]
.LBB13_34:
	s_or_b64 exec, exec, s[6:7]
.LBB13_35:
	v_mov_b32_dpp v0, v7 row_shr:1 row_mask:0xf bank_mask:0xf
	v_add_f32_e32 v0, v7, v0
	v_mov_b32_dpp v4, v37 row_shr:1 row_mask:0xf bank_mask:0xf
	v_mov_b32_dpp v7, v6 row_shr:1 row_mask:0xf bank_mask:0xf
	;; [unrolled: 1-line block ×7, first 2 shown]
	v_add_f32_e32 v4, v37, v4
	v_add_f32_e32 v6, v6, v7
	v_add_f32_e32 v8, v38, v8
	v_add_f32_e32 v3, v3, v10
	v_add_f32_e32 v11, v36, v11
	v_add_f32_e32 v2, v2, v18
	v_add_f32_e32 v19, v34, v19
	v_mov_b32_dpp v1, v0 row_shr:2 row_mask:0xf bank_mask:0xf
	v_mov_b32_dpp v5, v4 row_shr:2 row_mask:0xf bank_mask:0xf
	v_mov_b32_dpp v7, v6 row_shr:2 row_mask:0xf bank_mask:0xf
	v_mov_b32_dpp v9, v8 row_shr:2 row_mask:0xf bank_mask:0xf
	v_mov_b32_dpp v10, v3 row_shr:2 row_mask:0xf bank_mask:0xf
	v_mov_b32_dpp v17, v11 row_shr:2 row_mask:0xf bank_mask:0xf
	v_mov_b32_dpp v18, v2 row_shr:2 row_mask:0xf bank_mask:0xf
	v_mov_b32_dpp v20, v19 row_shr:2 row_mask:0xf bank_mask:0xf
	v_add_f32_e32 v0, v0, v1
	v_add_f32_e32 v4, v4, v5
	v_add_f32_e32 v6, v6, v7
	v_add_f32_e32 v8, v8, v9
	v_add_f32_e32 v3, v3, v10
	v_add_f32_e32 v11, v11, v17
	v_add_f32_e32 v2, v2, v18
	v_add_f32_e32 v19, v19, v20
	v_mov_b32_dpp v1, v0 row_shr:4 row_mask:0xf bank_mask:0xe
	v_mov_b32_dpp v5, v4 row_shr:4 row_mask:0xf bank_mask:0xe
	v_mov_b32_dpp v7, v6 row_shr:4 row_mask:0xf bank_mask:0xe
	v_mov_b32_dpp v9, v8 row_shr:4 row_mask:0xf bank_mask:0xe
	v_mov_b32_dpp v10, v3 row_shr:4 row_mask:0xf bank_mask:0xe
	v_mov_b32_dpp v17, v11 row_shr:4 row_mask:0xf bank_mask:0xe
	v_mov_b32_dpp v18, v2 row_shr:4 row_mask:0xf bank_mask:0xe
	v_mov_b32_dpp v20, v19 row_shr:4 row_mask:0xf bank_mask:0xe
	v_add_f32_e32 v0, v0, v1
	;; [unrolled: 16-line block ×3, first 2 shown]
	v_add_f32_e32 v4, v4, v5
	v_add_f32_e32 v6, v6, v7
	;; [unrolled: 1-line block ×7, first 2 shown]
	v_mov_b32_dpp v1, v0 row_bcast:15 row_mask:0xa bank_mask:0xf
	v_mov_b32_dpp v5, v4 row_bcast:15 row_mask:0xa bank_mask:0xf
	;; [unrolled: 1-line block ×8, first 2 shown]
	v_cmp_eq_u32_e32 vcc, 31, v33
	s_and_b64 exec, exec, vcc
	s_cbranch_execz .LBB13_8
; %bb.36:
	s_load_dwordx2 s[2:3], s[4:5], 0x50
	v_add_f32_e32 v21, v0, v1
	v_add_f32_e32 v0, v4, v5
	;; [unrolled: 1-line block ×8, first 2 shown]
	v_cmp_eq_f32_e32 vcc, 0, v12
	v_cmp_eq_f32_e64 s[0:1], 0, v13
	v_mul_f32_e64 v4, v0, -v15
	v_mul_f32_e32 v5, v14, v0
	v_mul_f32_e64 v6, v1, -v15
	v_mul_f32_e32 v7, v14, v1
	;; [unrolled: 2-line block ×4, first 2 shown]
	s_and_b64 s[0:1], vcc, s[0:1]
	v_fmac_f32_e32 v4, v14, v21
	v_fmac_f32_e32 v5, v15, v21
	v_lshlrev_b32_e32 v8, 2, v16
	v_fmac_f32_e32 v6, v14, v22
	v_fmac_f32_e32 v7, v15, v22
	;; [unrolled: 1-line block ×6, first 2 shown]
	s_and_saveexec_b64 s[4:5], s[0:1]
	s_xor_b64 s[0:1], exec, s[4:5]
	s_cbranch_execz .LBB13_38
; %bb.37:
	v_ashrrev_i32_e32 v9, 31, v8
	v_lshlrev_b64 v[8:9], 3, v[8:9]
	s_waitcnt lgkmcnt(0)
	v_mov_b32_e32 v10, s3
	v_add_co_u32_e32 v8, vcc, s2, v8
	v_addc_co_u32_e32 v9, vcc, v10, v9, vcc
	global_store_dwordx4 v[8:9], v[4:7], off
	global_store_dwordx4 v[8:9], v[0:3], off offset:16
                                        ; implicit-def: $vgpr12_vgpr13
                                        ; implicit-def: $vgpr4
                                        ; implicit-def: $vgpr8
                                        ; implicit-def: $vgpr0
.LBB13_38:
	s_andn2_saveexec_b64 s[0:1], s[0:1]
	s_cbranch_execz .LBB13_8
; %bb.39:
	v_ashrrev_i32_e32 v9, 31, v8
	v_lshlrev_b64 v[8:9], 3, v[8:9]
	s_waitcnt lgkmcnt(0)
	v_mov_b32_e32 v10, s3
	v_add_co_u32_e32 v18, vcc, s2, v8
	v_addc_co_u32_e32 v19, vcc, v10, v9, vcc
	global_load_dwordx4 v[8:11], v[18:19], off
	global_load_dwordx4 v[14:17], v[18:19], off offset:16
	s_waitcnt vmcnt(1)
	v_fmac_f32_e32 v4, v12, v8
	v_fmac_f32_e32 v5, v13, v8
	;; [unrolled: 1-line block ×4, first 2 shown]
	s_waitcnt vmcnt(0)
	v_fmac_f32_e32 v0, v12, v14
	v_fmac_f32_e32 v1, v13, v14
	;; [unrolled: 1-line block ×4, first 2 shown]
	v_fma_f32 v4, -v13, v9, v4
	v_fmac_f32_e32 v5, v12, v9
	v_fma_f32 v6, -v13, v11, v6
	v_fmac_f32_e32 v7, v12, v11
	;; [unrolled: 2-line block ×4, first 2 shown]
	global_store_dwordx4 v[18:19], v[4:7], off
	global_store_dwordx4 v[18:19], v[0:3], off offset:16
	s_endpgm
	.section	.rodata,"a",@progbits
	.p2align	6, 0x0
	.amdhsa_kernel _ZN9rocsparseL18bsrxmvn_4x4_kernelILj128ELj32E21rocsparse_complex_numIfEiiS2_S2_S2_EEvT3_20rocsparse_direction_NS_24const_host_device_scalarIT1_EES3_PKS3_PKT2_SC_S9_PKT4_PKT5_S7_PT6_21rocsparse_index_base_b
		.amdhsa_group_segment_fixed_size 0
		.amdhsa_private_segment_fixed_size 0
		.amdhsa_kernarg_size 96
		.amdhsa_user_sgpr_count 6
		.amdhsa_user_sgpr_private_segment_buffer 1
		.amdhsa_user_sgpr_dispatch_ptr 0
		.amdhsa_user_sgpr_queue_ptr 0
		.amdhsa_user_sgpr_kernarg_segment_ptr 1
		.amdhsa_user_sgpr_dispatch_id 0
		.amdhsa_user_sgpr_flat_scratch_init 0
		.amdhsa_user_sgpr_private_segment_size 0
		.amdhsa_uses_dynamic_stack 0
		.amdhsa_system_sgpr_private_segment_wavefront_offset 0
		.amdhsa_system_sgpr_workgroup_id_x 1
		.amdhsa_system_sgpr_workgroup_id_y 0
		.amdhsa_system_sgpr_workgroup_id_z 0
		.amdhsa_system_sgpr_workgroup_info 0
		.amdhsa_system_vgpr_workitem_id 0
		.amdhsa_next_free_vgpr 65
		.amdhsa_next_free_sgpr 22
		.amdhsa_reserve_vcc 1
		.amdhsa_reserve_flat_scratch 0
		.amdhsa_float_round_mode_32 0
		.amdhsa_float_round_mode_16_64 0
		.amdhsa_float_denorm_mode_32 3
		.amdhsa_float_denorm_mode_16_64 3
		.amdhsa_dx10_clamp 1
		.amdhsa_ieee_mode 1
		.amdhsa_fp16_overflow 0
		.amdhsa_exception_fp_ieee_invalid_op 0
		.amdhsa_exception_fp_denorm_src 0
		.amdhsa_exception_fp_ieee_div_zero 0
		.amdhsa_exception_fp_ieee_overflow 0
		.amdhsa_exception_fp_ieee_underflow 0
		.amdhsa_exception_fp_ieee_inexact 0
		.amdhsa_exception_int_div_zero 0
	.end_amdhsa_kernel
	.section	.text._ZN9rocsparseL18bsrxmvn_4x4_kernelILj128ELj32E21rocsparse_complex_numIfEiiS2_S2_S2_EEvT3_20rocsparse_direction_NS_24const_host_device_scalarIT1_EES3_PKS3_PKT2_SC_S9_PKT4_PKT5_S7_PT6_21rocsparse_index_base_b,"axG",@progbits,_ZN9rocsparseL18bsrxmvn_4x4_kernelILj128ELj32E21rocsparse_complex_numIfEiiS2_S2_S2_EEvT3_20rocsparse_direction_NS_24const_host_device_scalarIT1_EES3_PKS3_PKT2_SC_S9_PKT4_PKT5_S7_PT6_21rocsparse_index_base_b,comdat
.Lfunc_end13:
	.size	_ZN9rocsparseL18bsrxmvn_4x4_kernelILj128ELj32E21rocsparse_complex_numIfEiiS2_S2_S2_EEvT3_20rocsparse_direction_NS_24const_host_device_scalarIT1_EES3_PKS3_PKT2_SC_S9_PKT4_PKT5_S7_PT6_21rocsparse_index_base_b, .Lfunc_end13-_ZN9rocsparseL18bsrxmvn_4x4_kernelILj128ELj32E21rocsparse_complex_numIfEiiS2_S2_S2_EEvT3_20rocsparse_direction_NS_24const_host_device_scalarIT1_EES3_PKS3_PKT2_SC_S9_PKT4_PKT5_S7_PT6_21rocsparse_index_base_b
                                        ; -- End function
	.set _ZN9rocsparseL18bsrxmvn_4x4_kernelILj128ELj32E21rocsparse_complex_numIfEiiS2_S2_S2_EEvT3_20rocsparse_direction_NS_24const_host_device_scalarIT1_EES3_PKS3_PKT2_SC_S9_PKT4_PKT5_S7_PT6_21rocsparse_index_base_b.num_vgpr, 65
	.set _ZN9rocsparseL18bsrxmvn_4x4_kernelILj128ELj32E21rocsparse_complex_numIfEiiS2_S2_S2_EEvT3_20rocsparse_direction_NS_24const_host_device_scalarIT1_EES3_PKS3_PKT2_SC_S9_PKT4_PKT5_S7_PT6_21rocsparse_index_base_b.num_agpr, 0
	.set _ZN9rocsparseL18bsrxmvn_4x4_kernelILj128ELj32E21rocsparse_complex_numIfEiiS2_S2_S2_EEvT3_20rocsparse_direction_NS_24const_host_device_scalarIT1_EES3_PKS3_PKT2_SC_S9_PKT4_PKT5_S7_PT6_21rocsparse_index_base_b.numbered_sgpr, 22
	.set _ZN9rocsparseL18bsrxmvn_4x4_kernelILj128ELj32E21rocsparse_complex_numIfEiiS2_S2_S2_EEvT3_20rocsparse_direction_NS_24const_host_device_scalarIT1_EES3_PKS3_PKT2_SC_S9_PKT4_PKT5_S7_PT6_21rocsparse_index_base_b.num_named_barrier, 0
	.set _ZN9rocsparseL18bsrxmvn_4x4_kernelILj128ELj32E21rocsparse_complex_numIfEiiS2_S2_S2_EEvT3_20rocsparse_direction_NS_24const_host_device_scalarIT1_EES3_PKS3_PKT2_SC_S9_PKT4_PKT5_S7_PT6_21rocsparse_index_base_b.private_seg_size, 0
	.set _ZN9rocsparseL18bsrxmvn_4x4_kernelILj128ELj32E21rocsparse_complex_numIfEiiS2_S2_S2_EEvT3_20rocsparse_direction_NS_24const_host_device_scalarIT1_EES3_PKS3_PKT2_SC_S9_PKT4_PKT5_S7_PT6_21rocsparse_index_base_b.uses_vcc, 1
	.set _ZN9rocsparseL18bsrxmvn_4x4_kernelILj128ELj32E21rocsparse_complex_numIfEiiS2_S2_S2_EEvT3_20rocsparse_direction_NS_24const_host_device_scalarIT1_EES3_PKS3_PKT2_SC_S9_PKT4_PKT5_S7_PT6_21rocsparse_index_base_b.uses_flat_scratch, 0
	.set _ZN9rocsparseL18bsrxmvn_4x4_kernelILj128ELj32E21rocsparse_complex_numIfEiiS2_S2_S2_EEvT3_20rocsparse_direction_NS_24const_host_device_scalarIT1_EES3_PKS3_PKT2_SC_S9_PKT4_PKT5_S7_PT6_21rocsparse_index_base_b.has_dyn_sized_stack, 0
	.set _ZN9rocsparseL18bsrxmvn_4x4_kernelILj128ELj32E21rocsparse_complex_numIfEiiS2_S2_S2_EEvT3_20rocsparse_direction_NS_24const_host_device_scalarIT1_EES3_PKS3_PKT2_SC_S9_PKT4_PKT5_S7_PT6_21rocsparse_index_base_b.has_recursion, 0
	.set _ZN9rocsparseL18bsrxmvn_4x4_kernelILj128ELj32E21rocsparse_complex_numIfEiiS2_S2_S2_EEvT3_20rocsparse_direction_NS_24const_host_device_scalarIT1_EES3_PKS3_PKT2_SC_S9_PKT4_PKT5_S7_PT6_21rocsparse_index_base_b.has_indirect_call, 0
	.section	.AMDGPU.csdata,"",@progbits
; Kernel info:
; codeLenInByte = 6732
; TotalNumSgprs: 26
; NumVgprs: 65
; ScratchSize: 0
; MemoryBound: 0
; FloatMode: 240
; IeeeMode: 1
; LDSByteSize: 0 bytes/workgroup (compile time only)
; SGPRBlocks: 3
; VGPRBlocks: 16
; NumSGPRsForWavesPerEU: 26
; NumVGPRsForWavesPerEU: 65
; Occupancy: 3
; WaveLimiterHint : 1
; COMPUTE_PGM_RSRC2:SCRATCH_EN: 0
; COMPUTE_PGM_RSRC2:USER_SGPR: 6
; COMPUTE_PGM_RSRC2:TRAP_HANDLER: 0
; COMPUTE_PGM_RSRC2:TGID_X_EN: 1
; COMPUTE_PGM_RSRC2:TGID_Y_EN: 0
; COMPUTE_PGM_RSRC2:TGID_Z_EN: 0
; COMPUTE_PGM_RSRC2:TIDIG_COMP_CNT: 0
	.section	.text._ZN9rocsparseL18bsrxmvn_4x4_kernelILj128ELj64E21rocsparse_complex_numIfEiiS2_S2_S2_EEvT3_20rocsparse_direction_NS_24const_host_device_scalarIT1_EES3_PKS3_PKT2_SC_S9_PKT4_PKT5_S7_PT6_21rocsparse_index_base_b,"axG",@progbits,_ZN9rocsparseL18bsrxmvn_4x4_kernelILj128ELj64E21rocsparse_complex_numIfEiiS2_S2_S2_EEvT3_20rocsparse_direction_NS_24const_host_device_scalarIT1_EES3_PKS3_PKT2_SC_S9_PKT4_PKT5_S7_PT6_21rocsparse_index_base_b,comdat
	.globl	_ZN9rocsparseL18bsrxmvn_4x4_kernelILj128ELj64E21rocsparse_complex_numIfEiiS2_S2_S2_EEvT3_20rocsparse_direction_NS_24const_host_device_scalarIT1_EES3_PKS3_PKT2_SC_S9_PKT4_PKT5_S7_PT6_21rocsparse_index_base_b ; -- Begin function _ZN9rocsparseL18bsrxmvn_4x4_kernelILj128ELj64E21rocsparse_complex_numIfEiiS2_S2_S2_EEvT3_20rocsparse_direction_NS_24const_host_device_scalarIT1_EES3_PKS3_PKT2_SC_S9_PKT4_PKT5_S7_PT6_21rocsparse_index_base_b
	.p2align	8
	.type	_ZN9rocsparseL18bsrxmvn_4x4_kernelILj128ELj64E21rocsparse_complex_numIfEiiS2_S2_S2_EEvT3_20rocsparse_direction_NS_24const_host_device_scalarIT1_EES3_PKS3_PKT2_SC_S9_PKT4_PKT5_S7_PT6_21rocsparse_index_base_b,@function
_ZN9rocsparseL18bsrxmvn_4x4_kernelILj128ELj64E21rocsparse_complex_numIfEiiS2_S2_S2_EEvT3_20rocsparse_direction_NS_24const_host_device_scalarIT1_EES3_PKS3_PKT2_SC_S9_PKT4_PKT5_S7_PT6_21rocsparse_index_base_b: ; @_ZN9rocsparseL18bsrxmvn_4x4_kernelILj128ELj64E21rocsparse_complex_numIfEiiS2_S2_S2_EEvT3_20rocsparse_direction_NS_24const_host_device_scalarIT1_EES3_PKS3_PKT2_SC_S9_PKT4_PKT5_S7_PT6_21rocsparse_index_base_b
; %bb.0:
	s_load_dwordx2 s[0:1], s[4:5], 0x8
	s_load_dwordx2 s[16:17], s[4:5], 0x58
	s_add_u32 s7, s4, 8
	s_addc_u32 s8, s5, 0
	s_add_u32 s9, s4, 0x48
	s_load_dwordx2 s[2:3], s[4:5], 0x48
	s_addc_u32 s10, s5, 0
	s_waitcnt lgkmcnt(0)
	s_bitcmp1_b32 s17, 0
	s_cselect_b32 s1, s8, s1
	s_cselect_b32 s0, s7, s0
	v_mov_b32_e32 v1, s0
	v_mov_b32_e32 v2, s1
	flat_load_dwordx2 v[14:15], v[1:2]
	s_cselect_b32 s0, s10, s3
	s_cselect_b32 s1, s9, s2
	v_mov_b32_e32 v1, s1
	v_mov_b32_e32 v2, s0
	flat_load_dwordx2 v[12:13], v[1:2]
	s_waitcnt vmcnt(0) lgkmcnt(0)
	v_cmp_eq_f32_e32 vcc, 0, v14
	v_cmp_eq_f32_e64 s[0:1], 0, v15
	s_and_b64 s[8:9], vcc, s[0:1]
	s_mov_b64 s[0:1], -1
	s_and_saveexec_b64 s[2:3], s[8:9]
; %bb.1:
	v_cmp_neq_f32_e32 vcc, 1.0, v12
	v_cmp_neq_f32_e64 s[0:1], 0, v13
	s_or_b64 s[0:1], vcc, s[0:1]
	s_orn2_b64 s[0:1], s[0:1], exec
; %bb.2:
	s_or_b64 exec, exec, s[2:3]
	s_and_saveexec_b64 s[2:3], s[0:1]
	s_cbranch_execz .LBB14_8
; %bb.3:
	s_load_dwordx2 s[8:9], s[4:5], 0x18
	s_load_dwordx2 s[0:1], s[4:5], 0x0
	v_lshrrev_b32_e32 v1, 6, v0
	v_lshl_or_b32 v16, s6, 1, v1
	s_mov_b64 s[2:3], 0
	s_waitcnt lgkmcnt(0)
	s_cmp_lg_u64 s[8:9], 0
	s_cbranch_scc0 .LBB14_9
; %bb.4:
	s_load_dword s6, s[4:5], 0x10
                                        ; implicit-def: $vgpr1
	s_waitcnt lgkmcnt(0)
	v_cmp_gt_i32_e32 vcc, s6, v16
	s_and_saveexec_b64 s[6:7], vcc
	s_xor_b64 s[6:7], exec, s[6:7]
	s_cbranch_execz .LBB14_6
; %bb.5:
	v_ashrrev_i32_e32 v17, 31, v16
	v_lshlrev_b64 v[1:2], 2, v[16:17]
	v_mov_b32_e32 v3, s9
	v_add_co_u32_e32 v1, vcc, s8, v1
	v_addc_co_u32_e32 v2, vcc, v3, v2, vcc
	global_load_dword v1, v[1:2], off
	s_mov_b64 s[2:3], exec
	s_waitcnt vmcnt(0)
	v_subrev_u32_e32 v1, s16, v1
.LBB14_6:
	s_or_b64 exec, exec, s[6:7]
	s_branch .LBB14_10
.LBB14_7:
	v_cmp_gt_i32_e32 vcc, s0, v16
	s_andn2_b64 s[2:3], s[2:3], exec
	s_and_b64 s[6:7], vcc, exec
	s_or_b64 s[2:3], s[2:3], s[6:7]
	s_and_b64 exec, exec, s[2:3]
	s_cbranch_execnz .LBB14_11
.LBB14_8:
	s_endpgm
.LBB14_9:
                                        ; implicit-def: $vgpr1
	s_cbranch_execnz .LBB14_7
.LBB14_10:
	v_mov_b32_e32 v16, v1
	s_and_b64 exec, exec, s[2:3]
	s_cbranch_execz .LBB14_8
.LBB14_11:
	s_load_dwordx8 s[8:15], s[4:5], 0x20
	v_ashrrev_i32_e32 v17, 31, v16
	v_lshlrev_b64 v[1:2], 2, v[16:17]
	v_and_b32_e32 v33, 63, v0
	s_waitcnt lgkmcnt(0)
	v_mov_b32_e32 v4, s9
	v_add_co_u32_e32 v3, vcc, s8, v1
	v_addc_co_u32_e32 v4, vcc, v4, v2, vcc
	global_load_dword v39, v[3:4], off
	v_add_co_u32_e32 v3, vcc, 4, v3
	v_addc_co_u32_e32 v4, vcc, 0, v4, vcc
	v_mov_b32_e32 v5, s11
	v_add_co_u32_e32 v1, vcc, s10, v1
	s_cmp_eq_u64 s[10:11], 0
	v_addc_co_u32_e32 v2, vcc, v5, v2, vcc
	s_cselect_b64 vcc, -1, 0
	v_cndmask_b32_e32 v2, v2, v4, vcc
	v_cndmask_b32_e32 v1, v1, v3, vcc
	global_load_dword v1, v[1:2], off
	s_load_dwordx2 s[8:9], s[4:5], 0x40
	v_mov_b32_e32 v2, s15
	s_cmp_eq_u32 s1, 1
	s_waitcnt vmcnt(1)
	v_subrev_u32_e32 v0, s16, v39
	v_add_u32_e32 v17, v0, v33
	v_ashrrev_i32_e32 v18, 31, v17
	s_waitcnt vmcnt(0)
	v_subrev_u32_e32 v36, s16, v1
	v_lshlrev_b64 v[0:1], 7, v[17:18]
	v_cmp_lt_i32_e64 s[0:1], v17, v36
	v_add_co_u32_e32 v19, vcc, s14, v0
	v_addc_co_u32_e32 v20, vcc, v2, v1, vcc
	s_cbranch_scc1 .LBB14_23
; %bb.12:
	v_mov_b32_e32 v38, 0
	v_mov_b32_e32 v7, 0
	;; [unrolled: 1-line block ×8, first 2 shown]
	s_and_saveexec_b64 s[10:11], s[0:1]
	s_cbranch_execz .LBB14_22
; %bb.13:
	v_add_u32_e32 v0, v39, v33
	v_subrev_u32_e32 v0, s16, v0
	v_add_u32_e32 v0, 64, v0
	v_max_i32_e32 v0, v0, v36
	v_not_b32_e32 v1, v39
	v_add3_u32 v0, s16, v0, v1
	v_sub_u32_e32 v0, v0, v33
	s_movk_i32 s2, 0xc0
	v_and_b32_e32 v1, 0xc0, v0
	v_mov_b32_e32 v24, v20
	v_cmp_ne_u32_e32 vcc, s2, v1
	v_mov_b32_e32 v37, 0
	v_mov_b32_e32 v6, 0
	;; [unrolled: 1-line block ×10, first 2 shown]
	s_and_saveexec_b64 s[6:7], vcc
	s_cbranch_execz .LBB14_17
; %bb.14:
	v_lshrrev_b32_e32 v1, 6, v0
	v_add_u32_e32 v1, 1, v1
	v_and_b32_e32 v1, 3, v1
	v_mov_b32_e32 v24, v20
	v_sub_u32_e32 v1, 0, v1
	v_mov_b32_e32 v38, 0
	s_mov_b64 s[14:15], 0
	v_mov_b32_e32 v4, s13
	s_waitcnt lgkmcnt(0)
	v_mov_b32_e32 v5, s9
	v_mov_b32_e32 v21, v17
	;; [unrolled: 1-line block ×10, first 2 shown]
.LBB14_15:                              ; =>This Inner Loop Header: Depth=1
	v_ashrrev_i32_e32 v22, 31, v21
	v_lshlrev_b64 v[48:49], 2, v[21:22]
	global_load_dwordx4 v[8:11], v[23:24], off offset:32
	global_load_dwordx4 v[25:28], v[23:24], off offset:64
	;; [unrolled: 1-line block ×3, first 2 shown]
	global_load_dwordx4 v[40:43], v[23:24], off
	global_load_dwordx4 v[44:47], v[23:24], off offset:16
	v_add_co_u32_e32 v48, vcc, s12, v48
	v_addc_co_u32_e32 v49, vcc, v4, v49, vcc
	global_load_dword v18, v[48:49], off
	v_add_co_u32_e64 v1, s[2:3], 1, v1
	v_add_u32_e32 v21, 64, v21
	s_or_b64 s[14:15], s[2:3], s[14:15]
	s_waitcnt vmcnt(0)
	v_subrev_u32_e32 v18, s16, v18
	v_lshlrev_b32_e32 v48, 2, v18
	v_ashrrev_i32_e32 v49, 31, v48
	v_lshlrev_b64 v[48:49], 3, v[48:49]
	v_add_co_u32_e32 v56, vcc, s8, v48
	v_addc_co_u32_e32 v57, vcc, v5, v49, vcc
	global_load_dwordx4 v[48:51], v[56:57], off
	global_load_dwordx4 v[52:55], v[56:57], off offset:16
	s_waitcnt vmcnt(1)
	v_fmac_f32_e32 v7, v40, v48
	v_fmac_f32_e32 v38, v41, v48
	;; [unrolled: 1-line block ×5, first 2 shown]
	v_fma_f32 v7, -v41, v49, v7
	v_fmac_f32_e32 v38, v40, v49
	v_fmac_f32_e32 v37, v9, v48
	v_fma_f32 v6, -v9, v49, v6
	v_fma_f32 v3, -v26, v49, v3
	v_fmac_f32_e32 v35, v25, v49
	v_fmac_f32_e32 v7, v42, v50
	;; [unrolled: 1-line block ×7, first 2 shown]
	v_fma_f32 v18, -v43, v51, v7
	v_fmac_f32_e32 v38, v42, v51
	global_load_dwordx4 v[40:43], v[23:24], off offset:48
	v_fmac_f32_e32 v37, v11, v50
	v_fma_f32 v11, -v11, v51, v6
	global_load_dwordx4 v[6:9], v[23:24], off offset:80
	v_fma_f32 v3, -v28, v51, v3
	v_fmac_f32_e32 v35, v27, v51
	global_load_dwordx4 v[25:28], v[23:24], off offset:112
	v_fmac_f32_e32 v2, v29, v48
	v_fmac_f32_e32 v34, v30, v48
	v_fma_f32 v2, -v30, v49, v2
	v_fmac_f32_e32 v34, v29, v49
	v_fmac_f32_e32 v2, v31, v50
	;; [unrolled: 1-line block ×4, first 2 shown]
	v_fma_f32 v2, -v32, v51, v2
	v_fmac_f32_e32 v34, v31, v51
	s_waitcnt vmcnt(3)
	v_fmac_f32_e32 v18, v44, v52
	v_fmac_f32_e32 v38, v45, v52
	v_fma_f32 v10, -v45, v53, v18
	v_fmac_f32_e32 v38, v44, v53
	v_add_co_u32_e32 v23, vcc, 0x2000, v23
	v_fmac_f32_e32 v10, v46, v54
	v_fmac_f32_e32 v38, v47, v54
	v_addc_co_u32_e32 v24, vcc, 0, v24, vcc
	v_fmac_f32_e32 v38, v46, v55
	s_waitcnt vmcnt(2)
	v_fmac_f32_e32 v11, v40, v52
	v_fmac_f32_e32 v37, v41, v52
	v_fma_f32 v11, -v41, v53, v11
	s_waitcnt vmcnt(1)
	v_fmac_f32_e32 v3, v6, v52
	v_fmac_f32_e32 v35, v7, v52
	;; [unrolled: 1-line block ×3, first 2 shown]
	s_waitcnt vmcnt(0)
	v_fmac_f32_e32 v2, v25, v52
	v_fmac_f32_e32 v34, v26, v52
	v_fma_f32 v3, -v7, v53, v3
	v_fmac_f32_e32 v35, v6, v53
	v_fma_f32 v2, -v26, v53, v2
	v_fmac_f32_e32 v34, v25, v53
	v_fmac_f32_e32 v11, v42, v54
	v_fmac_f32_e32 v37, v43, v54
	v_fmac_f32_e32 v3, v8, v54
	v_fmac_f32_e32 v35, v9, v54
	v_fmac_f32_e32 v2, v27, v54
	v_fmac_f32_e32 v34, v28, v54
	v_fma_f32 v7, -v47, v55, v10
	v_fma_f32 v6, -v43, v55, v11
	v_fmac_f32_e32 v37, v42, v55
	v_fma_f32 v3, -v9, v55, v3
	v_fmac_f32_e32 v35, v8, v55
	v_fma_f32 v2, -v28, v55, v2
	v_fmac_f32_e32 v34, v27, v55
	s_andn2_b64 exec, exec, s[14:15]
	s_cbranch_execnz .LBB14_15
; %bb.16:
	s_or_b64 exec, exec, s[14:15]
.LBB14_17:
	s_or_b64 exec, exec, s[6:7]
	s_movk_i32 s2, 0xbf
	v_cmp_lt_u32_e32 vcc, s2, v0
	s_and_saveexec_b64 s[14:15], vcc
	s_cbranch_execz .LBB14_21
; %bb.18:
	s_mov_b64 s[18:19], 0
	v_mov_b32_e32 v18, s13
	s_waitcnt lgkmcnt(0)
	v_mov_b32_e32 v40, s9
	s_movk_i32 s17, 0x2000
	s_movk_i32 s20, 0x4000
	s_movk_i32 s21, 0x6000
.LBB14_19:                              ; =>This Inner Loop Header: Depth=1
	v_ashrrev_i32_e32 v22, 31, v21
	v_lshlrev_b64 v[0:1], 2, v[21:22]
	global_load_dwordx4 v[8:11], v[23:24], off offset:32
	global_load_dwordx4 v[29:32], v[23:24], off
	global_load_dwordx4 v[41:44], v[23:24], off offset:64
	v_add_co_u32_e32 v27, vcc, s12, v0
	v_addc_co_u32_e32 v28, vcc, v18, v1, vcc
	global_load_dword v0, v[27:28], off
	global_load_dwordx4 v[49:52], v[23:24], off offset:48
	global_load_dwordx4 v[53:56], v[23:24], off offset:16
	v_add_u32_e32 v21, 0x100, v21
	s_waitcnt vmcnt(2)
	v_subrev_u32_e32 v0, s16, v0
	v_lshlrev_b32_e32 v0, 2, v0
	v_ashrrev_i32_e32 v1, 31, v0
	v_lshlrev_b64 v[0:1], 3, v[0:1]
	v_add_co_u32_e32 v25, vcc, s8, v0
	v_addc_co_u32_e32 v26, vcc, v40, v1, vcc
	global_load_dwordx4 v[45:48], v[25:26], off
	s_waitcnt vmcnt(0)
	v_fmac_f32_e32 v7, v29, v45
	v_fmac_f32_e32 v38, v30, v45
	v_fma_f32 v0, -v30, v46, v7
	v_fmac_f32_e32 v38, v29, v46
	v_fmac_f32_e32 v0, v31, v47
	;; [unrolled: 1-line block ×3, first 2 shown]
	v_fma_f32 v57, -v32, v48, v0
	v_fmac_f32_e32 v38, v31, v48
	global_load_dwordx4 v[29:32], v[23:24], off offset:96
	v_fmac_f32_e32 v6, v8, v45
	v_fma_f32 v0, -v9, v46, v6
	v_fmac_f32_e32 v0, v10, v47
	v_fmac_f32_e32 v3, v41, v45
	v_fma_f32 v58, -v11, v48, v0
	v_fma_f32 v0, -v42, v46, v3
	v_fmac_f32_e32 v37, v9, v45
	v_fmac_f32_e32 v0, v43, v47
	;; [unrolled: 1-line block ×3, first 2 shown]
	v_fma_f32 v22, -v44, v48, v0
	v_fmac_f32_e32 v37, v11, v47
	v_fmac_f32_e32 v37, v10, v48
	v_fmac_f32_e32 v35, v42, v45
	v_fmac_f32_e32 v35, v41, v46
	v_fmac_f32_e32 v35, v44, v47
	v_fmac_f32_e32 v35, v43, v48
	s_waitcnt vmcnt(0)
	v_fmac_f32_e32 v2, v29, v45
	v_fma_f32 v0, -v30, v46, v2
	v_fmac_f32_e32 v0, v31, v47
	v_fma_f32 v42, -v32, v48, v0
	global_load_dwordx4 v[0:3], v[23:24], off offset:112
	global_load_dwordx4 v[8:11], v[23:24], off offset:80
	;; [unrolled: 1-line block ×3, first 2 shown]
	v_fmac_f32_e32 v34, v30, v45
	v_fmac_f32_e32 v34, v29, v46
	;; [unrolled: 1-line block ×4, first 2 shown]
	v_add_co_u32_e32 v31, vcc, s17, v23
	v_addc_co_u32_e32 v32, vcc, 0, v24, vcc
	v_add_co_u32_e64 v29, s[2:3], s20, v23
	v_addc_co_u32_e64 v30, vcc, 0, v24, s[2:3]
	v_cmp_ge_i32_e64 s[2:3], v21, v36
	s_or_b64 s[18:19], s[2:3], s[18:19]
	s_waitcnt vmcnt(0)
	v_fmac_f32_e32 v22, v8, v4
	v_fmac_f32_e32 v35, v9, v4
	;; [unrolled: 1-line block ×4, first 2 shown]
	v_fma_f32 v9, -v9, v5, v22
	v_fmac_f32_e32 v35, v8, v5
	v_fma_f32 v1, -v1, v5, v42
	v_fmac_f32_e32 v34, v0, v5
	v_fmac_f32_e32 v9, v10, v6
	;; [unrolled: 1-line block ×9, first 2 shown]
	v_fma_f32 v22, -v11, v7, v9
	v_fmac_f32_e32 v35, v10, v7
	global_load_dwordx4 v[8:11], v[31:32], off
	v_fma_f32 v42, -v3, v7, v1
	v_fmac_f32_e32 v34, v2, v7
	global_load_dwordx4 v[0:3], v[31:32], off offset:32
	global_load_dword v4, v[27:28], off offset:256
	v_fma_f32 v25, -v54, v5, v57
	v_fmac_f32_e32 v25, v55, v6
	v_fma_f32 v41, -v56, v7, v25
	v_fma_f32 v25, -v50, v5, v58
	v_fmac_f32_e32 v38, v53, v5
	v_fmac_f32_e32 v37, v49, v5
	;; [unrolled: 1-line block ×3, first 2 shown]
	v_fma_f32 v43, -v52, v7, v25
	v_add_co_u32_e64 v25, s[6:7], s21, v23
	v_addc_co_u32_e64 v26, vcc, 0, v24, s[6:7]
	v_fmac_f32_e32 v38, v56, v6
	v_fmac_f32_e32 v37, v52, v6
	;; [unrolled: 1-line block ×4, first 2 shown]
	s_waitcnt vmcnt(0)
	v_subrev_u32_e32 v4, s16, v4
	v_lshlrev_b32_e32 v4, 2, v4
	v_ashrrev_i32_e32 v5, 31, v4
	v_lshlrev_b64 v[4:5], 3, v[4:5]
	v_add_co_u32_e32 v44, vcc, s8, v4
	v_addc_co_u32_e32 v45, vcc, v40, v5, vcc
	global_load_dwordx4 v[4:7], v[44:45], off
	s_waitcnt vmcnt(0)
	v_fmac_f32_e32 v41, v8, v4
	v_fmac_f32_e32 v38, v9, v4
	v_fma_f32 v9, -v9, v5, v41
	v_fmac_f32_e32 v38, v8, v5
	v_fmac_f32_e32 v9, v10, v6
	;; [unrolled: 1-line block ×3, first 2 shown]
	v_fma_f32 v41, -v11, v7, v9
	v_fmac_f32_e32 v38, v10, v7
	global_load_dwordx4 v[8:11], v[31:32], off offset:64
	v_fmac_f32_e32 v43, v0, v4
	v_fmac_f32_e32 v37, v1, v4
	v_fma_f32 v1, -v1, v5, v43
	v_fmac_f32_e32 v37, v0, v5
	v_fmac_f32_e32 v1, v2, v6
	;; [unrolled: 1-line block ×3, first 2 shown]
	v_fma_f32 v46, -v3, v7, v1
	v_fmac_f32_e32 v37, v2, v7
	global_load_dwordx4 v[0:3], v[31:32], off offset:96
	s_waitcnt vmcnt(1)
	v_fmac_f32_e32 v22, v8, v4
	v_fmac_f32_e32 v35, v9, v4
	v_fma_f32 v9, -v9, v5, v22
	v_fmac_f32_e32 v35, v8, v5
	v_fmac_f32_e32 v9, v10, v6
	v_fmac_f32_e32 v35, v11, v6
	v_fma_f32 v22, -v11, v7, v9
	v_fmac_f32_e32 v35, v10, v7
	global_load_dwordx4 v[8:11], v[31:32], off offset:48
	s_waitcnt vmcnt(1)
	v_fmac_f32_e32 v42, v0, v4
	v_fmac_f32_e32 v34, v1, v4
	v_fma_f32 v1, -v1, v5, v42
	v_fmac_f32_e32 v34, v0, v5
	v_fmac_f32_e32 v1, v2, v6
	;; [unrolled: 1-line block ×3, first 2 shown]
	v_fma_f32 v47, -v3, v7, v1
	v_fmac_f32_e32 v34, v2, v7
	global_load_dwordx4 v[0:3], v[31:32], off offset:16
	global_load_dwordx4 v[4:7], v[44:45], off offset:16
	s_waitcnt vmcnt(0)
	v_fmac_f32_e32 v41, v0, v4
	v_fmac_f32_e32 v38, v1, v4
	v_fma_f32 v1, -v1, v5, v41
	v_fmac_f32_e32 v38, v0, v5
	v_fmac_f32_e32 v1, v2, v6
	;; [unrolled: 1-line block ×3, first 2 shown]
	v_fma_f32 v45, -v3, v7, v1
	v_fmac_f32_e32 v38, v2, v7
	global_load_dwordx4 v[0:3], v[31:32], off offset:80
	global_load_dwordx4 v[41:44], v[31:32], off offset:112
	v_fmac_f32_e32 v46, v8, v4
	v_fmac_f32_e32 v37, v9, v4
	v_fma_f32 v9, -v9, v5, v46
	v_fmac_f32_e32 v37, v8, v5
	v_fmac_f32_e32 v9, v10, v6
	;; [unrolled: 1-line block ×3, first 2 shown]
	v_fma_f32 v46, -v11, v7, v9
	v_fmac_f32_e32 v37, v10, v7
	global_load_dwordx4 v[8:11], v[29:30], off
	s_waitcnt vmcnt(2)
	v_fmac_f32_e32 v22, v0, v4
	s_waitcnt vmcnt(1)
	v_fmac_f32_e32 v47, v41, v4
	v_fmac_f32_e32 v35, v1, v4
	;; [unrolled: 1-line block ×3, first 2 shown]
	v_fma_f32 v4, -v42, v5, v47
	v_fmac_f32_e32 v4, v43, v6
	v_fma_f32 v47, -v44, v7, v4
	global_load_dword v4, v[27:28], off offset:512
	v_fma_f32 v1, -v1, v5, v22
	v_fmac_f32_e32 v35, v0, v5
	v_fmac_f32_e32 v34, v41, v5
	;; [unrolled: 1-line block ×5, first 2 shown]
	v_fma_f32 v22, -v3, v7, v1
	v_fmac_f32_e32 v35, v2, v7
	global_load_dwordx4 v[0:3], v[29:30], off offset:32
	v_fmac_f32_e32 v34, v43, v7
	global_load_dwordx4 v[41:44], v[29:30], off offset:48
	s_waitcnt vmcnt(2)
	v_subrev_u32_e32 v4, s16, v4
	v_lshlrev_b32_e32 v4, 2, v4
	v_ashrrev_i32_e32 v5, 31, v4
	v_lshlrev_b64 v[4:5], 3, v[4:5]
	v_add_co_u32_e32 v31, vcc, s8, v4
	v_addc_co_u32_e32 v32, vcc, v40, v5, vcc
	global_load_dwordx4 v[4:7], v[31:32], off
	s_waitcnt vmcnt(0)
	v_fmac_f32_e32 v45, v8, v4
	v_fmac_f32_e32 v38, v9, v4
	;; [unrolled: 1-line block ×4, first 2 shown]
	v_fma_f32 v9, -v9, v5, v45
	v_fmac_f32_e32 v38, v8, v5
	v_fma_f32 v1, -v1, v5, v46
	v_fmac_f32_e32 v37, v0, v5
	v_fmac_f32_e32 v9, v10, v6
	;; [unrolled: 1-line block ×5, first 2 shown]
	v_fma_f32 v49, -v11, v7, v9
	v_fmac_f32_e32 v38, v10, v7
	global_load_dwordx4 v[8:11], v[29:30], off offset:64
	v_fma_f32 v50, -v3, v7, v1
	v_fmac_f32_e32 v37, v2, v7
	global_load_dwordx4 v[0:3], v[29:30], off offset:96
	s_waitcnt vmcnt(1)
	v_fmac_f32_e32 v22, v8, v4
	v_fmac_f32_e32 v35, v9, v4
	v_fma_f32 v9, -v9, v5, v22
	s_waitcnt vmcnt(0)
	v_fmac_f32_e32 v47, v0, v4
	v_fmac_f32_e32 v34, v1, v4
	;; [unrolled: 1-line block ×3, first 2 shown]
	v_fma_f32 v1, -v1, v5, v47
	v_fmac_f32_e32 v34, v0, v5
	v_fmac_f32_e32 v9, v10, v6
	;; [unrolled: 1-line block ×5, first 2 shown]
	v_fma_f32 v8, -v11, v7, v9
	v_fmac_f32_e32 v35, v10, v7
	v_fma_f32 v11, -v3, v7, v1
	v_fmac_f32_e32 v34, v2, v7
	global_load_dwordx4 v[0:3], v[29:30], off offset:16
	global_load_dwordx4 v[4:7], v[29:30], off offset:80
	;; [unrolled: 1-line block ×3, first 2 shown]
	s_waitcnt vmcnt(0)
	v_fmac_f32_e32 v49, v0, v45
	v_fmac_f32_e32 v38, v1, v45
	v_fma_f32 v1, -v1, v46, v49
	v_fmac_f32_e32 v38, v0, v46
	v_fmac_f32_e32 v1, v2, v47
	;; [unrolled: 1-line block ×3, first 2 shown]
	v_fma_f32 v22, -v3, v48, v1
	v_fmac_f32_e32 v38, v2, v48
	global_load_dwordx4 v[0:3], v[29:30], off offset:112
	v_fmac_f32_e32 v50, v41, v45
	v_fmac_f32_e32 v8, v4, v45
	;; [unrolled: 1-line block ×3, first 2 shown]
	v_fma_f32 v9, -v42, v46, v50
	v_fma_f32 v5, -v5, v46, v8
	v_fmac_f32_e32 v35, v4, v46
	v_fmac_f32_e32 v9, v43, v47
	;; [unrolled: 1-line block ×4, first 2 shown]
	v_fma_f32 v10, -v44, v48, v9
	global_load_dwordx4 v[29:32], v[25:26], off
	v_fma_f32 v9, -v7, v48, v5
	v_fmac_f32_e32 v35, v6, v48
	global_load_dwordx4 v[4:7], v[25:26], off offset:32
	v_fmac_f32_e32 v37, v42, v45
	v_fmac_f32_e32 v37, v41, v46
	;; [unrolled: 1-line block ×4, first 2 shown]
	s_waitcnt vmcnt(2)
	v_fmac_f32_e32 v11, v0, v45
	v_fmac_f32_e32 v34, v1, v45
	v_fma_f32 v1, -v1, v46, v11
	v_fmac_f32_e32 v34, v0, v46
	v_fmac_f32_e32 v1, v2, v47
	;; [unrolled: 1-line block ×3, first 2 shown]
	v_fma_f32 v8, -v3, v48, v1
	v_fmac_f32_e32 v34, v2, v48
	global_load_dwordx4 v[0:3], v[25:26], off offset:64
	global_load_dword v11, v[27:28], off offset:768
	global_load_dwordx4 v[45:48], v[25:26], off offset:48
	s_waitcnt vmcnt(1)
	v_subrev_u32_e32 v11, s16, v11
	v_lshlrev_b32_e32 v27, 2, v11
	v_ashrrev_i32_e32 v28, 31, v27
	v_lshlrev_b64 v[27:28], 3, v[27:28]
	v_add_co_u32_e32 v49, vcc, s8, v27
	v_addc_co_u32_e32 v50, vcc, v40, v28, vcc
	global_load_dwordx4 v[41:44], v[49:50], off
	v_add_co_u32_e32 v23, vcc, 0x8000, v23
	v_addc_co_u32_e32 v24, vcc, 0, v24, vcc
	s_waitcnt vmcnt(0)
	v_fmac_f32_e32 v22, v29, v41
	v_fmac_f32_e32 v38, v30, v41
	v_fma_f32 v11, -v30, v42, v22
	v_fmac_f32_e32 v38, v29, v42
	global_load_dwordx4 v[27:30], v[25:26], off offset:96
	v_fmac_f32_e32 v37, v5, v41
	v_fmac_f32_e32 v10, v4, v41
	;; [unrolled: 1-line block ×3, first 2 shown]
	v_fma_f32 v5, -v5, v42, v10
	v_fmac_f32_e32 v37, v7, v43
	v_fmac_f32_e32 v9, v0, v41
	;; [unrolled: 1-line block ×5, first 2 shown]
	v_fma_f32 v1, -v1, v42, v9
	v_fmac_f32_e32 v35, v0, v42
	v_fmac_f32_e32 v11, v31, v43
	;; [unrolled: 1-line block ×5, first 2 shown]
	v_fma_f32 v11, -v32, v44, v11
	v_fmac_f32_e32 v38, v31, v44
	v_fma_f32 v4, -v7, v44, v5
	v_fma_f32 v5, -v3, v44, v1
	v_fmac_f32_e32 v35, v2, v44
	global_load_dwordx4 v[0:3], v[25:26], off offset:16
	s_waitcnt vmcnt(1)
	v_fmac_f32_e32 v8, v27, v41
	v_fmac_f32_e32 v34, v28, v41
	v_fma_f32 v6, -v28, v42, v8
	v_fmac_f32_e32 v34, v27, v42
	v_fmac_f32_e32 v6, v29, v43
	;; [unrolled: 1-line block ×3, first 2 shown]
	v_fma_f32 v10, -v30, v44, v6
	v_fmac_f32_e32 v34, v29, v44
	global_load_dwordx4 v[6:9], v[25:26], off offset:112
	global_load_dwordx4 v[27:30], v[25:26], off offset:80
	;; [unrolled: 1-line block ×3, first 2 shown]
	s_waitcnt vmcnt(0)
	v_fmac_f32_e32 v11, v0, v41
	v_fmac_f32_e32 v38, v1, v41
	;; [unrolled: 1-line block ×8, first 2 shown]
	v_fma_f32 v1, -v1, v42, v11
	v_fmac_f32_e32 v38, v0, v42
	v_fma_f32 v0, -v46, v42, v4
	v_fmac_f32_e32 v37, v45, v42
	;; [unrolled: 2-line block ×4, first 2 shown]
	v_fmac_f32_e32 v1, v2, v43
	v_fmac_f32_e32 v38, v3, v43
	v_fmac_f32_e32 v0, v47, v43
	v_fmac_f32_e32 v37, v48, v43
	v_fmac_f32_e32 v4, v29, v43
	v_fmac_f32_e32 v35, v30, v43
	v_fmac_f32_e32 v5, v8, v43
	v_fmac_f32_e32 v34, v9, v43
	v_fma_f32 v7, -v3, v44, v1
	v_fmac_f32_e32 v38, v2, v44
	v_fma_f32 v6, -v48, v44, v0
	v_fmac_f32_e32 v37, v47, v44
	;; [unrolled: 2-line block ×4, first 2 shown]
	s_andn2_b64 exec, exec, s[18:19]
	s_cbranch_execnz .LBB14_19
; %bb.20:
	s_or_b64 exec, exec, s[18:19]
.LBB14_21:
	s_or_b64 exec, exec, s[14:15]
.LBB14_22:
	s_or_b64 exec, exec, s[10:11]
	s_cbranch_execz .LBB14_24
	s_branch .LBB14_35
.LBB14_23:
                                        ; implicit-def: $vgpr38
                                        ; implicit-def: $vgpr7
                                        ; implicit-def: $vgpr2
                                        ; implicit-def: $vgpr34
                                        ; implicit-def: $vgpr3
                                        ; implicit-def: $vgpr35
                                        ; implicit-def: $vgpr6
                                        ; implicit-def: $vgpr37
.LBB14_24:
	v_mov_b32_e32 v38, 0
	v_mov_b32_e32 v7, 0
	;; [unrolled: 1-line block ×8, first 2 shown]
	s_and_saveexec_b64 s[6:7], s[0:1]
	s_cbranch_execz .LBB14_34
; %bb.25:
	v_add_u32_e32 v0, v39, v33
	v_subrev_u32_e32 v0, s16, v0
	v_add_u32_e32 v0, 64, v0
	v_max_i32_e32 v0, v0, v36
	v_not_b32_e32 v1, v39
	v_add3_u32 v0, s16, v0, v1
	v_sub_u32_e32 v0, v0, v33
	s_movk_i32 s0, 0xc0
	v_and_b32_e32 v1, 0xc0, v0
	v_cmp_ne_u32_e32 vcc, s0, v1
	v_mov_b32_e32 v37, 0
	v_mov_b32_e32 v6, 0
	;; [unrolled: 1-line block ×8, first 2 shown]
	s_and_saveexec_b64 s[2:3], vcc
	s_cbranch_execz .LBB14_29
; %bb.26:
	v_lshrrev_b32_e32 v1, 6, v0
	v_add_u32_e32 v1, 1, v1
	v_and_b32_e32 v1, 3, v1
	v_sub_u32_e32 v1, 0, v1
	v_mov_b32_e32 v38, 0
	s_mov_b64 s[10:11], 0
	v_mov_b32_e32 v4, s13
	s_waitcnt lgkmcnt(0)
	v_mov_b32_e32 v5, s9
	v_mov_b32_e32 v7, 0
	;; [unrolled: 1-line block ×8, first 2 shown]
.LBB14_27:                              ; =>This Inner Loop Header: Depth=1
	v_ashrrev_i32_e32 v18, 31, v17
	v_lshlrev_b64 v[8:9], 2, v[17:18]
	v_add_co_u32_e64 v1, s[0:1], 1, v1
	v_add_co_u32_e32 v51, vcc, s12, v8
	v_addc_co_u32_e32 v52, vcc, v4, v9, vcc
	global_load_dword v18, v[51:52], off
	global_load_dwordx4 v[8:11], v[19:20], off offset:16
	global_load_dwordx4 v[21:24], v[19:20], off
	global_load_dwordx4 v[25:28], v[19:20], off offset:32
	global_load_dwordx4 v[29:32], v[19:20], off offset:48
	;; [unrolled: 1-line block ×5, first 2 shown]
	v_add_u32_e32 v17, 64, v17
	s_or_b64 s[10:11], s[0:1], s[10:11]
	s_waitcnt vmcnt(7)
	v_subrev_u32_e32 v18, s16, v18
	v_lshlrev_b32_e32 v51, 2, v18
	v_ashrrev_i32_e32 v52, 31, v51
	v_lshlrev_b64 v[51:52], 3, v[51:52]
	v_add_co_u32_e32 v63, vcc, s8, v51
	v_addc_co_u32_e32 v64, vcc, v5, v52, vcc
	global_load_dwordx4 v[51:54], v[63:64], off
	global_load_dwordx4 v[55:58], v[63:64], off offset:16
	global_load_dwordx4 v[59:62], v[19:20], off offset:112
	v_add_co_u32_e32 v19, vcc, 0x2000, v19
	v_addc_co_u32_e32 v20, vcc, 0, v20, vcc
	s_waitcnt vmcnt(2)
	v_fmac_f32_e32 v7, v21, v51
	v_fmac_f32_e32 v38, v22, v51
	;; [unrolled: 1-line block ×8, first 2 shown]
	v_fma_f32 v7, -v22, v52, v7
	v_fmac_f32_e32 v38, v21, v52
	v_fma_f32 v6, -v24, v52, v6
	v_fmac_f32_e32 v37, v23, v52
	;; [unrolled: 2-line block ×4, first 2 shown]
	v_fmac_f32_e32 v7, v25, v53
	v_fmac_f32_e32 v38, v26, v53
	;; [unrolled: 1-line block ×8, first 2 shown]
	v_fma_f32 v7, -v26, v54, v7
	v_fmac_f32_e32 v38, v25, v54
	v_fma_f32 v6, -v28, v54, v6
	v_fmac_f32_e32 v37, v27, v54
	;; [unrolled: 2-line block ×4, first 2 shown]
	s_waitcnt vmcnt(1)
	v_fmac_f32_e32 v7, v47, v55
	v_fmac_f32_e32 v38, v48, v55
	;; [unrolled: 1-line block ×8, first 2 shown]
	v_fma_f32 v7, -v48, v56, v7
	v_fmac_f32_e32 v38, v47, v56
	v_fma_f32 v6, -v50, v56, v6
	v_fmac_f32_e32 v37, v49, v56
	;; [unrolled: 2-line block ×4, first 2 shown]
	v_fmac_f32_e32 v7, v39, v57
	v_fmac_f32_e32 v38, v40, v57
	;; [unrolled: 1-line block ×4, first 2 shown]
	s_waitcnt vmcnt(0)
	v_fmac_f32_e32 v3, v59, v57
	v_fmac_f32_e32 v35, v60, v57
	;; [unrolled: 1-line block ×4, first 2 shown]
	v_fma_f32 v7, -v40, v58, v7
	v_fmac_f32_e32 v38, v39, v58
	v_fma_f32 v6, -v42, v58, v6
	v_fmac_f32_e32 v37, v41, v58
	;; [unrolled: 2-line block ×4, first 2 shown]
	s_andn2_b64 exec, exec, s[10:11]
	s_cbranch_execnz .LBB14_27
; %bb.28:
	s_or_b64 exec, exec, s[10:11]
.LBB14_29:
	s_or_b64 exec, exec, s[2:3]
	s_movk_i32 s0, 0xbf
	v_cmp_lt_u32_e32 vcc, s0, v0
	s_and_saveexec_b64 s[10:11], vcc
	s_cbranch_execz .LBB14_33
; %bb.30:
	s_mov_b64 s[14:15], 0
	v_mov_b32_e32 v4, s13
	s_waitcnt lgkmcnt(0)
	v_mov_b32_e32 v5, s9
	s_movk_i32 s9, 0x2000
	s_movk_i32 s13, 0x4000
	s_movk_i32 s17, 0x6000
.LBB14_31:                              ; =>This Inner Loop Header: Depth=1
	v_ashrrev_i32_e32 v18, 31, v17
	v_lshlrev_b64 v[0:1], 2, v[17:18]
	global_load_dwordx4 v[8:11], v[19:20], off offset:32
	global_load_dwordx4 v[21:24], v[19:20], off offset:16
	global_load_dwordx4 v[25:28], v[19:20], off
	v_add_co_u32_e32 v0, vcc, s12, v0
	v_addc_co_u32_e32 v1, vcc, v4, v1, vcc
	global_load_dword v18, v[0:1], off
	v_add_u32_e32 v17, 0x100, v17
	s_waitcnt vmcnt(0)
	v_subrev_u32_e32 v18, s16, v18
	v_lshlrev_b32_e32 v29, 2, v18
	v_ashrrev_i32_e32 v30, 31, v29
	v_lshlrev_b64 v[29:30], 3, v[29:30]
	v_add_co_u32_e32 v43, vcc, s8, v29
	v_addc_co_u32_e32 v44, vcc, v5, v30, vcc
	global_load_dwordx4 v[29:32], v[43:44], off
	s_waitcnt vmcnt(0)
	v_fmac_f32_e32 v7, v25, v29
	v_fmac_f32_e32 v38, v26, v29
	v_fmac_f32_e32 v6, v27, v29
	v_fmac_f32_e32 v37, v28, v29
	v_fma_f32 v7, -v26, v30, v7
	v_fmac_f32_e32 v38, v25, v30
	v_fma_f32 v6, -v28, v30, v6
	v_fmac_f32_e32 v37, v27, v30
	global_load_dwordx4 v[25:28], v[19:20], off offset:48
	v_fmac_f32_e32 v3, v21, v29
	v_fmac_f32_e32 v35, v22, v29
	v_fmac_f32_e32 v2, v23, v29
	v_fmac_f32_e32 v34, v24, v29
	v_fma_f32 v3, -v22, v30, v3
	v_fmac_f32_e32 v35, v21, v30
	v_fma_f32 v2, -v24, v30, v2
	v_fmac_f32_e32 v34, v23, v30
	v_fmac_f32_e32 v7, v8, v31
	v_fmac_f32_e32 v38, v9, v31
	v_fmac_f32_e32 v6, v10, v31
	v_fmac_f32_e32 v37, v11, v31
	v_fma_f32 v18, -v9, v32, v7
	v_fmac_f32_e32 v38, v8, v32
	v_fma_f32 v11, -v11, v32, v6
	global_load_dwordx4 v[6:9], v[19:20], off offset:96
	global_load_dwordx4 v[21:24], v[19:20], off offset:112
	v_fmac_f32_e32 v37, v10, v32
	v_add_co_u32_e32 v10, vcc, s9, v19
	s_waitcnt vmcnt(2)
	v_fmac_f32_e32 v3, v25, v31
	v_fmac_f32_e32 v35, v26, v31
	;; [unrolled: 1-line block ×4, first 2 shown]
	v_fma_f32 v3, -v26, v32, v3
	v_fmac_f32_e32 v35, v25, v32
	v_fma_f32 v2, -v28, v32, v2
	v_fmac_f32_e32 v34, v27, v32
	global_load_dwordx4 v[25:28], v[19:20], off offset:80
	global_load_dwordx4 v[29:32], v[19:20], off offset:64
	;; [unrolled: 1-line block ×3, first 2 shown]
	v_add_co_u32_e64 v43, s[0:1], s13, v19
	s_waitcnt vmcnt(0)
	v_fmac_f32_e32 v18, v29, v39
	v_fmac_f32_e32 v38, v30, v39
	;; [unrolled: 1-line block ×8, first 2 shown]
	v_fma_f32 v18, -v30, v40, v18
	v_fmac_f32_e32 v38, v29, v40
	v_fma_f32 v29, -v32, v40, v11
	v_fmac_f32_e32 v37, v31, v40
	;; [unrolled: 2-line block ×4, first 2 shown]
	v_addc_co_u32_e32 v11, vcc, 0, v20, vcc
	v_fmac_f32_e32 v18, v6, v41
	v_fmac_f32_e32 v38, v7, v41
	;; [unrolled: 1-line block ×8, first 2 shown]
	v_fma_f32 v18, -v7, v42, v18
	v_fmac_f32_e32 v38, v6, v42
	v_fma_f32 v31, -v9, v42, v29
	v_fmac_f32_e32 v37, v8, v42
	global_load_dwordx4 v[6:9], v[10:11], off
	v_fma_f32 v32, -v22, v42, v26
	v_fmac_f32_e32 v35, v21, v42
	v_fma_f32 v39, -v24, v42, v25
	v_fmac_f32_e32 v34, v23, v42
	global_load_dwordx4 v[21:24], v[10:11], off offset:16
	global_load_dword v25, v[0:1], off offset:256
	v_add_co_u32_e64 v2, s[2:3], s17, v19
	v_addc_co_u32_e64 v44, vcc, 0, v20, s[0:1]
	v_addc_co_u32_e64 v3, vcc, 0, v20, s[2:3]
	s_waitcnt vmcnt(0)
	v_subrev_u32_e32 v25, s16, v25
	v_lshlrev_b32_e32 v25, 2, v25
	v_ashrrev_i32_e32 v26, 31, v25
	v_lshlrev_b64 v[25:26], 3, v[25:26]
	v_add_co_u32_e32 v29, vcc, s8, v25
	v_addc_co_u32_e32 v30, vcc, v5, v26, vcc
	global_load_dwordx4 v[25:28], v[29:30], off
	s_waitcnt vmcnt(0)
	v_fmac_f32_e32 v18, v6, v25
	v_fmac_f32_e32 v38, v7, v25
	v_fmac_f32_e32 v31, v8, v25
	v_fmac_f32_e32 v37, v9, v25
	v_fmac_f32_e32 v32, v21, v25
	v_fmac_f32_e32 v35, v22, v25
	v_fmac_f32_e32 v39, v23, v25
	v_fmac_f32_e32 v34, v24, v25
	v_fma_f32 v18, -v7, v26, v18
	v_fmac_f32_e32 v38, v6, v26
	v_fma_f32 v31, -v9, v26, v31
	v_fmac_f32_e32 v37, v8, v26
	global_load_dwordx4 v[6:9], v[10:11], off offset:32
	v_fma_f32 v25, -v22, v26, v32
	v_fmac_f32_e32 v35, v21, v26
	v_fma_f32 v32, -v24, v26, v39
	v_fmac_f32_e32 v34, v23, v26
	global_load_dwordx4 v[21:24], v[10:11], off offset:48
	s_waitcnt vmcnt(1)
	v_fmac_f32_e32 v18, v6, v27
	v_fmac_f32_e32 v38, v7, v27
	;; [unrolled: 1-line block ×4, first 2 shown]
	v_fma_f32 v18, -v7, v28, v18
	s_waitcnt vmcnt(0)
	v_fmac_f32_e32 v25, v21, v27
	v_fmac_f32_e32 v35, v22, v27
	;; [unrolled: 1-line block ×5, first 2 shown]
	v_fma_f32 v31, -v9, v28, v31
	v_fmac_f32_e32 v37, v8, v28
	global_load_dwordx4 v[6:9], v[10:11], off offset:80
	v_fma_f32 v39, -v22, v28, v25
	v_fmac_f32_e32 v35, v21, v28
	v_fma_f32 v40, -v24, v28, v32
	v_fmac_f32_e32 v34, v23, v28
	global_load_dwordx4 v[21:24], v[10:11], off offset:64
	global_load_dwordx4 v[25:28], v[29:30], off offset:16
	s_waitcnt vmcnt(0)
	v_fmac_f32_e32 v18, v21, v25
	v_fmac_f32_e32 v38, v22, v25
	;; [unrolled: 1-line block ×4, first 2 shown]
	v_fma_f32 v18, -v22, v26, v18
	v_fmac_f32_e32 v38, v21, v26
	v_fma_f32 v41, -v24, v26, v31
	v_fmac_f32_e32 v37, v23, v26
	global_load_dwordx4 v[21:24], v[10:11], off offset:96
	global_load_dwordx4 v[29:32], v[10:11], off offset:112
	v_fmac_f32_e32 v39, v6, v25
	v_fmac_f32_e32 v35, v7, v25
	v_fma_f32 v10, -v7, v26, v39
	v_fmac_f32_e32 v35, v6, v26
	v_fmac_f32_e32 v40, v8, v25
	v_fma_f32 v11, -v9, v26, v40
	v_fmac_f32_e32 v34, v9, v25
	v_fmac_f32_e32 v34, v8, v26
	global_load_dwordx4 v[6:9], v[43:44], off
	s_waitcnt vmcnt(2)
	v_fmac_f32_e32 v18, v21, v27
	s_waitcnt vmcnt(1)
	v_fmac_f32_e32 v10, v29, v27
	v_fmac_f32_e32 v35, v30, v27
	v_fma_f32 v30, -v30, v28, v10
	global_load_dword v10, v[0:1], off offset:512
	v_fmac_f32_e32 v11, v31, v27
	v_fmac_f32_e32 v35, v29, v28
	v_fma_f32 v29, -v32, v28, v11
	v_fmac_f32_e32 v38, v22, v27
	v_fmac_f32_e32 v41, v23, v27
	;; [unrolled: 1-line block ×4, first 2 shown]
	v_fma_f32 v18, -v22, v28, v18
	v_fmac_f32_e32 v38, v21, v28
	v_fma_f32 v39, -v24, v28, v41
	v_fmac_f32_e32 v37, v23, v28
	global_load_dwordx4 v[21:24], v[43:44], off offset:16
	v_fmac_f32_e32 v34, v31, v28
	s_waitcnt vmcnt(1)
	v_subrev_u32_e32 v10, s16, v10
	v_lshlrev_b32_e32 v10, 2, v10
	v_ashrrev_i32_e32 v11, 31, v10
	v_lshlrev_b64 v[10:11], 3, v[10:11]
	v_add_co_u32_e32 v10, vcc, s8, v10
	v_addc_co_u32_e32 v11, vcc, v5, v11, vcc
	global_load_dwordx4 v[25:28], v[10:11], off
	s_waitcnt vmcnt(0)
	v_fmac_f32_e32 v18, v6, v25
	v_fmac_f32_e32 v38, v7, v25
	;; [unrolled: 1-line block ×8, first 2 shown]
	v_fma_f32 v18, -v7, v26, v18
	v_fmac_f32_e32 v38, v6, v26
	v_fma_f32 v31, -v9, v26, v39
	v_fmac_f32_e32 v37, v8, v26
	global_load_dwordx4 v[6:9], v[43:44], off offset:32
	v_fma_f32 v25, -v22, v26, v30
	v_fmac_f32_e32 v35, v21, v26
	v_fma_f32 v29, -v24, v26, v29
	v_fmac_f32_e32 v34, v23, v26
	global_load_dwordx4 v[21:24], v[43:44], off offset:48
	s_waitcnt vmcnt(1)
	v_fmac_f32_e32 v18, v6, v27
	v_fmac_f32_e32 v38, v7, v27
	;; [unrolled: 1-line block ×4, first 2 shown]
	v_fma_f32 v18, -v7, v28, v18
	s_waitcnt vmcnt(0)
	v_fmac_f32_e32 v25, v21, v27
	v_fmac_f32_e32 v35, v22, v27
	;; [unrolled: 1-line block ×5, first 2 shown]
	v_fma_f32 v39, -v9, v28, v31
	v_fmac_f32_e32 v37, v8, v28
	global_load_dwordx4 v[6:9], v[43:44], off offset:96
	v_fma_f32 v40, -v22, v28, v25
	v_fmac_f32_e32 v35, v21, v28
	v_fma_f32 v41, -v24, v28, v29
	v_fmac_f32_e32 v34, v23, v28
	global_load_dwordx4 v[21:24], v[43:44], off offset:80
	global_load_dwordx4 v[25:28], v[43:44], off offset:64
	;; [unrolled: 1-line block ×3, first 2 shown]
	s_waitcnt vmcnt(0)
	v_fmac_f32_e32 v18, v25, v29
	v_fmac_f32_e32 v38, v26, v29
	;; [unrolled: 1-line block ×4, first 2 shown]
	v_fma_f32 v10, -v26, v30, v18
	v_fmac_f32_e32 v38, v25, v30
	v_fma_f32 v11, -v28, v30, v39
	v_fmac_f32_e32 v37, v27, v30
	global_load_dwordx4 v[25:28], v[43:44], off offset:112
	v_fmac_f32_e32 v40, v21, v29
	v_fmac_f32_e32 v35, v22, v29
	;; [unrolled: 1-line block ×4, first 2 shown]
	v_fma_f32 v18, -v22, v30, v40
	v_fmac_f32_e32 v35, v21, v30
	v_fma_f32 v29, -v24, v30, v41
	v_fmac_f32_e32 v34, v23, v30
	v_fmac_f32_e32 v10, v6, v31
	;; [unrolled: 1-line block ×5, first 2 shown]
	global_load_dwordx4 v[21:24], v[2:3], off
	v_fma_f32 v10, -v7, v32, v10
	v_fmac_f32_e32 v38, v6, v32
	v_fma_f32 v11, -v9, v32, v11
	v_fmac_f32_e32 v37, v8, v32
	global_load_dwordx4 v[6:9], v[2:3], off offset:32
	s_waitcnt vmcnt(2)
	v_fmac_f32_e32 v18, v25, v31
	v_fmac_f32_e32 v35, v26, v31
	;; [unrolled: 1-line block ×4, first 2 shown]
	v_fma_f32 v18, -v26, v32, v18
	v_fmac_f32_e32 v35, v25, v32
	v_fma_f32 v39, -v28, v32, v29
	v_fmac_f32_e32 v34, v27, v32
	global_load_dwordx4 v[25:28], v[2:3], off offset:16
	global_load_dword v29, v[0:1], off offset:768
	s_waitcnt vmcnt(0)
	v_subrev_u32_e32 v0, s16, v29
	v_lshlrev_b32_e32 v0, 2, v0
	v_ashrrev_i32_e32 v1, 31, v0
	v_lshlrev_b64 v[0:1], 3, v[0:1]
	v_add_co_u32_e32 v0, vcc, s8, v0
	v_addc_co_u32_e32 v1, vcc, v5, v1, vcc
	global_load_dwordx4 v[29:32], v[0:1], off
	v_add_co_u32_e32 v19, vcc, 0x8000, v19
	v_addc_co_u32_e32 v20, vcc, 0, v20, vcc
	v_cmp_ge_i32_e32 vcc, v17, v36
	s_or_b64 s[14:15], vcc, s[14:15]
	s_waitcnt vmcnt(0)
	v_fmac_f32_e32 v10, v21, v29
	v_fmac_f32_e32 v38, v22, v29
	;; [unrolled: 1-line block ×4, first 2 shown]
	v_fma_f32 v10, -v22, v30, v10
	v_fmac_f32_e32 v38, v21, v30
	v_fma_f32 v11, -v24, v30, v11
	v_fmac_f32_e32 v37, v23, v30
	global_load_dwordx4 v[21:24], v[2:3], off offset:48
	v_fmac_f32_e32 v18, v25, v29
	v_fmac_f32_e32 v35, v26, v29
	;; [unrolled: 1-line block ×4, first 2 shown]
	v_fma_f32 v18, -v26, v30, v18
	v_fmac_f32_e32 v35, v25, v30
	v_fma_f32 v29, -v28, v30, v39
	v_fmac_f32_e32 v34, v27, v30
	v_fmac_f32_e32 v10, v6, v31
	;; [unrolled: 1-line block ×5, first 2 shown]
	v_fma_f32 v10, -v7, v32, v10
	v_fmac_f32_e32 v38, v6, v32
	v_fma_f32 v11, -v9, v32, v11
	v_fmac_f32_e32 v37, v8, v32
	global_load_dwordx4 v[6:9], v[2:3], off offset:80
	global_load_dwordx4 v[25:28], v[2:3], off offset:96
	s_waitcnt vmcnt(2)
	v_fmac_f32_e32 v18, v21, v31
	v_fmac_f32_e32 v35, v22, v31
	;; [unrolled: 1-line block ×4, first 2 shown]
	v_fma_f32 v18, -v22, v32, v18
	v_fmac_f32_e32 v35, v21, v32
	v_fma_f32 v43, -v24, v32, v29
	v_fmac_f32_e32 v34, v23, v32
	global_load_dwordx4 v[21:24], v[2:3], off offset:64
	global_load_dwordx4 v[29:32], v[0:1], off offset:16
	global_load_dwordx4 v[39:42], v[2:3], off offset:112
	s_waitcnt vmcnt(1)
	v_fmac_f32_e32 v10, v21, v29
	v_fmac_f32_e32 v38, v22, v29
	;; [unrolled: 1-line block ×8, first 2 shown]
	v_fma_f32 v0, -v22, v30, v10
	v_fmac_f32_e32 v38, v21, v30
	v_fma_f32 v1, -v24, v30, v11
	v_fmac_f32_e32 v37, v23, v30
	;; [unrolled: 2-line block ×4, first 2 shown]
	v_fmac_f32_e32 v0, v25, v31
	v_fmac_f32_e32 v38, v26, v31
	;; [unrolled: 1-line block ×4, first 2 shown]
	s_waitcnt vmcnt(0)
	v_fmac_f32_e32 v2, v39, v31
	v_fmac_f32_e32 v35, v40, v31
	;; [unrolled: 1-line block ×4, first 2 shown]
	v_fma_f32 v7, -v26, v32, v0
	v_fmac_f32_e32 v38, v25, v32
	v_fma_f32 v6, -v28, v32, v1
	v_fmac_f32_e32 v37, v27, v32
	;; [unrolled: 2-line block ×4, first 2 shown]
	s_andn2_b64 exec, exec, s[14:15]
	s_cbranch_execnz .LBB14_31
; %bb.32:
	s_or_b64 exec, exec, s[14:15]
.LBB14_33:
	s_or_b64 exec, exec, s[10:11]
.LBB14_34:
	s_or_b64 exec, exec, s[6:7]
.LBB14_35:
	v_mov_b32_dpp v0, v7 row_shr:1 row_mask:0xf bank_mask:0xf
	v_add_f32_e32 v0, v7, v0
	v_mov_b32_dpp v4, v38 row_shr:1 row_mask:0xf bank_mask:0xf
	v_mov_b32_dpp v7, v6 row_shr:1 row_mask:0xf bank_mask:0xf
	;; [unrolled: 1-line block ×7, first 2 shown]
	v_add_f32_e32 v4, v38, v4
	v_add_f32_e32 v6, v6, v7
	v_add_f32_e32 v8, v37, v8
	v_add_f32_e32 v3, v3, v10
	v_add_f32_e32 v11, v35, v11
	v_add_f32_e32 v2, v2, v18
	v_add_f32_e32 v19, v34, v19
	v_mov_b32_dpp v1, v0 row_shr:2 row_mask:0xf bank_mask:0xf
	v_mov_b32_dpp v5, v4 row_shr:2 row_mask:0xf bank_mask:0xf
	v_mov_b32_dpp v7, v6 row_shr:2 row_mask:0xf bank_mask:0xf
	v_mov_b32_dpp v9, v8 row_shr:2 row_mask:0xf bank_mask:0xf
	v_mov_b32_dpp v10, v3 row_shr:2 row_mask:0xf bank_mask:0xf
	v_mov_b32_dpp v17, v11 row_shr:2 row_mask:0xf bank_mask:0xf
	v_mov_b32_dpp v18, v2 row_shr:2 row_mask:0xf bank_mask:0xf
	v_mov_b32_dpp v20, v19 row_shr:2 row_mask:0xf bank_mask:0xf
	v_add_f32_e32 v0, v0, v1
	v_add_f32_e32 v4, v4, v5
	v_add_f32_e32 v6, v6, v7
	v_add_f32_e32 v8, v8, v9
	v_add_f32_e32 v3, v3, v10
	v_add_f32_e32 v11, v11, v17
	v_add_f32_e32 v2, v2, v18
	v_add_f32_e32 v19, v19, v20
	v_mov_b32_dpp v1, v0 row_shr:4 row_mask:0xf bank_mask:0xe
	v_mov_b32_dpp v5, v4 row_shr:4 row_mask:0xf bank_mask:0xe
	v_mov_b32_dpp v7, v6 row_shr:4 row_mask:0xf bank_mask:0xe
	v_mov_b32_dpp v9, v8 row_shr:4 row_mask:0xf bank_mask:0xe
	v_mov_b32_dpp v10, v3 row_shr:4 row_mask:0xf bank_mask:0xe
	v_mov_b32_dpp v17, v11 row_shr:4 row_mask:0xf bank_mask:0xe
	v_mov_b32_dpp v18, v2 row_shr:4 row_mask:0xf bank_mask:0xe
	v_mov_b32_dpp v20, v19 row_shr:4 row_mask:0xf bank_mask:0xe
	v_add_f32_e32 v0, v0, v1
	;; [unrolled: 16-line block ×3, first 2 shown]
	v_add_f32_e32 v4, v4, v5
	v_add_f32_e32 v6, v6, v7
	;; [unrolled: 1-line block ×7, first 2 shown]
	v_mov_b32_dpp v1, v0 row_bcast:15 row_mask:0xa bank_mask:0xf
	v_mov_b32_dpp v5, v4 row_bcast:15 row_mask:0xa bank_mask:0xf
	;; [unrolled: 1-line block ×8, first 2 shown]
	v_add_f32_e32 v0, v0, v1
	v_add_f32_e32 v4, v4, v5
	;; [unrolled: 1-line block ×8, first 2 shown]
	v_mov_b32_dpp v1, v0 row_bcast:31 row_mask:0xc bank_mask:0xf
	v_mov_b32_dpp v5, v4 row_bcast:31 row_mask:0xc bank_mask:0xf
	;; [unrolled: 1-line block ×8, first 2 shown]
	v_cmp_eq_u32_e32 vcc, 63, v33
	s_and_b64 exec, exec, vcc
	s_cbranch_execz .LBB14_8
; %bb.36:
	s_load_dwordx2 s[2:3], s[4:5], 0x50
	v_add_f32_e32 v21, v0, v1
	v_add_f32_e32 v0, v4, v5
	;; [unrolled: 1-line block ×8, first 2 shown]
	v_cmp_eq_f32_e32 vcc, 0, v12
	v_cmp_eq_f32_e64 s[0:1], 0, v13
	v_mul_f32_e64 v4, v0, -v15
	v_mul_f32_e32 v5, v14, v0
	v_mul_f32_e64 v6, v1, -v15
	v_mul_f32_e32 v7, v14, v1
	;; [unrolled: 2-line block ×4, first 2 shown]
	s_and_b64 s[0:1], vcc, s[0:1]
	v_fmac_f32_e32 v4, v14, v21
	v_fmac_f32_e32 v5, v15, v21
	v_lshlrev_b32_e32 v8, 2, v16
	v_fmac_f32_e32 v6, v14, v22
	v_fmac_f32_e32 v7, v15, v22
	;; [unrolled: 1-line block ×6, first 2 shown]
	s_and_saveexec_b64 s[4:5], s[0:1]
	s_xor_b64 s[0:1], exec, s[4:5]
	s_cbranch_execz .LBB14_38
; %bb.37:
	v_ashrrev_i32_e32 v9, 31, v8
	v_lshlrev_b64 v[8:9], 3, v[8:9]
	s_waitcnt lgkmcnt(0)
	v_mov_b32_e32 v10, s3
	v_add_co_u32_e32 v8, vcc, s2, v8
	v_addc_co_u32_e32 v9, vcc, v10, v9, vcc
	global_store_dwordx4 v[8:9], v[4:7], off
	global_store_dwordx4 v[8:9], v[0:3], off offset:16
                                        ; implicit-def: $vgpr12_vgpr13
                                        ; implicit-def: $vgpr4
                                        ; implicit-def: $vgpr8
                                        ; implicit-def: $vgpr0
.LBB14_38:
	s_andn2_saveexec_b64 s[0:1], s[0:1]
	s_cbranch_execz .LBB14_8
; %bb.39:
	v_ashrrev_i32_e32 v9, 31, v8
	v_lshlrev_b64 v[8:9], 3, v[8:9]
	s_waitcnt lgkmcnt(0)
	v_mov_b32_e32 v10, s3
	v_add_co_u32_e32 v18, vcc, s2, v8
	v_addc_co_u32_e32 v19, vcc, v10, v9, vcc
	global_load_dwordx4 v[8:11], v[18:19], off
	global_load_dwordx4 v[14:17], v[18:19], off offset:16
	s_waitcnt vmcnt(1)
	v_fmac_f32_e32 v4, v12, v8
	v_fmac_f32_e32 v5, v13, v8
	v_fmac_f32_e32 v6, v12, v10
	v_fmac_f32_e32 v7, v13, v10
	s_waitcnt vmcnt(0)
	v_fmac_f32_e32 v0, v12, v14
	v_fmac_f32_e32 v1, v13, v14
	;; [unrolled: 1-line block ×4, first 2 shown]
	v_fma_f32 v4, -v13, v9, v4
	v_fmac_f32_e32 v5, v12, v9
	v_fma_f32 v6, -v13, v11, v6
	v_fmac_f32_e32 v7, v12, v11
	;; [unrolled: 2-line block ×4, first 2 shown]
	global_store_dwordx4 v[18:19], v[4:7], off
	global_store_dwordx4 v[18:19], v[0:3], off offset:16
	s_endpgm
	.section	.rodata,"a",@progbits
	.p2align	6, 0x0
	.amdhsa_kernel _ZN9rocsparseL18bsrxmvn_4x4_kernelILj128ELj64E21rocsparse_complex_numIfEiiS2_S2_S2_EEvT3_20rocsparse_direction_NS_24const_host_device_scalarIT1_EES3_PKS3_PKT2_SC_S9_PKT4_PKT5_S7_PT6_21rocsparse_index_base_b
		.amdhsa_group_segment_fixed_size 0
		.amdhsa_private_segment_fixed_size 0
		.amdhsa_kernarg_size 96
		.amdhsa_user_sgpr_count 6
		.amdhsa_user_sgpr_private_segment_buffer 1
		.amdhsa_user_sgpr_dispatch_ptr 0
		.amdhsa_user_sgpr_queue_ptr 0
		.amdhsa_user_sgpr_kernarg_segment_ptr 1
		.amdhsa_user_sgpr_dispatch_id 0
		.amdhsa_user_sgpr_flat_scratch_init 0
		.amdhsa_user_sgpr_private_segment_size 0
		.amdhsa_uses_dynamic_stack 0
		.amdhsa_system_sgpr_private_segment_wavefront_offset 0
		.amdhsa_system_sgpr_workgroup_id_x 1
		.amdhsa_system_sgpr_workgroup_id_y 0
		.amdhsa_system_sgpr_workgroup_id_z 0
		.amdhsa_system_sgpr_workgroup_info 0
		.amdhsa_system_vgpr_workitem_id 0
		.amdhsa_next_free_vgpr 65
		.amdhsa_next_free_sgpr 22
		.amdhsa_reserve_vcc 1
		.amdhsa_reserve_flat_scratch 0
		.amdhsa_float_round_mode_32 0
		.amdhsa_float_round_mode_16_64 0
		.amdhsa_float_denorm_mode_32 3
		.amdhsa_float_denorm_mode_16_64 3
		.amdhsa_dx10_clamp 1
		.amdhsa_ieee_mode 1
		.amdhsa_fp16_overflow 0
		.amdhsa_exception_fp_ieee_invalid_op 0
		.amdhsa_exception_fp_denorm_src 0
		.amdhsa_exception_fp_ieee_div_zero 0
		.amdhsa_exception_fp_ieee_overflow 0
		.amdhsa_exception_fp_ieee_underflow 0
		.amdhsa_exception_fp_ieee_inexact 0
		.amdhsa_exception_int_div_zero 0
	.end_amdhsa_kernel
	.section	.text._ZN9rocsparseL18bsrxmvn_4x4_kernelILj128ELj64E21rocsparse_complex_numIfEiiS2_S2_S2_EEvT3_20rocsparse_direction_NS_24const_host_device_scalarIT1_EES3_PKS3_PKT2_SC_S9_PKT4_PKT5_S7_PT6_21rocsparse_index_base_b,"axG",@progbits,_ZN9rocsparseL18bsrxmvn_4x4_kernelILj128ELj64E21rocsparse_complex_numIfEiiS2_S2_S2_EEvT3_20rocsparse_direction_NS_24const_host_device_scalarIT1_EES3_PKS3_PKT2_SC_S9_PKT4_PKT5_S7_PT6_21rocsparse_index_base_b,comdat
.Lfunc_end14:
	.size	_ZN9rocsparseL18bsrxmvn_4x4_kernelILj128ELj64E21rocsparse_complex_numIfEiiS2_S2_S2_EEvT3_20rocsparse_direction_NS_24const_host_device_scalarIT1_EES3_PKS3_PKT2_SC_S9_PKT4_PKT5_S7_PT6_21rocsparse_index_base_b, .Lfunc_end14-_ZN9rocsparseL18bsrxmvn_4x4_kernelILj128ELj64E21rocsparse_complex_numIfEiiS2_S2_S2_EEvT3_20rocsparse_direction_NS_24const_host_device_scalarIT1_EES3_PKS3_PKT2_SC_S9_PKT4_PKT5_S7_PT6_21rocsparse_index_base_b
                                        ; -- End function
	.set _ZN9rocsparseL18bsrxmvn_4x4_kernelILj128ELj64E21rocsparse_complex_numIfEiiS2_S2_S2_EEvT3_20rocsparse_direction_NS_24const_host_device_scalarIT1_EES3_PKS3_PKT2_SC_S9_PKT4_PKT5_S7_PT6_21rocsparse_index_base_b.num_vgpr, 65
	.set _ZN9rocsparseL18bsrxmvn_4x4_kernelILj128ELj64E21rocsparse_complex_numIfEiiS2_S2_S2_EEvT3_20rocsparse_direction_NS_24const_host_device_scalarIT1_EES3_PKS3_PKT2_SC_S9_PKT4_PKT5_S7_PT6_21rocsparse_index_base_b.num_agpr, 0
	.set _ZN9rocsparseL18bsrxmvn_4x4_kernelILj128ELj64E21rocsparse_complex_numIfEiiS2_S2_S2_EEvT3_20rocsparse_direction_NS_24const_host_device_scalarIT1_EES3_PKS3_PKT2_SC_S9_PKT4_PKT5_S7_PT6_21rocsparse_index_base_b.numbered_sgpr, 22
	.set _ZN9rocsparseL18bsrxmvn_4x4_kernelILj128ELj64E21rocsparse_complex_numIfEiiS2_S2_S2_EEvT3_20rocsparse_direction_NS_24const_host_device_scalarIT1_EES3_PKS3_PKT2_SC_S9_PKT4_PKT5_S7_PT6_21rocsparse_index_base_b.num_named_barrier, 0
	.set _ZN9rocsparseL18bsrxmvn_4x4_kernelILj128ELj64E21rocsparse_complex_numIfEiiS2_S2_S2_EEvT3_20rocsparse_direction_NS_24const_host_device_scalarIT1_EES3_PKS3_PKT2_SC_S9_PKT4_PKT5_S7_PT6_21rocsparse_index_base_b.private_seg_size, 0
	.set _ZN9rocsparseL18bsrxmvn_4x4_kernelILj128ELj64E21rocsparse_complex_numIfEiiS2_S2_S2_EEvT3_20rocsparse_direction_NS_24const_host_device_scalarIT1_EES3_PKS3_PKT2_SC_S9_PKT4_PKT5_S7_PT6_21rocsparse_index_base_b.uses_vcc, 1
	.set _ZN9rocsparseL18bsrxmvn_4x4_kernelILj128ELj64E21rocsparse_complex_numIfEiiS2_S2_S2_EEvT3_20rocsparse_direction_NS_24const_host_device_scalarIT1_EES3_PKS3_PKT2_SC_S9_PKT4_PKT5_S7_PT6_21rocsparse_index_base_b.uses_flat_scratch, 0
	.set _ZN9rocsparseL18bsrxmvn_4x4_kernelILj128ELj64E21rocsparse_complex_numIfEiiS2_S2_S2_EEvT3_20rocsparse_direction_NS_24const_host_device_scalarIT1_EES3_PKS3_PKT2_SC_S9_PKT4_PKT5_S7_PT6_21rocsparse_index_base_b.has_dyn_sized_stack, 0
	.set _ZN9rocsparseL18bsrxmvn_4x4_kernelILj128ELj64E21rocsparse_complex_numIfEiiS2_S2_S2_EEvT3_20rocsparse_direction_NS_24const_host_device_scalarIT1_EES3_PKS3_PKT2_SC_S9_PKT4_PKT5_S7_PT6_21rocsparse_index_base_b.has_recursion, 0
	.set _ZN9rocsparseL18bsrxmvn_4x4_kernelILj128ELj64E21rocsparse_complex_numIfEiiS2_S2_S2_EEvT3_20rocsparse_direction_NS_24const_host_device_scalarIT1_EES3_PKS3_PKT2_SC_S9_PKT4_PKT5_S7_PT6_21rocsparse_index_base_b.has_indirect_call, 0
	.section	.AMDGPU.csdata,"",@progbits
; Kernel info:
; codeLenInByte = 6824
; TotalNumSgprs: 26
; NumVgprs: 65
; ScratchSize: 0
; MemoryBound: 0
; FloatMode: 240
; IeeeMode: 1
; LDSByteSize: 0 bytes/workgroup (compile time only)
; SGPRBlocks: 3
; VGPRBlocks: 16
; NumSGPRsForWavesPerEU: 26
; NumVGPRsForWavesPerEU: 65
; Occupancy: 3
; WaveLimiterHint : 1
; COMPUTE_PGM_RSRC2:SCRATCH_EN: 0
; COMPUTE_PGM_RSRC2:USER_SGPR: 6
; COMPUTE_PGM_RSRC2:TRAP_HANDLER: 0
; COMPUTE_PGM_RSRC2:TGID_X_EN: 1
; COMPUTE_PGM_RSRC2:TGID_Y_EN: 0
; COMPUTE_PGM_RSRC2:TGID_Z_EN: 0
; COMPUTE_PGM_RSRC2:TIDIG_COMP_CNT: 0
	.section	.text._ZN9rocsparseL18bsrxmvn_4x4_kernelILj128ELj4E21rocsparse_complex_numIdEiiS2_S2_S2_EEvT3_20rocsparse_direction_NS_24const_host_device_scalarIT1_EES3_PKS3_PKT2_SC_S9_PKT4_PKT5_S7_PT6_21rocsparse_index_base_b,"axG",@progbits,_ZN9rocsparseL18bsrxmvn_4x4_kernelILj128ELj4E21rocsparse_complex_numIdEiiS2_S2_S2_EEvT3_20rocsparse_direction_NS_24const_host_device_scalarIT1_EES3_PKS3_PKT2_SC_S9_PKT4_PKT5_S7_PT6_21rocsparse_index_base_b,comdat
	.globl	_ZN9rocsparseL18bsrxmvn_4x4_kernelILj128ELj4E21rocsparse_complex_numIdEiiS2_S2_S2_EEvT3_20rocsparse_direction_NS_24const_host_device_scalarIT1_EES3_PKS3_PKT2_SC_S9_PKT4_PKT5_S7_PT6_21rocsparse_index_base_b ; -- Begin function _ZN9rocsparseL18bsrxmvn_4x4_kernelILj128ELj4E21rocsparse_complex_numIdEiiS2_S2_S2_EEvT3_20rocsparse_direction_NS_24const_host_device_scalarIT1_EES3_PKS3_PKT2_SC_S9_PKT4_PKT5_S7_PT6_21rocsparse_index_base_b
	.p2align	8
	.type	_ZN9rocsparseL18bsrxmvn_4x4_kernelILj128ELj4E21rocsparse_complex_numIdEiiS2_S2_S2_EEvT3_20rocsparse_direction_NS_24const_host_device_scalarIT1_EES3_PKS3_PKT2_SC_S9_PKT4_PKT5_S7_PT6_21rocsparse_index_base_b,@function
_ZN9rocsparseL18bsrxmvn_4x4_kernelILj128ELj4E21rocsparse_complex_numIdEiiS2_S2_S2_EEvT3_20rocsparse_direction_NS_24const_host_device_scalarIT1_EES3_PKS3_PKT2_SC_S9_PKT4_PKT5_S7_PT6_21rocsparse_index_base_b: ; @_ZN9rocsparseL18bsrxmvn_4x4_kernelILj128ELj4E21rocsparse_complex_numIdEiiS2_S2_S2_EEvT3_20rocsparse_direction_NS_24const_host_device_scalarIT1_EES3_PKS3_PKT2_SC_S9_PKT4_PKT5_S7_PT6_21rocsparse_index_base_b
; %bb.0:
	s_load_dwordx2 s[0:1], s[4:5], 0x8
	s_load_dwordx2 s[16:17], s[4:5], 0x68
	s_add_u32 s7, s4, 8
	s_addc_u32 s8, s5, 0
	s_add_u32 s9, s4, 0x50
	s_addc_u32 s10, s5, 0
	s_waitcnt lgkmcnt(0)
	s_bitcmp1_b32 s17, 0
	s_cselect_b32 s1, s8, s1
	s_cselect_b32 s0, s7, s0
	v_mov_b32_e32 v1, s0
	v_mov_b32_e32 v2, s1
	flat_load_dwordx4 v[5:8], v[1:2]
	s_load_dwordx2 s[2:3], s[4:5], 0x50
	s_waitcnt lgkmcnt(0)
	s_cselect_b32 s0, s10, s3
	s_cselect_b32 s1, s9, s2
	v_mov_b32_e32 v1, s1
	v_mov_b32_e32 v2, s0
	flat_load_dwordx4 v[1:4], v[1:2]
	s_waitcnt vmcnt(0)
	v_cmp_eq_f64_e32 vcc, 0, v[5:6]
	v_cmp_eq_f64_e64 s[0:1], 0, v[7:8]
	s_and_b64 s[8:9], vcc, s[0:1]
	s_mov_b64 s[0:1], -1
	s_and_saveexec_b64 s[2:3], s[8:9]
	s_cbranch_execz .LBB15_2
; %bb.1:
	s_waitcnt lgkmcnt(0)
	v_cmp_neq_f64_e32 vcc, 1.0, v[1:2]
	v_cmp_neq_f64_e64 s[0:1], 0, v[3:4]
	s_or_b64 s[0:1], vcc, s[0:1]
	s_orn2_b64 s[0:1], s[0:1], exec
.LBB15_2:
	s_or_b64 exec, exec, s[2:3]
	s_and_saveexec_b64 s[2:3], s[0:1]
	s_cbranch_execz .LBB15_8
; %bb.3:
	s_load_dwordx2 s[8:9], s[4:5], 0x20
	s_load_dwordx2 s[0:1], s[4:5], 0x0
	v_lshrrev_b32_e32 v9, 2, v0
	v_lshl_or_b32 v21, s6, 5, v9
	s_mov_b64 s[2:3], 0
	s_waitcnt lgkmcnt(0)
	s_cmp_lg_u64 s[8:9], 0
	s_cbranch_scc0 .LBB15_9
; %bb.4:
	s_load_dword s6, s[4:5], 0x18
                                        ; implicit-def: $vgpr9
	s_waitcnt lgkmcnt(0)
	v_cmp_gt_i32_e32 vcc, s6, v21
	s_and_saveexec_b64 s[6:7], vcc
	s_xor_b64 s[6:7], exec, s[6:7]
	s_cbranch_execz .LBB15_6
; %bb.5:
	v_ashrrev_i32_e32 v22, 31, v21
	v_lshlrev_b64 v[9:10], 2, v[21:22]
	v_mov_b32_e32 v11, s9
	v_add_co_u32_e32 v9, vcc, s8, v9
	v_addc_co_u32_e32 v10, vcc, v11, v10, vcc
	global_load_dword v9, v[9:10], off
	s_mov_b64 s[2:3], exec
	s_waitcnt vmcnt(0)
	v_subrev_u32_e32 v9, s16, v9
.LBB15_6:
	s_or_b64 exec, exec, s[6:7]
	s_branch .LBB15_10
.LBB15_7:
	v_cmp_gt_i32_e32 vcc, s0, v21
	s_andn2_b64 s[2:3], s[2:3], exec
	s_and_b64 s[6:7], vcc, exec
	s_or_b64 s[2:3], s[2:3], s[6:7]
	s_and_b64 exec, exec, s[2:3]
	s_cbranch_execnz .LBB15_11
.LBB15_8:
	s_endpgm
.LBB15_9:
                                        ; implicit-def: $vgpr9
	s_cbranch_execnz .LBB15_7
.LBB15_10:
	v_mov_b32_e32 v21, v9
	s_and_b64 exec, exec, s[2:3]
	s_cbranch_execz .LBB15_8
.LBB15_11:
	s_load_dwordx8 s[8:15], s[4:5], 0x28
	v_ashrrev_i32_e32 v22, 31, v21
	v_lshlrev_b64 v[9:10], 2, v[21:22]
	v_and_b32_e32 v0, 3, v0
	s_load_dwordx2 s[6:7], s[4:5], 0x48
	s_waitcnt lgkmcnt(0)
	v_mov_b32_e32 v12, s9
	v_add_co_u32_e32 v11, vcc, s8, v9
	v_addc_co_u32_e32 v12, vcc, v12, v10, vcc
	global_load_dword v37, v[11:12], off
	v_add_co_u32_e32 v11, vcc, 4, v11
	v_addc_co_u32_e32 v12, vcc, 0, v12, vcc
	v_mov_b32_e32 v13, s11
	v_add_co_u32_e32 v9, vcc, s10, v9
	s_cmp_eq_u64 s[10:11], 0
	v_addc_co_u32_e32 v10, vcc, v13, v10, vcc
	s_cselect_b64 vcc, -1, 0
	v_cndmask_b32_e32 v10, v10, v12, vcc
	v_cndmask_b32_e32 v9, v9, v11, vcc
	global_load_dword v10, v[9:10], off
	v_mov_b32_e32 v13, s15
	s_cmp_eq_u32 s1, 1
	s_waitcnt vmcnt(1)
	v_subrev_u32_e32 v9, s16, v37
	v_add_u32_e32 v9, v9, v0
	s_waitcnt vmcnt(0)
	v_subrev_u32_e32 v36, s16, v10
	v_ashrrev_i32_e32 v10, 31, v9
	v_lshlrev_b64 v[11:12], 8, v[9:10]
	v_cmp_lt_i32_e64 s[0:1], v9, v36
	v_add_co_u32_e32 v11, vcc, s14, v11
	v_addc_co_u32_e32 v12, vcc, v13, v12, vcc
	s_cbranch_scc1 .LBB15_23
; %bb.12:
	v_mov_b32_e32 v17, 0
	v_mov_b32_e32 v19, 0
	;; [unrolled: 1-line block ×16, first 2 shown]
	s_and_saveexec_b64 s[8:9], s[0:1]
	s_cbranch_execz .LBB15_22
; %bb.13:
	v_add_u32_e32 v10, v37, v0
	v_subrev_u32_e32 v10, s16, v10
	v_add_u32_e32 v10, 4, v10
	v_max_i32_e32 v10, v10, v36
	v_not_b32_e32 v13, v37
	v_add3_u32 v10, s16, v10, v13
	v_sub_u32_e32 v10, v10, v0
	v_and_b32_e32 v13, 12, v10
	v_mov_b32_e32 v22, 0
	v_mov_b32_e32 v24, 0
	;; [unrolled: 1-line block ×9, first 2 shown]
	v_cmp_ne_u32_e32 vcc, 12, v13
	v_mov_b32_e32 v23, 0
	v_mov_b32_e32 v25, 0
	;; [unrolled: 1-line block ×10, first 2 shown]
	s_and_saveexec_b64 s[10:11], vcc
	s_cbranch_execz .LBB15_17
; %bb.14:
	v_lshrrev_b32_e32 v13, 2, v10
	v_add_u32_e32 v13, 1, v13
	v_and_b32_e32 v13, 3, v13
	v_mov_b32_e32 v17, 0
	v_mov_b32_e32 v19, 0
	;; [unrolled: 1-line block ×9, first 2 shown]
	v_sub_u32_e32 v34, 0, v13
	v_mov_b32_e32 v18, 0
	s_mov_b64 s[14:15], 0
	v_mov_b32_e32 v35, s13
	v_mov_b32_e32 v38, s7
	;; [unrolled: 1-line block ×11, first 2 shown]
.LBB15_15:                              ; =>This Inner Loop Header: Depth=1
	v_ashrrev_i32_e32 v14, 31, v13
	v_lshlrev_b64 v[43:44], 2, v[13:14]
	global_load_dwordx4 v[39:42], v[15:16], off
	v_add_co_u32_e32 v43, vcc, s12, v43
	v_addc_co_u32_e32 v44, vcc, v35, v44, vcc
	global_load_dword v14, v[43:44], off
	v_add_co_u32_e64 v34, s[2:3], 1, v34
	s_or_b64 s[14:15], s[2:3], s[14:15]
	v_add_u32_e32 v13, 4, v13
	s_waitcnt vmcnt(0)
	v_subrev_u32_e32 v14, s16, v14
	v_lshlrev_b32_e32 v43, 2, v14
	v_ashrrev_i32_e32 v44, 31, v43
	v_lshlrev_b64 v[43:44], 4, v[43:44]
	v_add_co_u32_e32 v47, vcc, s6, v43
	v_addc_co_u32_e32 v48, vcc, v38, v44, vcc
	global_load_dwordx4 v[43:46], v[47:48], off
	s_waitcnt vmcnt(0)
	v_fma_f64 v[19:20], v[39:40], v[43:44], v[19:20]
	v_fma_f64 v[17:18], v[41:42], v[43:44], v[17:18]
	v_fma_f64 v[41:42], -v[41:42], v[45:46], v[19:20]
	v_fma_f64 v[39:40], v[39:40], v[45:46], v[17:18]
	global_load_dwordx4 v[17:20], v[15:16], off offset:64
	s_waitcnt vmcnt(0)
	v_fma_f64 v[24:25], v[17:18], v[43:44], v[24:25]
	v_fma_f64 v[22:23], v[19:20], v[43:44], v[22:23]
	v_fma_f64 v[49:50], -v[19:20], v[45:46], v[24:25]
	v_fma_f64 v[51:52], v[17:18], v[45:46], v[22:23]
	global_load_dwordx4 v[17:20], v[15:16], off offset:128
	s_waitcnt vmcnt(0)
	v_fma_f64 v[22:23], v[17:18], v[43:44], v[28:29]
	v_fma_f64 v[24:25], v[19:20], v[43:44], v[26:27]
	v_fma_f64 v[26:27], -v[19:20], v[45:46], v[22:23]
	v_fma_f64 v[28:29], v[17:18], v[45:46], v[24:25]
	global_load_dwordx4 v[17:20], v[15:16], off offset:192
	s_waitcnt vmcnt(0)
	v_fma_f64 v[22:23], v[17:18], v[43:44], v[30:31]
	v_fma_f64 v[24:25], v[19:20], v[43:44], v[32:33]
	v_fma_f64 v[30:31], -v[19:20], v[45:46], v[22:23]
	v_fma_f64 v[32:33], v[17:18], v[45:46], v[24:25]
	global_load_dwordx4 v[17:20], v[15:16], off offset:16
	global_load_dwordx4 v[22:25], v[47:48], off offset:16
	s_waitcnt vmcnt(0)
	v_fma_f64 v[41:42], v[17:18], v[22:23], v[41:42]
	v_fma_f64 v[39:40], v[19:20], v[22:23], v[39:40]
	v_fma_f64 v[41:42], -v[19:20], v[24:25], v[41:42]
	v_fma_f64 v[39:40], v[17:18], v[24:25], v[39:40]
	global_load_dwordx4 v[17:20], v[15:16], off offset:80
	s_waitcnt vmcnt(0)
	v_fma_f64 v[43:44], v[17:18], v[22:23], v[49:50]
	v_fma_f64 v[45:46], v[19:20], v[22:23], v[51:52]
	v_fma_f64 v[43:44], -v[19:20], v[24:25], v[43:44]
	v_fma_f64 v[45:46], v[17:18], v[24:25], v[45:46]
	global_load_dwordx4 v[17:20], v[15:16], off offset:144
	s_waitcnt vmcnt(0)
	v_fma_f64 v[26:27], v[17:18], v[22:23], v[26:27]
	v_fma_f64 v[28:29], v[19:20], v[22:23], v[28:29]
	v_fma_f64 v[26:27], -v[19:20], v[24:25], v[26:27]
	v_fma_f64 v[28:29], v[17:18], v[24:25], v[28:29]
	global_load_dwordx4 v[17:20], v[15:16], off offset:208
	s_waitcnt vmcnt(0)
	v_fma_f64 v[30:31], v[17:18], v[22:23], v[30:31]
	v_fma_f64 v[22:23], v[19:20], v[22:23], v[32:33]
	v_fma_f64 v[30:31], -v[19:20], v[24:25], v[30:31]
	v_fma_f64 v[32:33], v[17:18], v[24:25], v[22:23]
	global_load_dwordx4 v[17:20], v[15:16], off offset:32
	global_load_dwordx4 v[22:25], v[47:48], off offset:32
	;; [unrolled: 25-line block ×3, first 2 shown]
	global_load_dwordx4 v[30:33], v[47:48], off offset:48
	s_waitcnt vmcnt(0)
	v_fma_f64 v[26:27], v[17:18], v[30:31], v[41:42]
	v_fma_f64 v[28:29], v[19:20], v[30:31], v[39:40]
	;; [unrolled: 1-line block ×4, first 2 shown]
	v_fma_f64 v[19:20], -v[19:20], v[32:33], v[26:27]
	v_fma_f64 v[17:18], v[17:18], v[32:33], v[28:29]
	global_load_dwordx4 v[26:29], v[15:16], off offset:176
	v_fma_f64 v[24:25], -v[24:25], v[32:33], v[39:40]
	v_fma_f64 v[22:23], v[22:23], v[32:33], v[41:42]
	global_load_dwordx4 v[39:42], v[15:16], off offset:240
	v_add_co_u32_e32 v15, vcc, 0x400, v15
	v_addc_co_u32_e32 v16, vcc, 0, v16, vcc
	s_waitcnt vmcnt(1)
	v_fma_f64 v[43:44], v[26:27], v[30:31], v[49:50]
	v_fma_f64 v[45:46], v[28:29], v[30:31], v[51:52]
	s_waitcnt vmcnt(0)
	v_fma_f64 v[47:48], v[39:40], v[30:31], v[53:54]
	v_fma_f64 v[49:50], v[41:42], v[30:31], v[55:56]
	v_fma_f64 v[28:29], -v[28:29], v[32:33], v[43:44]
	v_fma_f64 v[26:27], v[26:27], v[32:33], v[45:46]
	v_fma_f64 v[30:31], -v[41:42], v[32:33], v[47:48]
	v_fma_f64 v[32:33], v[39:40], v[32:33], v[49:50]
	s_andn2_b64 exec, exec, s[14:15]
	s_cbranch_execnz .LBB15_15
; %bb.16:
	s_or_b64 exec, exec, s[14:15]
.LBB15_17:
	s_or_b64 exec, exec, s[10:11]
	v_cmp_lt_u32_e32 vcc, 11, v10
	s_and_saveexec_b64 s[2:3], vcc
	s_cbranch_execz .LBB15_21
; %bb.18:
	s_mov_b64 s[10:11], 0
	v_mov_b32_e32 v10, s13
	v_mov_b32_e32 v38, s7
.LBB15_19:                              ; =>This Inner Loop Header: Depth=1
	v_ashrrev_i32_e32 v14, 31, v13
	v_lshlrev_b64 v[34:35], 2, v[13:14]
	v_add_u32_e32 v13, 16, v13
	v_add_co_u32_e32 v34, vcc, s12, v34
	v_addc_co_u32_e32 v35, vcc, v10, v35, vcc
	global_load_dword v14, v[34:35], off
	global_load_dwordx4 v[39:42], v[15:16], off offset:48
	global_load_dwordx4 v[43:46], v[15:16], off offset:32
	;; [unrolled: 1-line block ×3, first 2 shown]
	global_load_dwordx4 v[51:54], v[15:16], off
	s_waitcnt vmcnt(4)
	v_subrev_u32_e32 v14, s16, v14
	v_lshlrev_b32_e32 v55, 2, v14
	v_ashrrev_i32_e32 v56, 31, v55
	v_lshlrev_b64 v[55:56], 4, v[55:56]
	v_add_co_u32_e32 v71, vcc, s6, v55
	v_addc_co_u32_e32 v72, vcc, v38, v56, vcc
	global_load_dwordx4 v[55:58], v[71:72], off offset:48
	global_load_dwordx4 v[59:62], v[71:72], off offset:32
	;; [unrolled: 1-line block ×3, first 2 shown]
	global_load_dwordx4 v[67:70], v[71:72], off
	s_waitcnt vmcnt(0)
	v_fma_f64 v[19:20], v[51:52], v[67:68], v[19:20]
	v_fma_f64 v[17:18], v[53:54], v[67:68], v[17:18]
	v_fma_f64 v[19:20], -v[53:54], v[69:70], v[19:20]
	v_fma_f64 v[17:18], v[51:52], v[69:70], v[17:18]
	v_fma_f64 v[19:20], v[47:48], v[63:64], v[19:20]
	v_fma_f64 v[17:18], v[49:50], v[63:64], v[17:18]
	v_fma_f64 v[19:20], -v[49:50], v[65:66], v[19:20]
	v_fma_f64 v[17:18], v[47:48], v[65:66], v[17:18]
	v_fma_f64 v[19:20], v[43:44], v[59:60], v[19:20]
	v_fma_f64 v[17:18], v[45:46], v[59:60], v[17:18]
	v_fma_f64 v[19:20], -v[45:46], v[61:62], v[19:20]
	v_fma_f64 v[17:18], v[43:44], v[61:62], v[17:18]
	v_fma_f64 v[19:20], v[39:40], v[55:56], v[19:20]
	v_fma_f64 v[17:18], v[41:42], v[55:56], v[17:18]
	v_fma_f64 v[71:72], -v[41:42], v[57:58], v[19:20]
	v_fma_f64 v[73:74], v[39:40], v[57:58], v[17:18]
	global_load_dwordx4 v[17:20], v[15:16], off offset:112
	global_load_dwordx4 v[39:42], v[15:16], off offset:96
	;; [unrolled: 1-line block ×4, first 2 shown]
	s_waitcnt vmcnt(0)
	v_fma_f64 v[24:25], v[47:48], v[67:68], v[24:25]
	v_fma_f64 v[22:23], v[49:50], v[67:68], v[22:23]
	v_fma_f64 v[24:25], -v[49:50], v[69:70], v[24:25]
	v_fma_f64 v[22:23], v[47:48], v[69:70], v[22:23]
	v_fma_f64 v[24:25], v[43:44], v[63:64], v[24:25]
	v_fma_f64 v[22:23], v[45:46], v[63:64], v[22:23]
	v_fma_f64 v[24:25], -v[45:46], v[65:66], v[24:25]
	v_fma_f64 v[22:23], v[43:44], v[65:66], v[22:23]
	;; [unrolled: 4-line block ×3, first 2 shown]
	v_fma_f64 v[24:25], v[17:18], v[55:56], v[24:25]
	v_fma_f64 v[75:76], -v[19:20], v[57:58], v[24:25]
	v_fma_f64 v[19:20], v[19:20], v[55:56], v[22:23]
	v_fma_f64 v[77:78], v[17:18], v[57:58], v[19:20]
	global_load_dwordx4 v[17:20], v[15:16], off offset:176
	global_load_dwordx4 v[22:25], v[15:16], off offset:160
	;; [unrolled: 1-line block ×4, first 2 shown]
	s_waitcnt vmcnt(0)
	v_fma_f64 v[28:29], v[43:44], v[67:68], v[28:29]
	v_fma_f64 v[26:27], v[45:46], v[67:68], v[26:27]
	v_fma_f64 v[28:29], -v[45:46], v[69:70], v[28:29]
	v_fma_f64 v[26:27], v[43:44], v[69:70], v[26:27]
	v_fma_f64 v[28:29], v[39:40], v[63:64], v[28:29]
	;; [unrolled: 1-line block ×3, first 2 shown]
	v_fma_f64 v[28:29], -v[41:42], v[65:66], v[28:29]
	v_fma_f64 v[26:27], v[39:40], v[65:66], v[26:27]
	v_fma_f64 v[28:29], v[22:23], v[59:60], v[28:29]
	v_fma_f64 v[28:29], -v[24:25], v[61:62], v[28:29]
	v_fma_f64 v[24:25], v[24:25], v[59:60], v[26:27]
	v_fma_f64 v[22:23], v[22:23], v[61:62], v[24:25]
	;; [unrolled: 1-line block ×3, first 2 shown]
	v_fma_f64 v[79:80], -v[19:20], v[57:58], v[24:25]
	v_fma_f64 v[19:20], v[19:20], v[55:56], v[22:23]
	v_fma_f64 v[81:82], v[17:18], v[57:58], v[19:20]
	global_load_dwordx4 v[17:20], v[15:16], off offset:240
	global_load_dwordx4 v[22:25], v[15:16], off offset:224
	;; [unrolled: 1-line block ×4, first 2 shown]
	global_load_dword v14, v[34:35], off offset:16
	s_waitcnt vmcnt(1)
	v_fma_f64 v[30:31], v[39:40], v[67:68], v[30:31]
	v_fma_f64 v[32:33], v[41:42], v[67:68], v[32:33]
	s_waitcnt vmcnt(0)
	v_subrev_u32_e32 v14, s16, v14
	v_fma_f64 v[30:31], -v[41:42], v[69:70], v[30:31]
	v_fma_f64 v[32:33], v[39:40], v[69:70], v[32:33]
	v_lshlrev_b32_e32 v39, 2, v14
	v_ashrrev_i32_e32 v40, 31, v39
	v_lshlrev_b64 v[39:40], 4, v[39:40]
	v_fma_f64 v[30:31], v[26:27], v[63:64], v[30:31]
	v_fma_f64 v[30:31], -v[28:29], v[65:66], v[30:31]
	v_fma_f64 v[28:29], v[28:29], v[63:64], v[32:33]
	v_fma_f64 v[26:27], v[26:27], v[65:66], v[28:29]
	v_fma_f64 v[28:29], v[22:23], v[59:60], v[30:31]
	v_fma_f64 v[28:29], -v[24:25], v[61:62], v[28:29]
	v_fma_f64 v[24:25], v[24:25], v[59:60], v[26:27]
	v_fma_f64 v[22:23], v[22:23], v[61:62], v[24:25]
	v_fma_f64 v[24:25], v[17:18], v[55:56], v[28:29]
	v_fma_f64 v[59:60], -v[19:20], v[57:58], v[24:25]
	v_fma_f64 v[19:20], v[19:20], v[55:56], v[22:23]
	v_fma_f64 v[55:56], v[17:18], v[57:58], v[19:20]
	v_add_co_u32_e32 v57, vcc, s6, v39
	v_addc_co_u32_e32 v58, vcc, v38, v40, vcc
	global_load_dwordx4 v[17:20], v[15:16], off offset:1072
	global_load_dwordx4 v[22:25], v[15:16], off offset:1056
	;; [unrolled: 1-line block ×7, first 2 shown]
	global_load_dwordx4 v[51:54], v[57:58], off
	s_waitcnt vmcnt(0)
	v_fma_f64 v[57:58], v[30:31], v[51:52], v[71:72]
	v_fma_f64 v[57:58], -v[32:33], v[53:54], v[57:58]
	v_fma_f64 v[32:33], v[32:33], v[51:52], v[73:74]
	v_fma_f64 v[30:31], v[30:31], v[53:54], v[32:33]
	v_fma_f64 v[32:33], v[26:27], v[47:48], v[57:58]
	v_fma_f64 v[32:33], -v[28:29], v[49:50], v[32:33]
	v_fma_f64 v[28:29], v[28:29], v[47:48], v[30:31]
	v_fma_f64 v[26:27], v[26:27], v[49:50], v[28:29]
	v_fma_f64 v[28:29], v[22:23], v[43:44], v[32:33]
	v_fma_f64 v[28:29], -v[24:25], v[45:46], v[28:29]
	v_fma_f64 v[24:25], v[24:25], v[43:44], v[26:27]
	v_fma_f64 v[22:23], v[22:23], v[45:46], v[24:25]
	v_fma_f64 v[24:25], v[17:18], v[39:40], v[28:29]
	v_fma_f64 v[57:58], -v[19:20], v[41:42], v[24:25]
	v_fma_f64 v[19:20], v[19:20], v[39:40], v[22:23]
	v_fma_f64 v[61:62], v[17:18], v[41:42], v[19:20]
	global_load_dwordx4 v[17:20], v[15:16], off offset:1136
	global_load_dwordx4 v[22:25], v[15:16], off offset:1120
	global_load_dwordx4 v[26:29], v[15:16], off offset:1104
	global_load_dwordx4 v[30:33], v[15:16], off offset:1088
	s_waitcnt vmcnt(0)
	v_fma_f64 v[63:64], v[30:31], v[51:52], v[75:76]
	v_fma_f64 v[63:64], -v[32:33], v[53:54], v[63:64]
	v_fma_f64 v[32:33], v[32:33], v[51:52], v[77:78]
	v_fma_f64 v[30:31], v[30:31], v[53:54], v[32:33]
	v_fma_f64 v[32:33], v[26:27], v[47:48], v[63:64]
	v_fma_f64 v[32:33], -v[28:29], v[49:50], v[32:33]
	v_fma_f64 v[28:29], v[28:29], v[47:48], v[30:31]
	v_fma_f64 v[26:27], v[26:27], v[49:50], v[28:29]
	v_fma_f64 v[28:29], v[22:23], v[43:44], v[32:33]
	v_fma_f64 v[28:29], -v[24:25], v[45:46], v[28:29]
	v_fma_f64 v[24:25], v[24:25], v[43:44], v[26:27]
	v_fma_f64 v[22:23], v[22:23], v[45:46], v[24:25]
	v_fma_f64 v[24:25], v[17:18], v[39:40], v[28:29]
	v_fma_f64 v[63:64], -v[19:20], v[41:42], v[24:25]
	v_fma_f64 v[19:20], v[19:20], v[39:40], v[22:23]
	v_fma_f64 v[65:66], v[17:18], v[41:42], v[19:20]
	global_load_dwordx4 v[17:20], v[15:16], off offset:1200
	global_load_dwordx4 v[22:25], v[15:16], off offset:1184
	global_load_dwordx4 v[26:29], v[15:16], off offset:1168
	global_load_dwordx4 v[30:33], v[15:16], off offset:1152
	;; [unrolled: 21-line block ×3, first 2 shown]
	global_load_dword v14, v[34:35], off offset:32
	s_waitcnt vmcnt(1)
	v_fma_f64 v[59:60], v[30:31], v[51:52], v[59:60]
	s_waitcnt vmcnt(0)
	v_subrev_u32_e32 v14, s16, v14
	v_fma_f64 v[59:60], -v[32:33], v[53:54], v[59:60]
	v_fma_f64 v[32:33], v[32:33], v[51:52], v[55:56]
	v_fma_f64 v[30:31], v[30:31], v[53:54], v[32:33]
	v_fma_f64 v[32:33], v[26:27], v[47:48], v[59:60]
	v_fma_f64 v[32:33], -v[28:29], v[49:50], v[32:33]
	v_fma_f64 v[28:29], v[28:29], v[47:48], v[30:31]
	v_fma_f64 v[26:27], v[26:27], v[49:50], v[28:29]
	v_fma_f64 v[28:29], v[22:23], v[43:44], v[32:33]
	;; [unrolled: 4-line block ×3, first 2 shown]
	v_fma_f64 v[71:72], -v[19:20], v[41:42], v[24:25]
	v_fma_f64 v[19:20], v[19:20], v[39:40], v[22:23]
	v_lshlrev_b32_e32 v39, 2, v14
	v_ashrrev_i32_e32 v40, 31, v39
	v_lshlrev_b64 v[39:40], 4, v[39:40]
	v_add_co_u32_e32 v55, vcc, s6, v39
	v_addc_co_u32_e32 v56, vcc, v38, v40, vcc
	v_fma_f64 v[73:74], v[17:18], v[41:42], v[19:20]
	global_load_dwordx4 v[22:25], v[15:16], off offset:2096
	global_load_dwordx4 v[17:20], v[15:16], off offset:2080
	;; [unrolled: 1-line block ×7, first 2 shown]
	global_load_dwordx4 v[51:54], v[55:56], off
	s_waitcnt vmcnt(0)
	v_fma_f64 v[55:56], v[30:31], v[51:52], v[57:58]
	v_fma_f64 v[55:56], -v[32:33], v[53:54], v[55:56]
	v_fma_f64 v[32:33], v[32:33], v[51:52], v[61:62]
	v_fma_f64 v[30:31], v[30:31], v[53:54], v[32:33]
	v_fma_f64 v[32:33], v[26:27], v[47:48], v[55:56]
	v_fma_f64 v[32:33], -v[28:29], v[49:50], v[32:33]
	v_fma_f64 v[28:29], v[28:29], v[47:48], v[30:31]
	v_fma_f64 v[26:27], v[26:27], v[49:50], v[28:29]
	;; [unrolled: 4-line block ×3, first 2 shown]
	v_fma_f64 v[17:18], v[22:23], v[39:40], v[28:29]
	v_fma_f64 v[19:20], v[24:25], v[39:40], v[19:20]
	v_fma_f64 v[17:18], -v[24:25], v[41:42], v[17:18]
	global_load_dwordx4 v[24:27], v[15:16], off offset:2160
	global_load_dwordx4 v[28:31], v[15:16], off offset:2144
	global_load_dwordx4 v[55:58], v[15:16], off offset:2128
	global_load_dwordx4 v[59:62], v[15:16], off offset:2112
	v_fma_f64 v[19:20], v[22:23], v[41:42], v[19:20]
	s_waitcnt vmcnt(0)
	v_fma_f64 v[22:23], v[59:60], v[51:52], v[63:64]
	v_fma_f64 v[32:33], v[61:62], v[51:52], v[65:66]
	v_fma_f64 v[22:23], -v[61:62], v[53:54], v[22:23]
	v_fma_f64 v[32:33], v[59:60], v[53:54], v[32:33]
	v_fma_f64 v[22:23], v[55:56], v[47:48], v[22:23]
	;; [unrolled: 1-line block ×3, first 2 shown]
	v_fma_f64 v[22:23], -v[57:58], v[49:50], v[22:23]
	v_fma_f64 v[32:33], v[55:56], v[49:50], v[32:33]
	v_fma_f64 v[22:23], v[28:29], v[43:44], v[22:23]
	v_fma_f64 v[22:23], -v[30:31], v[45:46], v[22:23]
	v_fma_f64 v[30:31], v[30:31], v[43:44], v[32:33]
	v_fma_f64 v[22:23], v[24:25], v[39:40], v[22:23]
	;; [unrolled: 1-line block ×3, first 2 shown]
	v_fma_f64 v[22:23], -v[26:27], v[41:42], v[22:23]
	v_fma_f64 v[26:27], v[26:27], v[39:40], v[28:29]
	global_load_dwordx4 v[28:31], v[15:16], off offset:2224
	global_load_dwordx4 v[55:58], v[15:16], off offset:2208
	global_load_dwordx4 v[59:62], v[15:16], off offset:2192
	global_load_dwordx4 v[63:66], v[15:16], off offset:2176
	v_fma_f64 v[24:25], v[24:25], v[41:42], v[26:27]
	s_waitcnt vmcnt(0)
	v_fma_f64 v[26:27], v[63:64], v[51:52], v[67:68]
	v_fma_f64 v[32:33], v[65:66], v[51:52], v[69:70]
	v_fma_f64 v[26:27], -v[65:66], v[53:54], v[26:27]
	v_fma_f64 v[32:33], v[63:64], v[53:54], v[32:33]
	v_fma_f64 v[26:27], v[59:60], v[47:48], v[26:27]
	v_fma_f64 v[32:33], v[61:62], v[47:48], v[32:33]
	v_fma_f64 v[26:27], -v[61:62], v[49:50], v[26:27]
	v_fma_f64 v[32:33], v[59:60], v[49:50], v[32:33]
	;; [unrolled: 4-line block ×3, first 2 shown]
	v_fma_f64 v[26:27], v[28:29], v[39:40], v[26:27]
	v_fma_f64 v[26:27], -v[30:31], v[41:42], v[26:27]
	v_fma_f64 v[30:31], v[30:31], v[39:40], v[32:33]
	v_fma_f64 v[28:29], v[28:29], v[41:42], v[30:31]
	global_load_dwordx4 v[55:58], v[15:16], off offset:2288
	global_load_dwordx4 v[30:33], v[15:16], off offset:2272
	;; [unrolled: 1-line block ×4, first 2 shown]
	global_load_dword v14, v[34:35], off offset:48
	s_waitcnt vmcnt(1)
	v_fma_f64 v[67:68], v[63:64], v[51:52], v[71:72]
	v_fma_f64 v[51:52], v[65:66], v[51:52], v[73:74]
	s_waitcnt vmcnt(0)
	v_subrev_u32_e32 v14, s16, v14
	v_lshlrev_b32_e32 v34, 2, v14
	v_ashrrev_i32_e32 v35, 31, v34
	v_lshlrev_b64 v[34:35], 4, v[34:35]
	v_add_co_u32_e32 v34, vcc, s6, v34
	v_fma_f64 v[67:68], -v[65:66], v[53:54], v[67:68]
	v_fma_f64 v[51:52], v[63:64], v[53:54], v[51:52]
	v_addc_co_u32_e32 v35, vcc, v38, v35, vcc
	v_fma_f64 v[53:54], v[59:60], v[47:48], v[67:68]
	v_fma_f64 v[47:48], v[61:62], v[47:48], v[51:52]
	v_fma_f64 v[53:54], -v[61:62], v[49:50], v[53:54]
	v_fma_f64 v[47:48], v[59:60], v[49:50], v[47:48]
	v_fma_f64 v[49:50], v[30:31], v[43:44], v[53:54]
	v_fma_f64 v[49:50], -v[32:33], v[45:46], v[49:50]
	v_fma_f64 v[32:33], v[32:33], v[43:44], v[47:48]
	v_fma_f64 v[30:31], v[30:31], v[45:46], v[32:33]
	;; [unrolled: 1-line block ×4, first 2 shown]
	v_fma_f64 v[32:33], -v[57:58], v[41:42], v[32:33]
	v_fma_f64 v[30:31], v[55:56], v[41:42], v[30:31]
	global_load_dwordx4 v[39:42], v[15:16], off offset:3120
	global_load_dwordx4 v[43:46], v[15:16], off offset:3104
	;; [unrolled: 1-line block ×7, first 2 shown]
	global_load_dwordx4 v[67:70], v[34:35], off
	s_waitcnt vmcnt(0)
	v_fma_f64 v[17:18], v[51:52], v[67:68], v[17:18]
	v_fma_f64 v[19:20], v[53:54], v[67:68], v[19:20]
	v_fma_f64 v[17:18], -v[53:54], v[69:70], v[17:18]
	v_fma_f64 v[19:20], v[51:52], v[69:70], v[19:20]
	v_fma_f64 v[17:18], v[47:48], v[63:64], v[17:18]
	v_fma_f64 v[19:20], v[49:50], v[63:64], v[19:20]
	v_fma_f64 v[17:18], -v[49:50], v[65:66], v[17:18]
	v_fma_f64 v[19:20], v[47:48], v[65:66], v[19:20]
	v_fma_f64 v[17:18], v[43:44], v[59:60], v[17:18]
	v_fma_f64 v[19:20], v[45:46], v[59:60], v[19:20]
	v_fma_f64 v[17:18], -v[45:46], v[61:62], v[17:18]
	v_fma_f64 v[34:35], v[43:44], v[61:62], v[19:20]
	v_fma_f64 v[17:18], v[39:40], v[55:56], v[17:18]
	v_fma_f64 v[19:20], -v[41:42], v[57:58], v[17:18]
	v_fma_f64 v[17:18], v[41:42], v[55:56], v[34:35]
	v_fma_f64 v[17:18], v[39:40], v[57:58], v[17:18]
	global_load_dwordx4 v[39:42], v[15:16], off offset:3184
	global_load_dwordx4 v[43:46], v[15:16], off offset:3168
	global_load_dwordx4 v[47:50], v[15:16], off offset:3152
	global_load_dwordx4 v[51:54], v[15:16], off offset:3136
	s_waitcnt vmcnt(0)
	v_fma_f64 v[22:23], v[51:52], v[67:68], v[22:23]
	v_fma_f64 v[24:25], v[53:54], v[67:68], v[24:25]
	v_fma_f64 v[22:23], -v[53:54], v[69:70], v[22:23]
	v_fma_f64 v[24:25], v[51:52], v[69:70], v[24:25]
	v_fma_f64 v[22:23], v[47:48], v[63:64], v[22:23]
	v_fma_f64 v[24:25], v[49:50], v[63:64], v[24:25]
	v_fma_f64 v[22:23], -v[49:50], v[65:66], v[22:23]
	v_fma_f64 v[24:25], v[47:48], v[65:66], v[24:25]
	v_fma_f64 v[22:23], v[43:44], v[59:60], v[22:23]
	v_fma_f64 v[24:25], v[45:46], v[59:60], v[24:25]
	v_fma_f64 v[22:23], -v[45:46], v[61:62], v[22:23]
	v_fma_f64 v[34:35], v[43:44], v[61:62], v[24:25]
	v_fma_f64 v[22:23], v[39:40], v[55:56], v[22:23]
	v_fma_f64 v[24:25], -v[41:42], v[57:58], v[22:23]
	v_fma_f64 v[22:23], v[41:42], v[55:56], v[34:35]
	v_fma_f64 v[22:23], v[39:40], v[57:58], v[22:23]
	global_load_dwordx4 v[39:42], v[15:16], off offset:3248
	global_load_dwordx4 v[43:46], v[15:16], off offset:3232
	global_load_dwordx4 v[47:50], v[15:16], off offset:3216
	global_load_dwordx4 v[51:54], v[15:16], off offset:3200
	;; [unrolled: 21-line block ×3, first 2 shown]
	v_add_co_u32_e32 v15, vcc, 0x1000, v15
	v_addc_co_u32_e32 v16, vcc, 0, v16, vcc
	v_cmp_ge_i32_e32 vcc, v13, v36
	s_or_b64 s[10:11], vcc, s[10:11]
	s_waitcnt vmcnt(0)
	v_fma_f64 v[32:33], v[51:52], v[67:68], v[32:33]
	v_fma_f64 v[30:31], v[53:54], v[67:68], v[30:31]
	v_fma_f64 v[32:33], -v[53:54], v[69:70], v[32:33]
	v_fma_f64 v[30:31], v[51:52], v[69:70], v[30:31]
	v_fma_f64 v[32:33], v[47:48], v[63:64], v[32:33]
	v_fma_f64 v[30:31], v[49:50], v[63:64], v[30:31]
	v_fma_f64 v[32:33], -v[49:50], v[65:66], v[32:33]
	v_fma_f64 v[30:31], v[47:48], v[65:66], v[30:31]
	;; [unrolled: 4-line block ×4, first 2 shown]
	s_andn2_b64 exec, exec, s[10:11]
	s_cbranch_execnz .LBB15_19
; %bb.20:
	s_or_b64 exec, exec, s[10:11]
.LBB15_21:
	s_or_b64 exec, exec, s[2:3]
.LBB15_22:
	s_or_b64 exec, exec, s[8:9]
	s_cbranch_execz .LBB15_24
	s_branch .LBB15_35
.LBB15_23:
                                        ; implicit-def: $vgpr17_vgpr18
                                        ; implicit-def: $vgpr19_vgpr20
                                        ; implicit-def: $vgpr30_vgpr31
                                        ; implicit-def: $vgpr32_vgpr33
                                        ; implicit-def: $vgpr28_vgpr29
                                        ; implicit-def: $vgpr26_vgpr27
                                        ; implicit-def: $vgpr24_vgpr25
                                        ; implicit-def: $vgpr22_vgpr23
.LBB15_24:
	v_mov_b32_e32 v17, 0
	v_mov_b32_e32 v19, 0
	;; [unrolled: 1-line block ×16, first 2 shown]
	s_and_saveexec_b64 s[2:3], s[0:1]
	s_cbranch_execz .LBB15_34
; %bb.25:
	v_add_u32_e32 v10, v37, v0
	v_subrev_u32_e32 v10, s16, v10
	v_add_u32_e32 v10, 4, v10
	v_max_i32_e32 v10, v10, v36
	v_not_b32_e32 v13, v37
	v_add3_u32 v10, s16, v10, v13
	v_sub_u32_e32 v13, v10, v0
	v_and_b32_e32 v10, 12, v13
	v_mov_b32_e32 v22, 0
	v_mov_b32_e32 v24, 0
	;; [unrolled: 1-line block ×16, first 2 shown]
	v_cmp_ne_u32_e32 vcc, 12, v10
	s_and_saveexec_b64 s[8:9], vcc
	s_cbranch_execz .LBB15_29
; %bb.26:
	v_lshrrev_b32_e32 v10, 2, v13
	v_add_u32_e32 v10, 1, v10
	v_and_b32_e32 v10, 3, v10
	v_mov_b32_e32 v17, 0
	v_mov_b32_e32 v19, 0
	;; [unrolled: 1-line block ×8, first 2 shown]
	v_sub_u32_e32 v14, 0, v10
	v_mov_b32_e32 v18, 0
	s_mov_b64 s[10:11], 0
	v_mov_b32_e32 v15, s13
	v_mov_b32_e32 v20, 0
	;; [unrolled: 1-line block ×9, first 2 shown]
.LBB15_27:                              ; =>This Inner Loop Header: Depth=1
	v_ashrrev_i32_e32 v10, 31, v9
	v_lshlrev_b64 v[34:35], 2, v[9:10]
	global_load_dwordx4 v[37:40], v[11:12], off offset:48
	global_load_dwordx4 v[41:44], v[11:12], off offset:32
	global_load_dwordx4 v[45:48], v[11:12], off offset:16
	global_load_dwordx4 v[49:52], v[11:12], off
	global_load_dwordx4 v[53:56], v[11:12], off offset:112
	global_load_dwordx4 v[57:60], v[11:12], off offset:96
	v_add_co_u32_e32 v34, vcc, s12, v34
	v_addc_co_u32_e32 v35, vcc, v15, v35, vcc
	global_load_dword v10, v[34:35], off
	v_add_co_u32_e64 v14, s[0:1], 1, v14
	s_or_b64 s[10:11], s[0:1], s[10:11]
	v_add_u32_e32 v9, 4, v9
	s_waitcnt vmcnt(0)
	v_subrev_u32_e32 v10, s16, v10
	v_lshlrev_b32_e32 v34, 2, v10
	v_ashrrev_i32_e32 v35, 31, v34
	v_lshlrev_b64 v[34:35], 4, v[34:35]
	v_add_co_u32_e32 v34, vcc, s6, v34
	v_addc_co_u32_e32 v35, vcc, v16, v35, vcc
	global_load_dwordx4 v[61:64], v[34:35], off
	s_waitcnt vmcnt(0)
	v_fma_f64 v[19:20], v[49:50], v[61:62], v[19:20]
	v_fma_f64 v[17:18], v[51:52], v[61:62], v[17:18]
	;; [unrolled: 1-line block ×8, first 2 shown]
	v_fma_f64 v[51:52], -v[51:52], v[63:64], v[19:20]
	v_fma_f64 v[49:50], v[49:50], v[63:64], v[17:18]
	global_load_dwordx4 v[17:20], v[11:12], off offset:80
	v_fma_f64 v[47:48], -v[47:48], v[63:64], v[24:25]
	v_fma_f64 v[45:46], v[45:46], v[63:64], v[22:23]
	global_load_dwordx4 v[22:25], v[11:12], off offset:64
	;; [unrolled: 3-line block ×4, first 2 shown]
	global_load_dwordx4 v[37:40], v[34:35], off offset:16
	s_waitcnt vmcnt(0)
	v_fma_f64 v[45:46], v[19:20], v[37:38], v[45:46]
	v_fma_f64 v[51:52], v[22:23], v[37:38], v[51:52]
	;; [unrolled: 1-line block ×9, first 2 shown]
	v_fma_f64 v[51:52], -v[24:25], v[39:40], v[51:52]
	v_fma_f64 v[49:50], v[22:23], v[39:40], v[49:50]
	global_load_dwordx4 v[22:25], v[11:12], off offset:144
	v_fma_f64 v[65:66], -v[19:20], v[39:40], v[47:48]
	global_load_dwordx4 v[17:20], v[11:12], off offset:128
	v_fma_f64 v[59:60], -v[59:60], v[39:40], v[43:44]
	v_fma_f64 v[57:58], v[57:58], v[39:40], v[41:42]
	global_load_dwordx4 v[41:44], v[11:12], off offset:224
	v_fma_f64 v[55:56], -v[55:56], v[39:40], v[45:46]
	v_fma_f64 v[53:54], v[53:54], v[39:40], v[37:38]
	global_load_dwordx4 v[37:40], v[11:12], off offset:208
	global_load_dwordx4 v[45:48], v[34:35], off offset:32
	s_waitcnt vmcnt(0)
	v_fma_f64 v[51:52], v[17:18], v[45:46], v[51:52]
	v_fma_f64 v[49:50], v[19:20], v[45:46], v[49:50]
	;; [unrolled: 1-line block ×4, first 2 shown]
	v_fma_f64 v[61:62], -v[19:20], v[47:48], v[51:52]
	v_fma_f64 v[63:64], v[17:18], v[47:48], v[49:50]
	v_fma_f64 v[49:50], v[22:23], v[45:46], v[65:66]
	;; [unrolled: 1-line block ×3, first 2 shown]
	global_load_dwordx4 v[17:20], v[11:12], off offset:192
	v_fma_f64 v[59:60], -v[32:33], v[47:48], v[59:60]
	v_fma_f64 v[57:58], v[30:31], v[47:48], v[57:58]
	global_load_dwordx4 v[30:33], v[34:35], off offset:48
	v_fma_f64 v[34:35], v[26:27], v[45:46], v[55:56]
	v_fma_f64 v[45:46], v[28:29], v[45:46], v[53:54]
	v_fma_f64 v[24:25], -v[24:25], v[47:48], v[49:50]
	v_fma_f64 v[22:23], v[22:23], v[47:48], v[51:52]
	global_load_dwordx4 v[49:52], v[11:12], off offset:240
	v_add_co_u32_e32 v11, vcc, 0x400, v11
	v_addc_co_u32_e32 v12, vcc, 0, v12, vcc
	v_fma_f64 v[28:29], -v[28:29], v[47:48], v[34:35]
	v_fma_f64 v[26:27], v[26:27], v[47:48], v[45:46]
	s_waitcnt vmcnt(1)
	v_fma_f64 v[34:35], v[17:18], v[30:31], v[61:62]
	v_fma_f64 v[45:46], v[19:20], v[30:31], v[63:64]
	;; [unrolled: 1-line block ×6, first 2 shown]
	s_waitcnt vmcnt(0)
	v_fma_f64 v[55:56], v[49:50], v[30:31], v[28:29]
	v_fma_f64 v[57:58], v[51:52], v[30:31], v[26:27]
	v_fma_f64 v[19:20], -v[19:20], v[32:33], v[34:35]
	v_fma_f64 v[17:18], v[17:18], v[32:33], v[45:46]
	v_fma_f64 v[24:25], -v[39:40], v[32:33], v[24:25]
	v_fma_f64 v[22:23], v[37:38], v[32:33], v[22:23]
	v_fma_f64 v[28:29], -v[43:44], v[32:33], v[47:48]
	v_fma_f64 v[26:27], v[41:42], v[32:33], v[53:54]
	v_fma_f64 v[30:31], -v[51:52], v[32:33], v[55:56]
	v_fma_f64 v[32:33], v[49:50], v[32:33], v[57:58]
	s_andn2_b64 exec, exec, s[10:11]
	s_cbranch_execnz .LBB15_27
; %bb.28:
	s_or_b64 exec, exec, s[10:11]
.LBB15_29:
	s_or_b64 exec, exec, s[8:9]
	v_cmp_lt_u32_e32 vcc, 11, v13
	s_and_saveexec_b64 s[0:1], vcc
	s_cbranch_execz .LBB15_33
; %bb.30:
	s_mov_b64 s[8:9], 0
	v_mov_b32_e32 v34, s13
	v_mov_b32_e32 v35, s7
.LBB15_31:                              ; =>This Inner Loop Header: Depth=1
	v_ashrrev_i32_e32 v10, 31, v9
	v_lshlrev_b64 v[13:14], 2, v[9:10]
	v_add_u32_e32 v9, 16, v9
	v_add_co_u32_e32 v13, vcc, s12, v13
	v_addc_co_u32_e32 v14, vcc, v34, v14, vcc
	global_load_dword v10, v[13:14], off
	global_load_dwordx4 v[37:40], v[11:12], off offset:48
	global_load_dwordx4 v[41:44], v[11:12], off offset:32
	;; [unrolled: 1-line block ×3, first 2 shown]
	global_load_dwordx4 v[49:52], v[11:12], off
	s_waitcnt vmcnt(4)
	v_subrev_u32_e32 v10, s16, v10
	v_lshlrev_b32_e32 v15, 2, v10
	v_ashrrev_i32_e32 v16, 31, v15
	v_lshlrev_b64 v[15:16], 4, v[15:16]
	v_add_co_u32_e32 v15, vcc, s6, v15
	v_addc_co_u32_e32 v16, vcc, v35, v16, vcc
	global_load_dwordx4 v[53:56], v[15:16], off offset:48
	global_load_dwordx4 v[57:60], v[15:16], off offset:32
	;; [unrolled: 1-line block ×3, first 2 shown]
	global_load_dwordx4 v[65:68], v[15:16], off
	s_waitcnt vmcnt(0)
	v_fma_f64 v[15:16], v[49:50], v[65:66], v[19:20]
	v_fma_f64 v[19:20], -v[51:52], v[67:68], v[15:16]
	v_fma_f64 v[15:16], v[51:52], v[65:66], v[17:18]
	v_fma_f64 v[49:50], v[49:50], v[67:68], v[15:16]
	v_fma_f64 v[15:16], v[45:46], v[65:66], v[24:25]
	v_fma_f64 v[51:52], -v[47:48], v[67:68], v[15:16]
	v_fma_f64 v[15:16], v[47:48], v[65:66], v[22:23]
	v_fma_f64 v[45:46], v[45:46], v[67:68], v[15:16]
	v_fma_f64 v[15:16], v[41:42], v[65:66], v[28:29]
	v_fma_f64 v[47:48], -v[43:44], v[67:68], v[15:16]
	v_fma_f64 v[15:16], v[43:44], v[65:66], v[26:27]
	v_fma_f64 v[41:42], v[41:42], v[67:68], v[15:16]
	v_fma_f64 v[15:16], v[37:38], v[65:66], v[30:31]
	v_fma_f64 v[43:44], -v[39:40], v[67:68], v[15:16]
	v_fma_f64 v[15:16], v[39:40], v[65:66], v[32:33]
	v_fma_f64 v[37:38], v[37:38], v[67:68], v[15:16]
	global_load_dwordx4 v[15:18], v[11:12], off offset:112
	global_load_dwordx4 v[22:25], v[11:12], off offset:96
	global_load_dwordx4 v[26:29], v[11:12], off offset:80
	global_load_dwordx4 v[30:33], v[11:12], off offset:64
	s_waitcnt vmcnt(0)
	v_fma_f64 v[19:20], v[30:31], v[61:62], v[19:20]
	v_fma_f64 v[19:20], -v[32:33], v[63:64], v[19:20]
	v_fma_f64 v[32:33], v[32:33], v[61:62], v[49:50]
	v_fma_f64 v[39:40], v[30:31], v[63:64], v[32:33]
	v_fma_f64 v[30:31], v[26:27], v[61:62], v[51:52]
	v_fma_f64 v[49:50], -v[28:29], v[63:64], v[30:31]
	v_fma_f64 v[28:29], v[28:29], v[61:62], v[45:46]
	v_fma_f64 v[45:46], v[26:27], v[63:64], v[28:29]
	v_fma_f64 v[26:27], v[22:23], v[61:62], v[47:48]
	v_fma_f64 v[47:48], -v[24:25], v[63:64], v[26:27]
	v_fma_f64 v[24:25], v[24:25], v[61:62], v[41:42]
	v_fma_f64 v[41:42], v[22:23], v[63:64], v[24:25]
	v_fma_f64 v[22:23], v[15:16], v[61:62], v[43:44]
	v_fma_f64 v[43:44], -v[17:18], v[63:64], v[22:23]
	v_fma_f64 v[17:18], v[17:18], v[61:62], v[37:38]
	v_fma_f64 v[37:38], v[15:16], v[63:64], v[17:18]
	global_load_dwordx4 v[15:18], v[11:12], off offset:176
	global_load_dwordx4 v[22:25], v[11:12], off offset:160
	global_load_dwordx4 v[26:29], v[11:12], off offset:144
	global_load_dwordx4 v[30:33], v[11:12], off offset:128
	;; [unrolled: 21-line block ×3, first 2 shown]
	global_load_dword v10, v[13:14], off offset:16
	s_waitcnt vmcnt(1)
	v_fma_f64 v[19:20], v[30:31], v[53:54], v[19:20]
	s_waitcnt vmcnt(0)
	v_subrev_u32_e32 v10, s16, v10
	v_fma_f64 v[19:20], -v[32:33], v[55:56], v[19:20]
	v_fma_f64 v[32:33], v[32:33], v[53:54], v[39:40]
	v_fma_f64 v[57:58], v[30:31], v[55:56], v[32:33]
	v_fma_f64 v[30:31], v[26:27], v[53:54], v[49:50]
	v_fma_f64 v[59:60], -v[28:29], v[55:56], v[30:31]
	v_fma_f64 v[28:29], v[28:29], v[53:54], v[45:46]
	v_fma_f64 v[61:62], v[26:27], v[55:56], v[28:29]
	v_fma_f64 v[26:27], v[22:23], v[53:54], v[47:48]
	v_fma_f64 v[63:64], -v[24:25], v[55:56], v[26:27]
	v_fma_f64 v[24:25], v[24:25], v[53:54], v[41:42]
	v_fma_f64 v[65:66], v[22:23], v[55:56], v[24:25]
	v_fma_f64 v[22:23], v[15:16], v[53:54], v[43:44]
	v_fma_f64 v[67:68], -v[17:18], v[55:56], v[22:23]
	v_fma_f64 v[17:18], v[17:18], v[53:54], v[37:38]
	v_lshlrev_b32_e32 v37, 2, v10
	v_ashrrev_i32_e32 v38, 31, v37
	v_lshlrev_b64 v[37:38], 4, v[37:38]
	v_fma_f64 v[53:54], v[15:16], v[55:56], v[17:18]
	v_add_co_u32_e32 v55, vcc, s6, v37
	v_addc_co_u32_e32 v56, vcc, v35, v38, vcc
	global_load_dwordx4 v[15:18], v[11:12], off offset:1072
	global_load_dwordx4 v[22:25], v[11:12], off offset:1056
	;; [unrolled: 1-line block ×7, first 2 shown]
	global_load_dwordx4 v[49:52], v[55:56], off
	s_waitcnt vmcnt(0)
	v_fma_f64 v[19:20], v[30:31], v[49:50], v[19:20]
	v_fma_f64 v[19:20], -v[32:33], v[51:52], v[19:20]
	v_fma_f64 v[32:33], v[32:33], v[49:50], v[57:58]
	v_fma_f64 v[55:56], v[30:31], v[51:52], v[32:33]
	v_fma_f64 v[30:31], v[26:27], v[49:50], v[59:60]
	v_fma_f64 v[57:58], -v[28:29], v[51:52], v[30:31]
	v_fma_f64 v[28:29], v[28:29], v[49:50], v[61:62]
	v_fma_f64 v[59:60], v[26:27], v[51:52], v[28:29]
	v_fma_f64 v[26:27], v[22:23], v[49:50], v[63:64]
	v_fma_f64 v[61:62], -v[24:25], v[51:52], v[26:27]
	v_fma_f64 v[24:25], v[24:25], v[49:50], v[65:66]
	v_fma_f64 v[63:64], v[22:23], v[51:52], v[24:25]
	v_fma_f64 v[22:23], v[15:16], v[49:50], v[67:68]
	v_fma_f64 v[65:66], -v[17:18], v[51:52], v[22:23]
	v_fma_f64 v[17:18], v[17:18], v[49:50], v[53:54]
	v_fma_f64 v[49:50], v[15:16], v[51:52], v[17:18]
	global_load_dwordx4 v[15:18], v[11:12], off offset:1136
	global_load_dwordx4 v[22:25], v[11:12], off offset:1120
	global_load_dwordx4 v[26:29], v[11:12], off offset:1104
	global_load_dwordx4 v[30:33], v[11:12], off offset:1088
	s_waitcnt vmcnt(0)
	v_fma_f64 v[19:20], v[30:31], v[45:46], v[19:20]
	v_fma_f64 v[19:20], -v[32:33], v[47:48], v[19:20]
	v_fma_f64 v[32:33], v[32:33], v[45:46], v[55:56]
	v_fma_f64 v[51:52], v[30:31], v[47:48], v[32:33]
	v_fma_f64 v[30:31], v[26:27], v[45:46], v[57:58]
	v_fma_f64 v[53:54], -v[28:29], v[47:48], v[30:31]
	v_fma_f64 v[28:29], v[28:29], v[45:46], v[59:60]
	v_fma_f64 v[55:56], v[26:27], v[47:48], v[28:29]
	v_fma_f64 v[26:27], v[22:23], v[45:46], v[61:62]
	v_fma_f64 v[57:58], -v[24:25], v[47:48], v[26:27]
	v_fma_f64 v[24:25], v[24:25], v[45:46], v[63:64]
	v_fma_f64 v[59:60], v[22:23], v[47:48], v[24:25]
	v_fma_f64 v[22:23], v[15:16], v[45:46], v[65:66]
	v_fma_f64 v[61:62], -v[17:18], v[47:48], v[22:23]
	v_fma_f64 v[17:18], v[17:18], v[45:46], v[49:50]
	v_fma_f64 v[45:46], v[15:16], v[47:48], v[17:18]
	global_load_dwordx4 v[15:18], v[11:12], off offset:1200
	global_load_dwordx4 v[22:25], v[11:12], off offset:1184
	global_load_dwordx4 v[26:29], v[11:12], off offset:1168
	global_load_dwordx4 v[30:33], v[11:12], off offset:1152
	;; [unrolled: 21-line block ×3, first 2 shown]
	global_load_dword v10, v[13:14], off offset:32
	s_waitcnt vmcnt(1)
	v_fma_f64 v[19:20], v[30:31], v[37:38], v[19:20]
	s_waitcnt vmcnt(0)
	v_subrev_u32_e32 v10, s16, v10
	v_fma_f64 v[19:20], -v[32:33], v[39:40], v[19:20]
	v_fma_f64 v[32:33], v[32:33], v[37:38], v[47:48]
	v_fma_f64 v[59:60], v[30:31], v[39:40], v[32:33]
	v_fma_f64 v[30:31], v[26:27], v[37:38], v[49:50]
	v_fma_f64 v[61:62], -v[28:29], v[39:40], v[30:31]
	v_fma_f64 v[28:29], v[28:29], v[37:38], v[51:52]
	v_fma_f64 v[63:64], v[26:27], v[39:40], v[28:29]
	v_fma_f64 v[26:27], v[22:23], v[37:38], v[53:54]
	;; [unrolled: 4-line block ×3, first 2 shown]
	v_fma_f64 v[57:58], -v[17:18], v[39:40], v[22:23]
	v_fma_f64 v[17:18], v[17:18], v[37:38], v[41:42]
	v_lshlrev_b32_e32 v37, 2, v10
	v_ashrrev_i32_e32 v38, 31, v37
	v_lshlrev_b64 v[37:38], 4, v[37:38]
	v_add_co_u32_e32 v67, vcc, s6, v37
	v_addc_co_u32_e32 v68, vcc, v35, v38, vcc
	v_fma_f64 v[65:66], v[15:16], v[39:40], v[17:18]
	global_load_dwordx4 v[15:18], v[11:12], off offset:2096
	global_load_dwordx4 v[22:25], v[11:12], off offset:2080
	;; [unrolled: 1-line block ×7, first 2 shown]
	global_load_dwordx4 v[49:52], v[67:68], off
	s_waitcnt vmcnt(0)
	v_fma_f64 v[19:20], v[30:31], v[49:50], v[19:20]
	v_fma_f64 v[19:20], -v[32:33], v[51:52], v[19:20]
	v_fma_f64 v[32:33], v[32:33], v[49:50], v[59:60]
	v_fma_f64 v[59:60], v[30:31], v[51:52], v[32:33]
	v_fma_f64 v[30:31], v[26:27], v[49:50], v[61:62]
	v_fma_f64 v[61:62], -v[28:29], v[51:52], v[30:31]
	v_fma_f64 v[28:29], v[28:29], v[49:50], v[63:64]
	v_fma_f64 v[63:64], v[26:27], v[51:52], v[28:29]
	v_fma_f64 v[26:27], v[22:23], v[49:50], v[53:54]
	v_fma_f64 v[53:54], -v[24:25], v[51:52], v[26:27]
	v_fma_f64 v[24:25], v[24:25], v[49:50], v[55:56]
	v_fma_f64 v[55:56], v[22:23], v[51:52], v[24:25]
	v_fma_f64 v[22:23], v[15:16], v[49:50], v[57:58]
	v_fma_f64 v[57:58], -v[17:18], v[51:52], v[22:23]
	v_fma_f64 v[17:18], v[17:18], v[49:50], v[65:66]
	v_fma_f64 v[49:50], v[15:16], v[51:52], v[17:18]
	global_load_dwordx4 v[15:18], v[11:12], off offset:2160
	global_load_dwordx4 v[22:25], v[11:12], off offset:2144
	global_load_dwordx4 v[26:29], v[11:12], off offset:2128
	global_load_dwordx4 v[30:33], v[11:12], off offset:2112
	s_waitcnt vmcnt(0)
	v_fma_f64 v[19:20], v[30:31], v[45:46], v[19:20]
	v_fma_f64 v[19:20], -v[32:33], v[47:48], v[19:20]
	v_fma_f64 v[32:33], v[32:33], v[45:46], v[59:60]
	v_fma_f64 v[51:52], v[30:31], v[47:48], v[32:33]
	v_fma_f64 v[30:31], v[26:27], v[45:46], v[61:62]
	v_fma_f64 v[59:60], -v[28:29], v[47:48], v[30:31]
	v_fma_f64 v[28:29], v[28:29], v[45:46], v[63:64]
	v_fma_f64 v[61:62], v[26:27], v[47:48], v[28:29]
	v_fma_f64 v[26:27], v[22:23], v[45:46], v[53:54]
	v_fma_f64 v[53:54], -v[24:25], v[47:48], v[26:27]
	v_fma_f64 v[24:25], v[24:25], v[45:46], v[55:56]
	v_fma_f64 v[55:56], v[22:23], v[47:48], v[24:25]
	v_fma_f64 v[22:23], v[15:16], v[45:46], v[57:58]
	v_fma_f64 v[57:58], -v[17:18], v[47:48], v[22:23]
	v_fma_f64 v[17:18], v[17:18], v[45:46], v[49:50]
	v_fma_f64 v[45:46], v[15:16], v[47:48], v[17:18]
	global_load_dwordx4 v[15:18], v[11:12], off offset:2224
	global_load_dwordx4 v[22:25], v[11:12], off offset:2208
	global_load_dwordx4 v[26:29], v[11:12], off offset:2192
	global_load_dwordx4 v[30:33], v[11:12], off offset:2176
	s_waitcnt vmcnt(0)
	v_fma_f64 v[19:20], v[30:31], v[41:42], v[19:20]
	v_fma_f64 v[47:48], -v[32:33], v[43:44], v[19:20]
	v_fma_f64 v[19:20], v[32:33], v[41:42], v[51:52]
	v_fma_f64 v[49:50], v[30:31], v[43:44], v[19:20]
	v_fma_f64 v[19:20], v[26:27], v[41:42], v[59:60]
	v_fma_f64 v[51:52], -v[28:29], v[43:44], v[19:20]
	v_fma_f64 v[19:20], v[28:29], v[41:42], v[61:62]
	v_fma_f64 v[59:60], v[26:27], v[43:44], v[19:20]
	v_fma_f64 v[19:20], v[22:23], v[41:42], v[53:54]
	v_fma_f64 v[53:54], -v[24:25], v[43:44], v[19:20]
	v_fma_f64 v[19:20], v[24:25], v[41:42], v[55:56]
	v_fma_f64 v[55:56], v[22:23], v[43:44], v[19:20]
	v_fma_f64 v[19:20], v[15:16], v[41:42], v[57:58]
	v_fma_f64 v[57:58], -v[17:18], v[43:44], v[19:20]
	v_fma_f64 v[17:18], v[17:18], v[41:42], v[45:46]
	v_fma_f64 v[41:42], v[15:16], v[43:44], v[17:18]
	global_load_dwordx4 v[30:33], v[11:12], off offset:2288
	global_load_dwordx4 v[26:29], v[11:12], off offset:2272
	global_load_dwordx4 v[22:25], v[11:12], off offset:2256
	global_load_dwordx4 v[17:20], v[11:12], off offset:2240
	global_load_dword v10, v[13:14], off offset:48
	s_waitcnt vmcnt(1)
	v_fma_f64 v[15:16], v[17:18], v[37:38], v[47:48]
	s_waitcnt vmcnt(0)
	v_subrev_u32_e32 v10, s16, v10
	v_lshlrev_b32_e32 v13, 2, v10
	v_ashrrev_i32_e32 v14, 31, v13
	v_lshlrev_b64 v[13:14], 4, v[13:14]
	v_add_co_u32_e32 v13, vcc, s6, v13
	v_fma_f64 v[15:16], -v[19:20], v[39:40], v[15:16]
	v_fma_f64 v[19:20], v[19:20], v[37:38], v[49:50]
	v_addc_co_u32_e32 v14, vcc, v35, v14, vcc
	v_fma_f64 v[17:18], v[17:18], v[39:40], v[19:20]
	v_fma_f64 v[19:20], v[22:23], v[37:38], v[51:52]
	v_fma_f64 v[19:20], -v[24:25], v[39:40], v[19:20]
	v_fma_f64 v[24:25], v[24:25], v[37:38], v[59:60]
	v_fma_f64 v[22:23], v[22:23], v[39:40], v[24:25]
	v_fma_f64 v[24:25], v[26:27], v[37:38], v[53:54]
	v_fma_f64 v[24:25], -v[28:29], v[39:40], v[24:25]
	v_fma_f64 v[28:29], v[28:29], v[37:38], v[55:56]
	;; [unrolled: 4-line block ×3, first 2 shown]
	v_fma_f64 v[30:31], v[30:31], v[39:40], v[32:33]
	global_load_dwordx4 v[37:40], v[11:12], off offset:3120
	global_load_dwordx4 v[41:44], v[11:12], off offset:3104
	;; [unrolled: 1-line block ×7, first 2 shown]
	global_load_dwordx4 v[65:68], v[13:14], off
	s_waitcnt vmcnt(0)
	v_fma_f64 v[13:14], v[49:50], v[65:66], v[15:16]
	v_fma_f64 v[32:33], -v[51:52], v[67:68], v[13:14]
	v_fma_f64 v[13:14], v[51:52], v[65:66], v[17:18]
	v_fma_f64 v[49:50], v[49:50], v[67:68], v[13:14]
	v_fma_f64 v[13:14], v[45:46], v[65:66], v[19:20]
	v_fma_f64 v[51:52], -v[47:48], v[67:68], v[13:14]
	v_fma_f64 v[13:14], v[47:48], v[65:66], v[22:23]
	v_fma_f64 v[45:46], v[45:46], v[67:68], v[13:14]
	v_fma_f64 v[13:14], v[41:42], v[65:66], v[24:25]
	v_fma_f64 v[47:48], -v[43:44], v[67:68], v[13:14]
	v_fma_f64 v[13:14], v[43:44], v[65:66], v[26:27]
	v_fma_f64 v[41:42], v[41:42], v[67:68], v[13:14]
	v_fma_f64 v[13:14], v[37:38], v[65:66], v[28:29]
	v_fma_f64 v[43:44], -v[39:40], v[67:68], v[13:14]
	v_fma_f64 v[13:14], v[39:40], v[65:66], v[30:31]
	v_fma_f64 v[30:31], v[37:38], v[67:68], v[13:14]
	global_load_dwordx4 v[13:16], v[11:12], off offset:3184
	global_load_dwordx4 v[17:20], v[11:12], off offset:3168
	global_load_dwordx4 v[22:25], v[11:12], off offset:3152
	global_load_dwordx4 v[26:29], v[11:12], off offset:3136
	s_waitcnt vmcnt(0)
	v_fma_f64 v[32:33], v[26:27], v[61:62], v[32:33]
	v_fma_f64 v[32:33], -v[28:29], v[63:64], v[32:33]
	v_fma_f64 v[28:29], v[28:29], v[61:62], v[49:50]
	v_fma_f64 v[37:38], v[26:27], v[63:64], v[28:29]
	v_fma_f64 v[26:27], v[22:23], v[61:62], v[51:52]
	v_fma_f64 v[39:40], -v[24:25], v[63:64], v[26:27]
	v_fma_f64 v[24:25], v[24:25], v[61:62], v[45:46]
	v_fma_f64 v[45:46], v[22:23], v[63:64], v[24:25]
	v_fma_f64 v[22:23], v[17:18], v[61:62], v[47:48]
	v_fma_f64 v[47:48], -v[19:20], v[63:64], v[22:23]
	v_fma_f64 v[19:20], v[19:20], v[61:62], v[41:42]
	v_fma_f64 v[41:42], v[17:18], v[63:64], v[19:20]
	v_fma_f64 v[17:18], v[13:14], v[61:62], v[43:44]
	v_fma_f64 v[43:44], -v[15:16], v[63:64], v[17:18]
	v_fma_f64 v[15:16], v[15:16], v[61:62], v[30:31]
	v_fma_f64 v[30:31], v[13:14], v[63:64], v[15:16]
	global_load_dwordx4 v[13:16], v[11:12], off offset:3248
	global_load_dwordx4 v[17:20], v[11:12], off offset:3232
	global_load_dwordx4 v[22:25], v[11:12], off offset:3216
	global_load_dwordx4 v[26:29], v[11:12], off offset:3200
	;; [unrolled: 21-line block ×3, first 2 shown]
	v_add_co_u32_e32 v11, vcc, 0x1000, v11
	v_addc_co_u32_e32 v12, vcc, 0, v12, vcc
	v_cmp_ge_i32_e32 vcc, v9, v36
	s_or_b64 s[8:9], vcc, s[8:9]
	s_waitcnt vmcnt(0)
	v_fma_f64 v[17:18], v[22:23], v[53:54], v[49:50]
	v_fma_f64 v[19:20], -v[24:25], v[55:56], v[17:18]
	v_fma_f64 v[17:18], v[24:25], v[53:54], v[37:38]
	v_fma_f64 v[17:18], v[22:23], v[55:56], v[17:18]
	v_fma_f64 v[22:23], v[26:27], v[53:54], v[39:40]
	v_fma_f64 v[24:25], -v[28:29], v[55:56], v[22:23]
	v_fma_f64 v[22:23], v[28:29], v[53:54], v[45:46]
	v_fma_f64 v[22:23], v[26:27], v[55:56], v[22:23]
	;; [unrolled: 4-line block ×4, first 2 shown]
	s_andn2_b64 exec, exec, s[8:9]
	s_cbranch_execnz .LBB15_31
; %bb.32:
	s_or_b64 exec, exec, s[8:9]
.LBB15_33:
	s_or_b64 exec, exec, s[0:1]
.LBB15_34:
	s_or_b64 exec, exec, s[2:3]
.LBB15_35:
	v_mov_b32_dpp v13, v24 row_shr:1 row_mask:0xf bank_mask:0xf
	v_mov_b32_dpp v14, v25 row_shr:1 row_mask:0xf bank_mask:0xf
	v_add_f64 v[13:14], v[24:25], v[13:14]
	v_mov_b32_dpp v24, v28 row_shr:1 row_mask:0xf bank_mask:0xf
	v_mov_b32_dpp v25, v29 row_shr:1 row_mask:0xf bank_mask:0xf
	v_add_f64 v[24:25], v[28:29], v[24:25]
	v_mov_b32_dpp v28, v26 row_shr:1 row_mask:0xf bank_mask:0xf
	v_mov_b32_dpp v29, v27 row_shr:1 row_mask:0xf bank_mask:0xf
	v_add_f64 v[26:27], v[26:27], v[28:29]
	v_mov_b32_dpp v28, v30 row_shr:1 row_mask:0xf bank_mask:0xf
	v_mov_b32_dpp v29, v31 row_shr:1 row_mask:0xf bank_mask:0xf
	;; [unrolled: 1-line block ×8, first 2 shown]
	v_add_f64 v[28:29], v[30:31], v[28:29]
	v_mov_b32_dpp v30, v32 row_shr:1 row_mask:0xf bank_mask:0xf
	v_mov_b32_dpp v31, v33 row_shr:1 row_mask:0xf bank_mask:0xf
	v_add_f64 v[9:10], v[19:20], v[9:10]
	v_add_f64 v[11:12], v[17:18], v[11:12]
	;; [unrolled: 1-line block ×4, first 2 shown]
	v_mov_b32_dpp v19, v13 row_shr:2 row_mask:0xf bank_mask:0xf
	v_mov_b32_dpp v20, v14 row_shr:2 row_mask:0xf bank_mask:0xf
	;; [unrolled: 1-line block ×16, first 2 shown]
	v_cmp_eq_u32_e32 vcc, 3, v0
	s_and_b64 exec, exec, vcc
	s_cbranch_execz .LBB15_8
; %bb.36:
	v_add_f64 v[11:12], v[11:12], v[22:23]
	v_add_f64 v[22:23], v[13:14], v[19:20]
	;; [unrolled: 1-line block ×8, first 2 shown]
	v_mul_f64 v[19:20], v[11:12], -v[7:8]
	v_mul_f64 v[11:12], v[5:6], v[11:12]
	v_mul_f64 v[28:29], v[13:14], -v[7:8]
	v_mul_f64 v[30:31], v[5:6], v[13:14]
	;; [unrolled: 2-line block ×4, first 2 shown]
	v_cmp_eq_f64_e32 vcc, 0, v[1:2]
	v_cmp_eq_f64_e64 s[0:1], 0, v[3:4]
	v_fma_f64 v[17:18], v[5:6], v[9:10], v[19:20]
	v_fma_f64 v[19:20], v[7:8], v[9:10], v[11:12]
	;; [unrolled: 1-line block ×8, first 2 shown]
	s_load_dwordx2 s[2:3], s[4:5], 0x60
	s_and_b64 s[0:1], vcc, s[0:1]
	v_lshlrev_b32_e32 v21, 2, v21
	s_and_saveexec_b64 s[4:5], s[0:1]
	s_xor_b64 s[0:1], exec, s[4:5]
	s_cbranch_execz .LBB15_38
; %bb.37:
	v_ashrrev_i32_e32 v22, 31, v21
	v_lshlrev_b64 v[0:1], 4, v[21:22]
	s_waitcnt lgkmcnt(0)
	v_mov_b32_e32 v2, s3
	v_add_co_u32_e32 v0, vcc, s2, v0
	v_addc_co_u32_e32 v1, vcc, v2, v1, vcc
	global_store_dwordx4 v[0:1], v[17:20], off
	global_store_dwordx4 v[0:1], v[13:16], off offset:16
	global_store_dwordx4 v[0:1], v[9:12], off offset:32
	;; [unrolled: 1-line block ×3, first 2 shown]
                                        ; implicit-def: $vgpr3_vgpr4
                                        ; implicit-def: $vgpr17_vgpr18
                                        ; implicit-def: $vgpr21
                                        ; implicit-def: $vgpr13_vgpr14
                                        ; implicit-def: $vgpr9_vgpr10
                                        ; implicit-def: $vgpr5_vgpr6
.LBB15_38:
	s_andn2_saveexec_b64 s[0:1], s[0:1]
	s_cbranch_execz .LBB15_8
; %bb.39:
	v_ashrrev_i32_e32 v22, 31, v21
	v_lshlrev_b64 v[21:22], 4, v[21:22]
	s_waitcnt lgkmcnt(0)
	v_mov_b32_e32 v0, s3
	v_add_co_u32_e32 v37, vcc, s2, v21
	v_addc_co_u32_e32 v38, vcc, v0, v22, vcc
	global_load_dwordx4 v[21:24], v[37:38], off
	global_load_dwordx4 v[25:28], v[37:38], off offset:16
	global_load_dwordx4 v[29:32], v[37:38], off offset:32
	;; [unrolled: 1-line block ×3, first 2 shown]
	s_waitcnt vmcnt(3)
	v_fma_f64 v[17:18], v[1:2], v[21:22], v[17:18]
	v_fma_f64 v[19:20], v[3:4], v[21:22], v[19:20]
	s_waitcnt vmcnt(2)
	v_fma_f64 v[13:14], v[1:2], v[25:26], v[13:14]
	v_fma_f64 v[15:16], v[3:4], v[25:26], v[15:16]
	;; [unrolled: 3-line block ×4, first 2 shown]
	v_fma_f64 v[5:6], -v[3:4], v[23:24], v[17:18]
	v_fma_f64 v[7:8], v[1:2], v[23:24], v[19:20]
	v_fma_f64 v[9:10], -v[3:4], v[27:28], v[13:14]
	v_fma_f64 v[11:12], v[1:2], v[27:28], v[15:16]
	;; [unrolled: 2-line block ×4, first 2 shown]
	global_store_dwordx4 v[37:38], v[5:8], off
	global_store_dwordx4 v[37:38], v[9:12], off offset:16
	global_store_dwordx4 v[37:38], v[13:16], off offset:32
	;; [unrolled: 1-line block ×3, first 2 shown]
	s_endpgm
	.section	.rodata,"a",@progbits
	.p2align	6, 0x0
	.amdhsa_kernel _ZN9rocsparseL18bsrxmvn_4x4_kernelILj128ELj4E21rocsparse_complex_numIdEiiS2_S2_S2_EEvT3_20rocsparse_direction_NS_24const_host_device_scalarIT1_EES3_PKS3_PKT2_SC_S9_PKT4_PKT5_S7_PT6_21rocsparse_index_base_b
		.amdhsa_group_segment_fixed_size 0
		.amdhsa_private_segment_fixed_size 0
		.amdhsa_kernarg_size 112
		.amdhsa_user_sgpr_count 6
		.amdhsa_user_sgpr_private_segment_buffer 1
		.amdhsa_user_sgpr_dispatch_ptr 0
		.amdhsa_user_sgpr_queue_ptr 0
		.amdhsa_user_sgpr_kernarg_segment_ptr 1
		.amdhsa_user_sgpr_dispatch_id 0
		.amdhsa_user_sgpr_flat_scratch_init 0
		.amdhsa_user_sgpr_private_segment_size 0
		.amdhsa_uses_dynamic_stack 0
		.amdhsa_system_sgpr_private_segment_wavefront_offset 0
		.amdhsa_system_sgpr_workgroup_id_x 1
		.amdhsa_system_sgpr_workgroup_id_y 0
		.amdhsa_system_sgpr_workgroup_id_z 0
		.amdhsa_system_sgpr_workgroup_info 0
		.amdhsa_system_vgpr_workitem_id 0
		.amdhsa_next_free_vgpr 83
		.amdhsa_next_free_sgpr 18
		.amdhsa_reserve_vcc 1
		.amdhsa_reserve_flat_scratch 0
		.amdhsa_float_round_mode_32 0
		.amdhsa_float_round_mode_16_64 0
		.amdhsa_float_denorm_mode_32 3
		.amdhsa_float_denorm_mode_16_64 3
		.amdhsa_dx10_clamp 1
		.amdhsa_ieee_mode 1
		.amdhsa_fp16_overflow 0
		.amdhsa_exception_fp_ieee_invalid_op 0
		.amdhsa_exception_fp_denorm_src 0
		.amdhsa_exception_fp_ieee_div_zero 0
		.amdhsa_exception_fp_ieee_overflow 0
		.amdhsa_exception_fp_ieee_underflow 0
		.amdhsa_exception_fp_ieee_inexact 0
		.amdhsa_exception_int_div_zero 0
	.end_amdhsa_kernel
	.section	.text._ZN9rocsparseL18bsrxmvn_4x4_kernelILj128ELj4E21rocsparse_complex_numIdEiiS2_S2_S2_EEvT3_20rocsparse_direction_NS_24const_host_device_scalarIT1_EES3_PKS3_PKT2_SC_S9_PKT4_PKT5_S7_PT6_21rocsparse_index_base_b,"axG",@progbits,_ZN9rocsparseL18bsrxmvn_4x4_kernelILj128ELj4E21rocsparse_complex_numIdEiiS2_S2_S2_EEvT3_20rocsparse_direction_NS_24const_host_device_scalarIT1_EES3_PKS3_PKT2_SC_S9_PKT4_PKT5_S7_PT6_21rocsparse_index_base_b,comdat
.Lfunc_end15:
	.size	_ZN9rocsparseL18bsrxmvn_4x4_kernelILj128ELj4E21rocsparse_complex_numIdEiiS2_S2_S2_EEvT3_20rocsparse_direction_NS_24const_host_device_scalarIT1_EES3_PKS3_PKT2_SC_S9_PKT4_PKT5_S7_PT6_21rocsparse_index_base_b, .Lfunc_end15-_ZN9rocsparseL18bsrxmvn_4x4_kernelILj128ELj4E21rocsparse_complex_numIdEiiS2_S2_S2_EEvT3_20rocsparse_direction_NS_24const_host_device_scalarIT1_EES3_PKS3_PKT2_SC_S9_PKT4_PKT5_S7_PT6_21rocsparse_index_base_b
                                        ; -- End function
	.set _ZN9rocsparseL18bsrxmvn_4x4_kernelILj128ELj4E21rocsparse_complex_numIdEiiS2_S2_S2_EEvT3_20rocsparse_direction_NS_24const_host_device_scalarIT1_EES3_PKS3_PKT2_SC_S9_PKT4_PKT5_S7_PT6_21rocsparse_index_base_b.num_vgpr, 83
	.set _ZN9rocsparseL18bsrxmvn_4x4_kernelILj128ELj4E21rocsparse_complex_numIdEiiS2_S2_S2_EEvT3_20rocsparse_direction_NS_24const_host_device_scalarIT1_EES3_PKS3_PKT2_SC_S9_PKT4_PKT5_S7_PT6_21rocsparse_index_base_b.num_agpr, 0
	.set _ZN9rocsparseL18bsrxmvn_4x4_kernelILj128ELj4E21rocsparse_complex_numIdEiiS2_S2_S2_EEvT3_20rocsparse_direction_NS_24const_host_device_scalarIT1_EES3_PKS3_PKT2_SC_S9_PKT4_PKT5_S7_PT6_21rocsparse_index_base_b.numbered_sgpr, 18
	.set _ZN9rocsparseL18bsrxmvn_4x4_kernelILj128ELj4E21rocsparse_complex_numIdEiiS2_S2_S2_EEvT3_20rocsparse_direction_NS_24const_host_device_scalarIT1_EES3_PKS3_PKT2_SC_S9_PKT4_PKT5_S7_PT6_21rocsparse_index_base_b.num_named_barrier, 0
	.set _ZN9rocsparseL18bsrxmvn_4x4_kernelILj128ELj4E21rocsparse_complex_numIdEiiS2_S2_S2_EEvT3_20rocsparse_direction_NS_24const_host_device_scalarIT1_EES3_PKS3_PKT2_SC_S9_PKT4_PKT5_S7_PT6_21rocsparse_index_base_b.private_seg_size, 0
	.set _ZN9rocsparseL18bsrxmvn_4x4_kernelILj128ELj4E21rocsparse_complex_numIdEiiS2_S2_S2_EEvT3_20rocsparse_direction_NS_24const_host_device_scalarIT1_EES3_PKS3_PKT2_SC_S9_PKT4_PKT5_S7_PT6_21rocsparse_index_base_b.uses_vcc, 1
	.set _ZN9rocsparseL18bsrxmvn_4x4_kernelILj128ELj4E21rocsparse_complex_numIdEiiS2_S2_S2_EEvT3_20rocsparse_direction_NS_24const_host_device_scalarIT1_EES3_PKS3_PKT2_SC_S9_PKT4_PKT5_S7_PT6_21rocsparse_index_base_b.uses_flat_scratch, 0
	.set _ZN9rocsparseL18bsrxmvn_4x4_kernelILj128ELj4E21rocsparse_complex_numIdEiiS2_S2_S2_EEvT3_20rocsparse_direction_NS_24const_host_device_scalarIT1_EES3_PKS3_PKT2_SC_S9_PKT4_PKT5_S7_PT6_21rocsparse_index_base_b.has_dyn_sized_stack, 0
	.set _ZN9rocsparseL18bsrxmvn_4x4_kernelILj128ELj4E21rocsparse_complex_numIdEiiS2_S2_S2_EEvT3_20rocsparse_direction_NS_24const_host_device_scalarIT1_EES3_PKS3_PKT2_SC_S9_PKT4_PKT5_S7_PT6_21rocsparse_index_base_b.has_recursion, 0
	.set _ZN9rocsparseL18bsrxmvn_4x4_kernelILj128ELj4E21rocsparse_complex_numIdEiiS2_S2_S2_EEvT3_20rocsparse_direction_NS_24const_host_device_scalarIT1_EES3_PKS3_PKT2_SC_S9_PKT4_PKT5_S7_PT6_21rocsparse_index_base_b.has_indirect_call, 0
	.section	.AMDGPU.csdata,"",@progbits
; Kernel info:
; codeLenInByte = 9588
; TotalNumSgprs: 22
; NumVgprs: 83
; ScratchSize: 0
; MemoryBound: 1
; FloatMode: 240
; IeeeMode: 1
; LDSByteSize: 0 bytes/workgroup (compile time only)
; SGPRBlocks: 2
; VGPRBlocks: 20
; NumSGPRsForWavesPerEU: 22
; NumVGPRsForWavesPerEU: 83
; Occupancy: 3
; WaveLimiterHint : 1
; COMPUTE_PGM_RSRC2:SCRATCH_EN: 0
; COMPUTE_PGM_RSRC2:USER_SGPR: 6
; COMPUTE_PGM_RSRC2:TRAP_HANDLER: 0
; COMPUTE_PGM_RSRC2:TGID_X_EN: 1
; COMPUTE_PGM_RSRC2:TGID_Y_EN: 0
; COMPUTE_PGM_RSRC2:TGID_Z_EN: 0
; COMPUTE_PGM_RSRC2:TIDIG_COMP_CNT: 0
	.section	.text._ZN9rocsparseL18bsrxmvn_4x4_kernelILj128ELj8E21rocsparse_complex_numIdEiiS2_S2_S2_EEvT3_20rocsparse_direction_NS_24const_host_device_scalarIT1_EES3_PKS3_PKT2_SC_S9_PKT4_PKT5_S7_PT6_21rocsparse_index_base_b,"axG",@progbits,_ZN9rocsparseL18bsrxmvn_4x4_kernelILj128ELj8E21rocsparse_complex_numIdEiiS2_S2_S2_EEvT3_20rocsparse_direction_NS_24const_host_device_scalarIT1_EES3_PKS3_PKT2_SC_S9_PKT4_PKT5_S7_PT6_21rocsparse_index_base_b,comdat
	.globl	_ZN9rocsparseL18bsrxmvn_4x4_kernelILj128ELj8E21rocsparse_complex_numIdEiiS2_S2_S2_EEvT3_20rocsparse_direction_NS_24const_host_device_scalarIT1_EES3_PKS3_PKT2_SC_S9_PKT4_PKT5_S7_PT6_21rocsparse_index_base_b ; -- Begin function _ZN9rocsparseL18bsrxmvn_4x4_kernelILj128ELj8E21rocsparse_complex_numIdEiiS2_S2_S2_EEvT3_20rocsparse_direction_NS_24const_host_device_scalarIT1_EES3_PKS3_PKT2_SC_S9_PKT4_PKT5_S7_PT6_21rocsparse_index_base_b
	.p2align	8
	.type	_ZN9rocsparseL18bsrxmvn_4x4_kernelILj128ELj8E21rocsparse_complex_numIdEiiS2_S2_S2_EEvT3_20rocsparse_direction_NS_24const_host_device_scalarIT1_EES3_PKS3_PKT2_SC_S9_PKT4_PKT5_S7_PT6_21rocsparse_index_base_b,@function
_ZN9rocsparseL18bsrxmvn_4x4_kernelILj128ELj8E21rocsparse_complex_numIdEiiS2_S2_S2_EEvT3_20rocsparse_direction_NS_24const_host_device_scalarIT1_EES3_PKS3_PKT2_SC_S9_PKT4_PKT5_S7_PT6_21rocsparse_index_base_b: ; @_ZN9rocsparseL18bsrxmvn_4x4_kernelILj128ELj8E21rocsparse_complex_numIdEiiS2_S2_S2_EEvT3_20rocsparse_direction_NS_24const_host_device_scalarIT1_EES3_PKS3_PKT2_SC_S9_PKT4_PKT5_S7_PT6_21rocsparse_index_base_b
; %bb.0:
	s_load_dwordx2 s[0:1], s[4:5], 0x8
	s_load_dwordx2 s[16:17], s[4:5], 0x68
	s_add_u32 s7, s4, 8
	s_addc_u32 s8, s5, 0
	s_add_u32 s9, s4, 0x50
	s_addc_u32 s10, s5, 0
	s_waitcnt lgkmcnt(0)
	s_bitcmp1_b32 s17, 0
	s_cselect_b32 s1, s8, s1
	s_cselect_b32 s0, s7, s0
	v_mov_b32_e32 v1, s0
	v_mov_b32_e32 v2, s1
	flat_load_dwordx4 v[5:8], v[1:2]
	s_load_dwordx2 s[2:3], s[4:5], 0x50
	s_waitcnt lgkmcnt(0)
	s_cselect_b32 s0, s10, s3
	s_cselect_b32 s1, s9, s2
	v_mov_b32_e32 v1, s1
	v_mov_b32_e32 v2, s0
	flat_load_dwordx4 v[1:4], v[1:2]
	s_waitcnt vmcnt(0)
	v_cmp_eq_f64_e32 vcc, 0, v[5:6]
	v_cmp_eq_f64_e64 s[0:1], 0, v[7:8]
	s_and_b64 s[8:9], vcc, s[0:1]
	s_mov_b64 s[0:1], -1
	s_and_saveexec_b64 s[2:3], s[8:9]
	s_cbranch_execz .LBB16_2
; %bb.1:
	s_waitcnt lgkmcnt(0)
	v_cmp_neq_f64_e32 vcc, 1.0, v[1:2]
	v_cmp_neq_f64_e64 s[0:1], 0, v[3:4]
	s_or_b64 s[0:1], vcc, s[0:1]
	s_orn2_b64 s[0:1], s[0:1], exec
.LBB16_2:
	s_or_b64 exec, exec, s[2:3]
	s_and_saveexec_b64 s[2:3], s[0:1]
	s_cbranch_execz .LBB16_8
; %bb.3:
	s_load_dwordx2 s[8:9], s[4:5], 0x20
	s_load_dwordx2 s[0:1], s[4:5], 0x0
	v_lshrrev_b32_e32 v9, 3, v0
	v_lshl_or_b32 v21, s6, 4, v9
	s_mov_b64 s[2:3], 0
	s_waitcnt lgkmcnt(0)
	s_cmp_lg_u64 s[8:9], 0
	s_cbranch_scc0 .LBB16_9
; %bb.4:
	s_load_dword s6, s[4:5], 0x18
                                        ; implicit-def: $vgpr9
	s_waitcnt lgkmcnt(0)
	v_cmp_gt_i32_e32 vcc, s6, v21
	s_and_saveexec_b64 s[6:7], vcc
	s_xor_b64 s[6:7], exec, s[6:7]
	s_cbranch_execz .LBB16_6
; %bb.5:
	v_ashrrev_i32_e32 v22, 31, v21
	v_lshlrev_b64 v[9:10], 2, v[21:22]
	v_mov_b32_e32 v11, s9
	v_add_co_u32_e32 v9, vcc, s8, v9
	v_addc_co_u32_e32 v10, vcc, v11, v10, vcc
	global_load_dword v9, v[9:10], off
	s_mov_b64 s[2:3], exec
	s_waitcnt vmcnt(0)
	v_subrev_u32_e32 v9, s16, v9
.LBB16_6:
	s_or_b64 exec, exec, s[6:7]
	s_branch .LBB16_10
.LBB16_7:
	v_cmp_gt_i32_e32 vcc, s0, v21
	s_andn2_b64 s[2:3], s[2:3], exec
	s_and_b64 s[6:7], vcc, exec
	s_or_b64 s[2:3], s[2:3], s[6:7]
	s_and_b64 exec, exec, s[2:3]
	s_cbranch_execnz .LBB16_11
.LBB16_8:
	s_endpgm
.LBB16_9:
                                        ; implicit-def: $vgpr9
	s_cbranch_execnz .LBB16_7
.LBB16_10:
	v_mov_b32_e32 v21, v9
	s_and_b64 exec, exec, s[2:3]
	s_cbranch_execz .LBB16_8
.LBB16_11:
	s_load_dwordx8 s[8:15], s[4:5], 0x28
	v_ashrrev_i32_e32 v22, 31, v21
	v_lshlrev_b64 v[9:10], 2, v[21:22]
	v_and_b32_e32 v0, 7, v0
	s_load_dwordx2 s[6:7], s[4:5], 0x48
	s_waitcnt lgkmcnt(0)
	v_mov_b32_e32 v12, s9
	v_add_co_u32_e32 v11, vcc, s8, v9
	v_addc_co_u32_e32 v12, vcc, v12, v10, vcc
	global_load_dword v39, v[11:12], off
	v_add_co_u32_e32 v11, vcc, 4, v11
	v_addc_co_u32_e32 v12, vcc, 0, v12, vcc
	v_mov_b32_e32 v13, s11
	v_add_co_u32_e32 v9, vcc, s10, v9
	s_cmp_eq_u64 s[10:11], 0
	v_addc_co_u32_e32 v10, vcc, v13, v10, vcc
	s_cselect_b64 vcc, -1, 0
	v_cndmask_b32_e32 v10, v10, v12, vcc
	v_cndmask_b32_e32 v9, v9, v11, vcc
	global_load_dword v10, v[9:10], off
	v_mov_b32_e32 v13, s15
	s_cmp_eq_u32 s1, 1
	s_waitcnt vmcnt(1)
	v_subrev_u32_e32 v9, s16, v39
	v_add_u32_e32 v9, v9, v0
	s_waitcnt vmcnt(0)
	v_subrev_u32_e32 v38, s16, v10
	v_ashrrev_i32_e32 v10, 31, v9
	v_lshlrev_b64 v[11:12], 8, v[9:10]
	v_cmp_lt_i32_e64 s[0:1], v9, v38
	v_add_co_u32_e32 v11, vcc, s14, v11
	v_addc_co_u32_e32 v12, vcc, v13, v12, vcc
	s_cbranch_scc1 .LBB16_23
; %bb.12:
	v_mov_b32_e32 v19, 0
	v_mov_b32_e32 v24, 0
	;; [unrolled: 1-line block ×16, first 2 shown]
	s_and_saveexec_b64 s[8:9], s[0:1]
	s_cbranch_execz .LBB16_22
; %bb.13:
	v_add_u32_e32 v10, v39, v0
	v_subrev_u32_e32 v10, s16, v10
	v_add_u32_e32 v10, 8, v10
	v_max_i32_e32 v10, v10, v38
	v_not_b32_e32 v13, v39
	v_add3_u32 v10, s16, v10, v13
	v_sub_u32_e32 v10, v10, v0
	v_and_b32_e32 v13, 24, v10
	v_mov_b32_e32 v22, 0
	v_mov_b32_e32 v26, 0
	;; [unrolled: 1-line block ×9, first 2 shown]
	v_cmp_ne_u32_e32 vcc, 24, v13
	v_mov_b32_e32 v23, 0
	v_mov_b32_e32 v27, 0
	;; [unrolled: 1-line block ×10, first 2 shown]
	s_and_saveexec_b64 s[10:11], vcc
	s_cbranch_execz .LBB16_17
; %bb.14:
	v_lshrrev_b32_e32 v13, 3, v10
	v_add_u32_e32 v13, 1, v13
	v_and_b32_e32 v13, 3, v13
	v_mov_b32_e32 v19, 0
	v_mov_b32_e32 v24, 0
	;; [unrolled: 1-line block ×9, first 2 shown]
	v_sub_u32_e32 v34, 0, v13
	v_mov_b32_e32 v20, 0
	s_mov_b64 s[14:15], 0
	v_mov_b32_e32 v35, s13
	v_mov_b32_e32 v36, s7
	;; [unrolled: 1-line block ×11, first 2 shown]
.LBB16_15:                              ; =>This Inner Loop Header: Depth=1
	v_ashrrev_i32_e32 v14, 31, v13
	v_lshlrev_b64 v[44:45], 2, v[13:14]
	global_load_dwordx4 v[40:43], v[15:16], off
	v_add_co_u32_e32 v44, vcc, s12, v44
	v_addc_co_u32_e32 v45, vcc, v35, v45, vcc
	global_load_dword v14, v[44:45], off
	v_add_co_u32_e64 v34, s[2:3], 1, v34
	s_or_b64 s[14:15], s[2:3], s[14:15]
	v_add_u32_e32 v13, 8, v13
	s_waitcnt vmcnt(0)
	v_subrev_u32_e32 v14, s16, v14
	v_lshlrev_b32_e32 v44, 2, v14
	v_ashrrev_i32_e32 v45, 31, v44
	v_lshlrev_b64 v[44:45], 4, v[44:45]
	v_add_co_u32_e32 v48, vcc, s6, v44
	v_addc_co_u32_e32 v49, vcc, v36, v45, vcc
	global_load_dwordx4 v[44:47], v[48:49], off
	s_waitcnt vmcnt(0)
	v_fma_f64 v[24:25], v[40:41], v[44:45], v[24:25]
	v_fma_f64 v[19:20], v[42:43], v[44:45], v[19:20]
	v_fma_f64 v[50:51], -v[42:43], v[46:47], v[24:25]
	v_fma_f64 v[52:53], v[40:41], v[46:47], v[19:20]
	global_load_dwordx4 v[40:43], v[15:16], off offset:64
	s_waitcnt vmcnt(0)
	v_fma_f64 v[22:23], v[42:43], v[44:45], v[22:23]
	v_fma_f64 v[19:20], v[40:41], v[44:45], v[26:27]
	;; [unrolled: 1-line block ×3, first 2 shown]
	global_load_dwordx4 v[22:25], v[15:16], off offset:128
	v_fma_f64 v[26:27], -v[42:43], v[46:47], v[19:20]
	s_waitcnt vmcnt(0)
	v_fma_f64 v[19:20], v[22:23], v[44:45], v[30:31]
	v_fma_f64 v[28:29], v[24:25], v[44:45], v[28:29]
	v_fma_f64 v[30:31], -v[24:25], v[46:47], v[19:20]
	v_fma_f64 v[28:29], v[22:23], v[46:47], v[28:29]
	global_load_dwordx4 v[22:25], v[15:16], off offset:192
	s_waitcnt vmcnt(0)
	v_fma_f64 v[17:18], v[22:23], v[44:45], v[17:18]
	v_fma_f64 v[19:20], v[24:25], v[44:45], v[32:33]
	v_fma_f64 v[32:33], -v[24:25], v[46:47], v[17:18]
	v_fma_f64 v[42:43], v[22:23], v[46:47], v[19:20]
	global_load_dwordx4 v[17:20], v[15:16], off offset:16
	global_load_dwordx4 v[22:25], v[48:49], off offset:16
	s_waitcnt vmcnt(0)
	v_fma_f64 v[44:45], v[17:18], v[22:23], v[50:51]
	v_fma_f64 v[46:47], v[19:20], v[22:23], v[52:53]
	v_fma_f64 v[44:45], -v[19:20], v[24:25], v[44:45]
	v_fma_f64 v[46:47], v[17:18], v[24:25], v[46:47]
	global_load_dwordx4 v[17:20], v[15:16], off offset:80
	s_waitcnt vmcnt(0)
	v_fma_f64 v[26:27], v[17:18], v[22:23], v[26:27]
	v_fma_f64 v[40:41], v[19:20], v[22:23], v[40:41]
	v_fma_f64 v[26:27], -v[19:20], v[24:25], v[26:27]
	v_fma_f64 v[40:41], v[17:18], v[24:25], v[40:41]
	;; [unrolled: 6-line block ×4, first 2 shown]
	global_load_dwordx4 v[17:20], v[15:16], off offset:32
	global_load_dwordx4 v[22:25], v[48:49], off offset:32
	s_waitcnt vmcnt(0)
	v_fma_f64 v[44:45], v[17:18], v[22:23], v[44:45]
	v_fma_f64 v[46:47], v[19:20], v[22:23], v[46:47]
	v_fma_f64 v[44:45], -v[19:20], v[24:25], v[44:45]
	v_fma_f64 v[46:47], v[17:18], v[24:25], v[46:47]
	global_load_dwordx4 v[17:20], v[15:16], off offset:96
	s_waitcnt vmcnt(0)
	v_fma_f64 v[26:27], v[17:18], v[22:23], v[26:27]
	v_fma_f64 v[40:41], v[19:20], v[22:23], v[40:41]
	v_fma_f64 v[26:27], -v[19:20], v[24:25], v[26:27]
	v_fma_f64 v[50:51], v[17:18], v[24:25], v[40:41]
	global_load_dwordx4 v[17:20], v[15:16], off offset:160
	s_waitcnt vmcnt(0)
	v_fma_f64 v[30:31], v[17:18], v[22:23], v[30:31]
	v_fma_f64 v[28:29], v[19:20], v[22:23], v[28:29]
	v_fma_f64 v[52:53], -v[19:20], v[24:25], v[30:31]
	v_fma_f64 v[54:55], v[17:18], v[24:25], v[28:29]
	global_load_dwordx4 v[17:20], v[15:16], off offset:224
	s_waitcnt vmcnt(0)
	v_fma_f64 v[28:29], v[17:18], v[22:23], v[32:33]
	v_fma_f64 v[22:23], v[19:20], v[22:23], v[42:43]
	v_fma_f64 v[32:33], -v[19:20], v[24:25], v[28:29]
	v_fma_f64 v[56:57], v[17:18], v[24:25], v[22:23]
	global_load_dwordx4 v[17:20], v[15:16], off offset:48
	global_load_dwordx4 v[28:31], v[15:16], off offset:112
	;; [unrolled: 1-line block ×3, first 2 shown]
	s_waitcnt vmcnt(0)
	v_fma_f64 v[22:23], v[17:18], v[40:41], v[44:45]
	v_fma_f64 v[44:45], v[19:20], v[40:41], v[46:47]
	v_fma_f64 v[24:25], -v[19:20], v[42:43], v[22:23]
	v_fma_f64 v[19:20], v[17:18], v[42:43], v[44:45]
	global_load_dwordx4 v[44:47], v[15:16], off offset:176
	v_fma_f64 v[22:23], v[30:31], v[40:41], v[50:51]
	global_load_dwordx4 v[48:51], v[15:16], off offset:240
	v_fma_f64 v[17:18], v[28:29], v[40:41], v[26:27]
	v_add_co_u32_e32 v15, vcc, 0x800, v15
	v_addc_co_u32_e32 v16, vcc, 0, v16, vcc
	v_fma_f64 v[22:23], v[28:29], v[42:43], v[22:23]
	v_fma_f64 v[26:27], -v[30:31], v[42:43], v[17:18]
	s_waitcnt vmcnt(1)
	v_fma_f64 v[17:18], v[44:45], v[40:41], v[52:53]
	v_fma_f64 v[28:29], v[46:47], v[40:41], v[54:55]
	s_waitcnt vmcnt(0)
	v_fma_f64 v[32:33], v[48:49], v[40:41], v[32:33]
	v_fma_f64 v[40:41], v[50:51], v[40:41], v[56:57]
	v_fma_f64 v[30:31], -v[46:47], v[42:43], v[17:18]
	v_fma_f64 v[28:29], v[44:45], v[42:43], v[28:29]
	v_fma_f64 v[17:18], -v[50:51], v[42:43], v[32:33]
	v_fma_f64 v[32:33], v[48:49], v[42:43], v[40:41]
	s_andn2_b64 exec, exec, s[14:15]
	s_cbranch_execnz .LBB16_15
; %bb.16:
	s_or_b64 exec, exec, s[14:15]
.LBB16_17:
	s_or_b64 exec, exec, s[10:11]
	v_cmp_lt_u32_e32 vcc, 23, v10
	s_and_saveexec_b64 s[10:11], vcc
	s_cbranch_execz .LBB16_21
; %bb.18:
	s_mov_b64 s[14:15], 0
	v_mov_b32_e32 v10, s13
	v_mov_b32_e32 v40, s7
	s_movk_i32 s17, 0x1000
.LBB16_19:                              ; =>This Inner Loop Header: Depth=1
	v_ashrrev_i32_e32 v14, 31, v13
	v_lshlrev_b64 v[34:35], 2, v[13:14]
	v_add_u32_e32 v13, 32, v13
	v_add_co_u32_e32 v36, vcc, s12, v34
	v_addc_co_u32_e32 v37, vcc, v10, v35, vcc
	global_load_dword v14, v[36:37], off
	global_load_dwordx4 v[41:44], v[15:16], off offset:48
	global_load_dwordx4 v[45:48], v[15:16], off offset:32
	global_load_dwordx4 v[49:52], v[15:16], off offset:16
	global_load_dwordx4 v[53:56], v[15:16], off
	v_cmp_ge_i32_e64 s[2:3], v13, v38
	s_or_b64 s[14:15], s[2:3], s[14:15]
	s_waitcnt vmcnt(4)
	v_subrev_u32_e32 v14, s16, v14
	v_lshlrev_b32_e32 v34, 2, v14
	v_ashrrev_i32_e32 v35, 31, v34
	v_lshlrev_b64 v[34:35], 4, v[34:35]
	v_add_co_u32_e32 v34, vcc, s6, v34
	v_addc_co_u32_e32 v35, vcc, v40, v35, vcc
	global_load_dwordx4 v[57:60], v[34:35], off offset:48
	global_load_dwordx4 v[61:64], v[34:35], off offset:32
	;; [unrolled: 1-line block ×3, first 2 shown]
	global_load_dwordx4 v[69:72], v[34:35], off
	s_waitcnt vmcnt(0)
	v_fma_f64 v[24:25], v[53:54], v[69:70], v[24:25]
	v_fma_f64 v[19:20], v[55:56], v[69:70], v[19:20]
	v_fma_f64 v[24:25], -v[55:56], v[71:72], v[24:25]
	v_fma_f64 v[19:20], v[53:54], v[71:72], v[19:20]
	v_fma_f64 v[24:25], v[49:50], v[65:66], v[24:25]
	v_fma_f64 v[19:20], v[51:52], v[65:66], v[19:20]
	v_fma_f64 v[24:25], -v[51:52], v[67:68], v[24:25]
	v_fma_f64 v[19:20], v[49:50], v[67:68], v[19:20]
	;; [unrolled: 4-line block ×4, first 2 shown]
	global_load_dwordx4 v[41:44], v[15:16], off offset:112
	global_load_dwordx4 v[45:48], v[15:16], off offset:96
	;; [unrolled: 1-line block ×4, first 2 shown]
	s_waitcnt vmcnt(0)
	v_fma_f64 v[19:20], v[53:54], v[69:70], v[26:27]
	v_fma_f64 v[22:23], v[55:56], v[69:70], v[22:23]
	v_fma_f64 v[19:20], -v[55:56], v[71:72], v[19:20]
	v_fma_f64 v[22:23], v[53:54], v[71:72], v[22:23]
	v_fma_f64 v[19:20], v[49:50], v[65:66], v[19:20]
	v_fma_f64 v[22:23], v[51:52], v[65:66], v[22:23]
	v_fma_f64 v[19:20], -v[51:52], v[67:68], v[19:20]
	v_fma_f64 v[22:23], v[49:50], v[67:68], v[22:23]
	;; [unrolled: 4-line block ×3, first 2 shown]
	v_fma_f64 v[19:20], v[41:42], v[57:58], v[19:20]
	v_fma_f64 v[75:76], -v[43:44], v[59:60], v[19:20]
	v_fma_f64 v[19:20], v[43:44], v[57:58], v[22:23]
	v_fma_f64 v[77:78], v[41:42], v[59:60], v[19:20]
	global_load_dwordx4 v[22:25], v[15:16], off offset:176
	global_load_dwordx4 v[41:44], v[15:16], off offset:160
	;; [unrolled: 1-line block ×4, first 2 shown]
	s_waitcnt vmcnt(0)
	v_fma_f64 v[19:20], v[49:50], v[69:70], v[30:31]
	v_fma_f64 v[26:27], v[51:52], v[69:70], v[28:29]
	v_fma_f64 v[19:20], -v[51:52], v[71:72], v[19:20]
	v_fma_f64 v[26:27], v[49:50], v[71:72], v[26:27]
	v_fma_f64 v[19:20], v[45:46], v[65:66], v[19:20]
	v_fma_f64 v[26:27], v[47:48], v[65:66], v[26:27]
	v_fma_f64 v[19:20], -v[47:48], v[67:68], v[19:20]
	v_fma_f64 v[26:27], v[45:46], v[67:68], v[26:27]
	;; [unrolled: 4-line block ×3, first 2 shown]
	v_fma_f64 v[19:20], v[22:23], v[57:58], v[19:20]
	v_fma_f64 v[79:80], -v[24:25], v[59:60], v[19:20]
	v_fma_f64 v[19:20], v[24:25], v[57:58], v[26:27]
	v_fma_f64 v[81:82], v[22:23], v[59:60], v[19:20]
	global_load_dwordx4 v[22:25], v[15:16], off offset:240
	global_load_dwordx4 v[26:29], v[15:16], off offset:224
	;; [unrolled: 1-line block ×4, first 2 shown]
	global_load_dword v14, v[36:37], off offset:32
	s_waitcnt vmcnt(1)
	v_fma_f64 v[17:18], v[45:46], v[69:70], v[17:18]
	v_fma_f64 v[19:20], v[47:48], v[69:70], v[32:33]
	s_waitcnt vmcnt(0)
	v_subrev_u32_e32 v14, s16, v14
	v_fma_f64 v[17:18], -v[47:48], v[71:72], v[17:18]
	v_fma_f64 v[19:20], v[45:46], v[71:72], v[19:20]
	v_fma_f64 v[17:18], v[41:42], v[65:66], v[17:18]
	v_fma_f64 v[19:20], v[43:44], v[65:66], v[19:20]
	v_fma_f64 v[17:18], -v[43:44], v[67:68], v[17:18]
	v_fma_f64 v[19:20], v[41:42], v[67:68], v[19:20]
	v_lshlrev_b32_e32 v41, 2, v14
	v_ashrrev_i32_e32 v42, 31, v41
	v_lshlrev_b64 v[41:42], 4, v[41:42]
	v_fma_f64 v[17:18], v[26:27], v[61:62], v[17:18]
	v_fma_f64 v[19:20], v[28:29], v[61:62], v[19:20]
	v_fma_f64 v[17:18], -v[28:29], v[63:64], v[17:18]
	v_fma_f64 v[19:20], v[26:27], v[63:64], v[19:20]
	v_fma_f64 v[17:18], v[22:23], v[57:58], v[17:18]
	v_fma_f64 v[61:62], -v[24:25], v[59:60], v[17:18]
	v_fma_f64 v[17:18], v[24:25], v[57:58], v[19:20]
	v_fma_f64 v[57:58], v[22:23], v[59:60], v[17:18]
	v_add_co_u32_e32 v59, vcc, s6, v41
	v_addc_co_u32_e32 v60, vcc, v40, v42, vcc
	global_load_dwordx4 v[17:20], v[15:16], off offset:2096
	global_load_dwordx4 v[22:25], v[15:16], off offset:2080
	;; [unrolled: 1-line block ×7, first 2 shown]
	global_load_dwordx4 v[53:56], v[59:60], off
	s_waitcnt vmcnt(0)
	v_fma_f64 v[34:35], v[30:31], v[53:54], v[34:35]
	v_fma_f64 v[34:35], -v[32:33], v[55:56], v[34:35]
	v_fma_f64 v[32:33], v[32:33], v[53:54], v[73:74]
	v_fma_f64 v[30:31], v[30:31], v[55:56], v[32:33]
	v_fma_f64 v[32:33], v[26:27], v[49:50], v[34:35]
	v_fma_f64 v[32:33], -v[28:29], v[51:52], v[32:33]
	v_fma_f64 v[28:29], v[28:29], v[49:50], v[30:31]
	v_fma_f64 v[26:27], v[26:27], v[51:52], v[28:29]
	v_fma_f64 v[28:29], v[22:23], v[45:46], v[32:33]
	v_fma_f64 v[28:29], -v[24:25], v[47:48], v[28:29]
	v_fma_f64 v[24:25], v[24:25], v[45:46], v[26:27]
	v_fma_f64 v[22:23], v[22:23], v[47:48], v[24:25]
	v_fma_f64 v[24:25], v[17:18], v[41:42], v[28:29]
	v_fma_f64 v[34:35], -v[19:20], v[43:44], v[24:25]
	v_fma_f64 v[19:20], v[19:20], v[41:42], v[22:23]
	v_fma_f64 v[63:64], v[17:18], v[43:44], v[19:20]
	global_load_dwordx4 v[17:20], v[15:16], off offset:2160
	global_load_dwordx4 v[22:25], v[15:16], off offset:2144
	global_load_dwordx4 v[26:29], v[15:16], off offset:2128
	global_load_dwordx4 v[30:33], v[15:16], off offset:2112
	s_waitcnt vmcnt(0)
	v_fma_f64 v[59:60], v[30:31], v[53:54], v[75:76]
	v_fma_f64 v[59:60], -v[32:33], v[55:56], v[59:60]
	v_fma_f64 v[32:33], v[32:33], v[53:54], v[77:78]
	v_fma_f64 v[30:31], v[30:31], v[55:56], v[32:33]
	v_fma_f64 v[32:33], v[26:27], v[49:50], v[59:60]
	v_fma_f64 v[32:33], -v[28:29], v[51:52], v[32:33]
	v_fma_f64 v[28:29], v[28:29], v[49:50], v[30:31]
	v_fma_f64 v[26:27], v[26:27], v[51:52], v[28:29]
	v_fma_f64 v[28:29], v[22:23], v[45:46], v[32:33]
	v_fma_f64 v[28:29], -v[24:25], v[47:48], v[28:29]
	v_fma_f64 v[24:25], v[24:25], v[45:46], v[26:27]
	v_fma_f64 v[22:23], v[22:23], v[47:48], v[24:25]
	v_fma_f64 v[24:25], v[17:18], v[41:42], v[28:29]
	v_fma_f64 v[65:66], -v[19:20], v[43:44], v[24:25]
	v_fma_f64 v[19:20], v[19:20], v[41:42], v[22:23]
	v_fma_f64 v[67:68], v[17:18], v[43:44], v[19:20]
	global_load_dwordx4 v[17:20], v[15:16], off offset:2224
	global_load_dwordx4 v[22:25], v[15:16], off offset:2208
	global_load_dwordx4 v[26:29], v[15:16], off offset:2192
	global_load_dwordx4 v[30:33], v[15:16], off offset:2176
	;; [unrolled: 21-line block ×3, first 2 shown]
	global_load_dword v14, v[36:37], off offset:64
	s_waitcnt vmcnt(1)
	v_fma_f64 v[59:60], v[30:31], v[53:54], v[61:62]
	s_waitcnt vmcnt(0)
	v_subrev_u32_e32 v14, s16, v14
	v_fma_f64 v[59:60], -v[32:33], v[55:56], v[59:60]
	v_fma_f64 v[32:33], v[32:33], v[53:54], v[57:58]
	v_fma_f64 v[30:31], v[30:31], v[55:56], v[32:33]
	v_fma_f64 v[32:33], v[26:27], v[49:50], v[59:60]
	v_fma_f64 v[32:33], -v[28:29], v[51:52], v[32:33]
	v_fma_f64 v[28:29], v[28:29], v[49:50], v[30:31]
	v_fma_f64 v[26:27], v[26:27], v[51:52], v[28:29]
	v_fma_f64 v[28:29], v[22:23], v[45:46], v[32:33]
	;; [unrolled: 4-line block ×3, first 2 shown]
	v_fma_f64 v[73:74], -v[19:20], v[43:44], v[24:25]
	v_fma_f64 v[19:20], v[19:20], v[41:42], v[22:23]
	v_fma_f64 v[75:76], v[17:18], v[43:44], v[19:20]
	v_lshlrev_b32_e32 v19, 2, v14
	v_ashrrev_i32_e32 v20, 31, v19
	v_add_co_u32_e32 v17, vcc, s17, v15
	v_lshlrev_b64 v[19:20], 4, v[19:20]
	v_addc_co_u32_e32 v18, vcc, 0, v16, vcc
	v_add_co_u32_e32 v19, vcc, s6, v19
	v_addc_co_u32_e32 v20, vcc, v40, v20, vcc
	global_load_dwordx4 v[22:25], v[17:18], off
	global_load_dwordx4 v[26:29], v[17:18], off offset:48
	global_load_dwordx4 v[30:33], v[17:18], off offset:32
	;; [unrolled: 1-line block ×6, first 2 shown]
	global_load_dwordx4 v[57:60], v[19:20], off
	s_waitcnt vmcnt(0)
	v_fma_f64 v[19:20], v[22:23], v[57:58], v[34:35]
	v_fma_f64 v[19:20], -v[24:25], v[59:60], v[19:20]
	v_fma_f64 v[24:25], v[24:25], v[57:58], v[63:64]
	v_fma_f64 v[19:20], v[41:42], v[53:54], v[19:20]
	v_fma_f64 v[22:23], v[22:23], v[59:60], v[24:25]
	v_fma_f64 v[19:20], -v[43:44], v[55:56], v[19:20]
	v_fma_f64 v[22:23], v[43:44], v[53:54], v[22:23]
	v_fma_f64 v[19:20], v[30:31], v[49:50], v[19:20]
	;; [unrolled: 4-line block ×4, first 2 shown]
	global_load_dwordx4 v[26:29], v[17:18], off offset:112
	global_load_dwordx4 v[30:33], v[17:18], off offset:96
	;; [unrolled: 1-line block ×4, first 2 shown]
	s_waitcnt vmcnt(0)
	v_fma_f64 v[22:23], v[61:62], v[57:58], v[65:66]
	v_fma_f64 v[34:35], v[63:64], v[57:58], v[67:68]
	v_fma_f64 v[22:23], -v[63:64], v[59:60], v[22:23]
	v_fma_f64 v[34:35], v[61:62], v[59:60], v[34:35]
	v_fma_f64 v[22:23], v[41:42], v[53:54], v[22:23]
	;; [unrolled: 1-line block ×3, first 2 shown]
	v_fma_f64 v[22:23], -v[43:44], v[55:56], v[22:23]
	v_fma_f64 v[34:35], v[41:42], v[55:56], v[34:35]
	v_fma_f64 v[22:23], v[30:31], v[49:50], v[22:23]
	v_fma_f64 v[22:23], -v[32:33], v[51:52], v[22:23]
	v_fma_f64 v[32:33], v[32:33], v[49:50], v[34:35]
	v_fma_f64 v[22:23], v[26:27], v[45:46], v[22:23]
	;; [unrolled: 1-line block ×3, first 2 shown]
	v_fma_f64 v[22:23], -v[28:29], v[47:48], v[22:23]
	v_fma_f64 v[28:29], v[28:29], v[45:46], v[30:31]
	global_load_dwordx4 v[30:33], v[17:18], off offset:176
	global_load_dwordx4 v[41:44], v[17:18], off offset:160
	global_load_dwordx4 v[61:64], v[17:18], off offset:144
	global_load_dwordx4 v[65:68], v[17:18], off offset:128
	v_fma_f64 v[26:27], v[26:27], v[47:48], v[28:29]
	s_waitcnt vmcnt(0)
	v_fma_f64 v[28:29], v[65:66], v[57:58], v[69:70]
	v_fma_f64 v[34:35], v[67:68], v[57:58], v[71:72]
	v_fma_f64 v[28:29], -v[67:68], v[59:60], v[28:29]
	v_fma_f64 v[34:35], v[65:66], v[59:60], v[34:35]
	v_fma_f64 v[28:29], v[61:62], v[53:54], v[28:29]
	v_fma_f64 v[34:35], v[63:64], v[53:54], v[34:35]
	v_fma_f64 v[28:29], -v[63:64], v[55:56], v[28:29]
	v_fma_f64 v[34:35], v[61:62], v[55:56], v[34:35]
	;; [unrolled: 4-line block ×3, first 2 shown]
	v_fma_f64 v[28:29], v[30:31], v[45:46], v[28:29]
	v_fma_f64 v[28:29], -v[32:33], v[47:48], v[28:29]
	v_fma_f64 v[32:33], v[32:33], v[45:46], v[34:35]
	v_fma_f64 v[30:31], v[30:31], v[47:48], v[32:33]
	global_load_dwordx4 v[41:44], v[17:18], off offset:240
	global_load_dwordx4 v[32:35], v[17:18], off offset:224
	;; [unrolled: 1-line block ×4, first 2 shown]
	global_load_dword v14, v[36:37], off offset:96
	s_waitcnt vmcnt(1)
	v_fma_f64 v[69:70], v[65:66], v[57:58], v[73:74]
	v_fma_f64 v[57:58], v[67:68], v[57:58], v[75:76]
	s_waitcnt vmcnt(0)
	v_subrev_u32_e32 v14, s16, v14
	v_lshlrev_b32_e32 v36, 2, v14
	v_ashrrev_i32_e32 v37, 31, v36
	v_lshlrev_b64 v[36:37], 4, v[36:37]
	v_add_co_u32_e32 v36, vcc, s6, v36
	v_fma_f64 v[69:70], -v[67:68], v[59:60], v[69:70]
	v_fma_f64 v[57:58], v[65:66], v[59:60], v[57:58]
	v_addc_co_u32_e32 v37, vcc, v40, v37, vcc
	v_add_co_u32_e32 v15, vcc, 0x2000, v15
	v_addc_co_u32_e32 v16, vcc, 0, v16, vcc
	v_fma_f64 v[59:60], v[61:62], v[53:54], v[69:70]
	v_fma_f64 v[53:54], v[63:64], v[53:54], v[57:58]
	v_fma_f64 v[59:60], -v[63:64], v[55:56], v[59:60]
	v_fma_f64 v[53:54], v[61:62], v[55:56], v[53:54]
	v_fma_f64 v[55:56], v[32:33], v[49:50], v[59:60]
	v_fma_f64 v[55:56], -v[34:35], v[51:52], v[55:56]
	v_fma_f64 v[34:35], v[34:35], v[49:50], v[53:54]
	v_fma_f64 v[32:33], v[32:33], v[51:52], v[34:35]
	;; [unrolled: 1-line block ×4, first 2 shown]
	v_fma_f64 v[34:35], -v[43:44], v[47:48], v[34:35]
	v_fma_f64 v[32:33], v[41:42], v[47:48], v[32:33]
	global_load_dwordx4 v[41:44], v[17:18], off offset:2096
	global_load_dwordx4 v[45:48], v[17:18], off offset:2080
	;; [unrolled: 1-line block ×7, first 2 shown]
	global_load_dwordx4 v[69:72], v[36:37], off
	s_waitcnt vmcnt(0)
	v_fma_f64 v[19:20], v[53:54], v[69:70], v[19:20]
	v_fma_f64 v[24:25], v[55:56], v[69:70], v[24:25]
	v_fma_f64 v[19:20], -v[55:56], v[71:72], v[19:20]
	v_fma_f64 v[24:25], v[53:54], v[71:72], v[24:25]
	v_fma_f64 v[19:20], v[49:50], v[65:66], v[19:20]
	v_fma_f64 v[24:25], v[51:52], v[65:66], v[24:25]
	v_fma_f64 v[19:20], -v[51:52], v[67:68], v[19:20]
	v_fma_f64 v[24:25], v[49:50], v[67:68], v[24:25]
	v_fma_f64 v[19:20], v[45:46], v[61:62], v[19:20]
	v_fma_f64 v[24:25], v[47:48], v[61:62], v[24:25]
	v_fma_f64 v[19:20], -v[47:48], v[63:64], v[19:20]
	v_fma_f64 v[36:37], v[45:46], v[63:64], v[24:25]
	v_fma_f64 v[19:20], v[41:42], v[57:58], v[19:20]
	v_fma_f64 v[24:25], -v[43:44], v[59:60], v[19:20]
	v_fma_f64 v[19:20], v[43:44], v[57:58], v[36:37]
	v_fma_f64 v[19:20], v[41:42], v[59:60], v[19:20]
	global_load_dwordx4 v[41:44], v[17:18], off offset:2160
	global_load_dwordx4 v[45:48], v[17:18], off offset:2144
	global_load_dwordx4 v[49:52], v[17:18], off offset:2128
	global_load_dwordx4 v[53:56], v[17:18], off offset:2112
	s_waitcnt vmcnt(0)
	v_fma_f64 v[22:23], v[53:54], v[69:70], v[22:23]
	v_fma_f64 v[26:27], v[55:56], v[69:70], v[26:27]
	v_fma_f64 v[22:23], -v[55:56], v[71:72], v[22:23]
	v_fma_f64 v[26:27], v[53:54], v[71:72], v[26:27]
	v_fma_f64 v[22:23], v[49:50], v[65:66], v[22:23]
	v_fma_f64 v[26:27], v[51:52], v[65:66], v[26:27]
	v_fma_f64 v[22:23], -v[51:52], v[67:68], v[22:23]
	v_fma_f64 v[26:27], v[49:50], v[67:68], v[26:27]
	v_fma_f64 v[22:23], v[45:46], v[61:62], v[22:23]
	v_fma_f64 v[26:27], v[47:48], v[61:62], v[26:27]
	v_fma_f64 v[22:23], -v[47:48], v[63:64], v[22:23]
	v_fma_f64 v[36:37], v[45:46], v[63:64], v[26:27]
	v_fma_f64 v[22:23], v[41:42], v[57:58], v[22:23]
	v_fma_f64 v[26:27], -v[43:44], v[59:60], v[22:23]
	v_fma_f64 v[22:23], v[43:44], v[57:58], v[36:37]
	v_fma_f64 v[22:23], v[41:42], v[59:60], v[22:23]
	global_load_dwordx4 v[41:44], v[17:18], off offset:2224
	global_load_dwordx4 v[45:48], v[17:18], off offset:2208
	global_load_dwordx4 v[49:52], v[17:18], off offset:2192
	global_load_dwordx4 v[53:56], v[17:18], off offset:2176
	;; [unrolled: 21-line block ×3, first 2 shown]
	s_waitcnt vmcnt(0)
	v_fma_f64 v[17:18], v[53:54], v[69:70], v[34:35]
	v_fma_f64 v[32:33], v[55:56], v[69:70], v[32:33]
	v_fma_f64 v[17:18], -v[55:56], v[71:72], v[17:18]
	v_fma_f64 v[32:33], v[53:54], v[71:72], v[32:33]
	v_fma_f64 v[17:18], v[49:50], v[65:66], v[17:18]
	v_fma_f64 v[32:33], v[51:52], v[65:66], v[32:33]
	v_fma_f64 v[17:18], -v[51:52], v[67:68], v[17:18]
	v_fma_f64 v[32:33], v[49:50], v[67:68], v[32:33]
	;; [unrolled: 4-line block ×4, first 2 shown]
	s_andn2_b64 exec, exec, s[14:15]
	s_cbranch_execnz .LBB16_19
; %bb.20:
	s_or_b64 exec, exec, s[14:15]
.LBB16_21:
	s_or_b64 exec, exec, s[10:11]
.LBB16_22:
	s_or_b64 exec, exec, s[8:9]
	s_cbranch_execz .LBB16_24
	s_branch .LBB16_35
.LBB16_23:
                                        ; implicit-def: $vgpr19_vgpr20
                                        ; implicit-def: $vgpr24_vgpr25
                                        ; implicit-def: $vgpr17_vgpr18
                                        ; implicit-def: $vgpr32_vgpr33
                                        ; implicit-def: $vgpr30_vgpr31
                                        ; implicit-def: $vgpr28_vgpr29
                                        ; implicit-def: $vgpr26_vgpr27
                                        ; implicit-def: $vgpr22_vgpr23
.LBB16_24:
	v_mov_b32_e32 v19, 0
	v_mov_b32_e32 v24, 0
	;; [unrolled: 1-line block ×16, first 2 shown]
	s_and_saveexec_b64 s[2:3], s[0:1]
	s_cbranch_execz .LBB16_34
; %bb.25:
	v_add_u32_e32 v10, v39, v0
	v_subrev_u32_e32 v10, s16, v10
	v_add_u32_e32 v10, 8, v10
	v_max_i32_e32 v10, v10, v38
	v_not_b32_e32 v13, v39
	v_add3_u32 v10, s16, v10, v13
	v_sub_u32_e32 v13, v10, v0
	v_and_b32_e32 v10, 24, v13
	v_mov_b32_e32 v22, 0
	v_mov_b32_e32 v26, 0
	;; [unrolled: 1-line block ×16, first 2 shown]
	v_cmp_ne_u32_e32 vcc, 24, v10
	s_and_saveexec_b64 s[8:9], vcc
	s_cbranch_execz .LBB16_29
; %bb.26:
	v_lshrrev_b32_e32 v10, 3, v13
	v_add_u32_e32 v10, 1, v10
	v_and_b32_e32 v10, 3, v10
	v_mov_b32_e32 v19, 0
	v_mov_b32_e32 v24, 0
	v_mov_b32_e32 v17, 0
	v_mov_b32_e32 v32, 0
	v_mov_b32_e32 v30, 0
	v_mov_b32_e32 v28, 0
	v_mov_b32_e32 v26, 0
	v_mov_b32_e32 v22, 0
	v_sub_u32_e32 v14, 0, v10
	v_mov_b32_e32 v20, 0
	s_mov_b64 s[10:11], 0
	v_mov_b32_e32 v15, s13
	v_mov_b32_e32 v25, 0
	;; [unrolled: 1-line block ×9, first 2 shown]
.LBB16_27:                              ; =>This Inner Loop Header: Depth=1
	v_ashrrev_i32_e32 v10, 31, v9
	v_lshlrev_b64 v[59:60], 2, v[9:10]
	global_load_dwordx4 v[34:37], v[11:12], off offset:48
	global_load_dwordx4 v[39:42], v[11:12], off offset:32
	;; [unrolled: 1-line block ×3, first 2 shown]
	global_load_dwordx4 v[47:50], v[11:12], off
	global_load_dwordx4 v[51:54], v[11:12], off offset:112
	global_load_dwordx4 v[55:58], v[11:12], off offset:96
	v_add_co_u32_e32 v59, vcc, s12, v59
	v_addc_co_u32_e32 v60, vcc, v15, v60, vcc
	global_load_dword v10, v[59:60], off
	v_add_co_u32_e64 v14, s[0:1], 1, v14
	s_or_b64 s[10:11], s[0:1], s[10:11]
	v_add_u32_e32 v9, 8, v9
	s_waitcnt vmcnt(0)
	v_subrev_u32_e32 v10, s16, v10
	v_lshlrev_b32_e32 v59, 2, v10
	v_ashrrev_i32_e32 v60, 31, v59
	v_lshlrev_b64 v[59:60], 4, v[59:60]
	v_add_co_u32_e32 v63, vcc, s6, v59
	v_addc_co_u32_e32 v64, vcc, v16, v60, vcc
	global_load_dwordx4 v[59:62], v[63:64], off
	s_waitcnt vmcnt(0)
	v_fma_f64 v[19:20], v[49:50], v[59:60], v[19:20]
	v_fma_f64 v[22:23], v[45:46], v[59:60], v[22:23]
	;; [unrolled: 1-line block ×7, first 2 shown]
	v_fma_f64 v[65:66], -v[49:50], v[61:62], v[24:25]
	global_load_dwordx4 v[47:50], v[11:12], off offset:80
	v_fma_f64 v[43:44], v[43:44], v[61:62], v[22:23]
	global_load_dwordx4 v[22:25], v[11:12], off offset:64
	v_fma_f64 v[45:46], -v[45:46], v[61:62], v[19:20]
	v_fma_f64 v[19:20], v[39:40], v[59:60], v[30:31]
	v_fma_f64 v[39:40], v[39:40], v[61:62], v[26:27]
	global_load_dwordx4 v[26:29], v[11:12], off offset:176
	v_fma_f64 v[41:42], -v[41:42], v[61:62], v[19:20]
	v_fma_f64 v[19:20], v[36:37], v[59:60], v[32:33]
	v_fma_f64 v[59:60], -v[36:37], v[61:62], v[17:18]
	v_fma_f64 v[61:62], v[34:35], v[61:62], v[19:20]
	global_load_dwordx4 v[17:20], v[11:12], off offset:160
	global_load_dwordx4 v[30:33], v[63:64], off offset:16
	s_waitcnt vmcnt(0)
	v_fma_f64 v[34:35], v[22:23], v[30:31], v[65:66]
	v_fma_f64 v[36:37], v[24:25], v[30:31], v[67:68]
	;; [unrolled: 1-line block ×4, first 2 shown]
	v_fma_f64 v[65:66], -v[24:25], v[32:33], v[34:35]
	v_fma_f64 v[67:68], v[22:23], v[32:33], v[36:37]
	v_fma_f64 v[34:35], v[47:48], v[30:31], v[45:46]
	v_fma_f64 v[36:37], v[49:50], v[30:31], v[43:44]
	v_fma_f64 v[43:44], v[51:52], v[30:31], v[59:60]
	v_fma_f64 v[30:31], v[53:54], v[30:31], v[61:62]
	global_load_dwordx4 v[22:25], v[11:12], off offset:144
	v_fma_f64 v[57:58], -v[57:58], v[32:33], v[41:42]
	v_fma_f64 v[55:56], v[55:56], v[32:33], v[39:40]
	global_load_dwordx4 v[39:42], v[11:12], off offset:224
	v_fma_f64 v[49:50], -v[49:50], v[32:33], v[34:35]
	v_fma_f64 v[47:48], v[47:48], v[32:33], v[36:37]
	global_load_dwordx4 v[34:37], v[11:12], off offset:128
	v_fma_f64 v[59:60], -v[53:54], v[32:33], v[43:44]
	v_fma_f64 v[61:62], v[51:52], v[32:33], v[30:31]
	global_load_dwordx4 v[30:33], v[11:12], off offset:208
	global_load_dwordx4 v[43:46], v[63:64], off offset:32
	s_waitcnt vmcnt(0)
	v_fma_f64 v[51:52], v[34:35], v[43:44], v[65:66]
	v_fma_f64 v[53:54], v[36:37], v[43:44], v[67:68]
	;; [unrolled: 1-line block ×4, first 2 shown]
	v_fma_f64 v[65:66], -v[36:37], v[45:46], v[51:52]
	v_fma_f64 v[67:68], v[34:35], v[45:46], v[53:54]
	v_fma_f64 v[51:52], v[17:18], v[43:44], v[57:58]
	;; [unrolled: 1-line block ×3, first 2 shown]
	global_load_dwordx4 v[34:37], v[11:12], off offset:192
	v_fma_f64 v[24:25], -v[24:25], v[45:46], v[49:50]
	v_fma_f64 v[22:23], v[22:23], v[45:46], v[47:48]
	global_load_dwordx4 v[47:50], v[11:12], off offset:240
	v_fma_f64 v[55:56], v[26:27], v[43:44], v[59:60]
	v_fma_f64 v[43:44], v[28:29], v[43:44], v[61:62]
	v_fma_f64 v[19:20], -v[19:20], v[45:46], v[51:52]
	v_fma_f64 v[17:18], v[17:18], v[45:46], v[53:54]
	global_load_dwordx4 v[51:54], v[63:64], off offset:48
	v_add_co_u32_e32 v11, vcc, 0x800, v11
	v_addc_co_u32_e32 v12, vcc, 0, v12, vcc
	v_fma_f64 v[28:29], -v[28:29], v[45:46], v[55:56]
	v_fma_f64 v[26:27], v[26:27], v[45:46], v[43:44]
	s_waitcnt vmcnt(0)
	v_fma_f64 v[43:44], v[34:35], v[51:52], v[65:66]
	v_fma_f64 v[45:46], v[36:37], v[51:52], v[67:68]
	;; [unrolled: 1-line block ×8, first 2 shown]
	v_fma_f64 v[24:25], -v[36:37], v[53:54], v[43:44]
	v_fma_f64 v[19:20], v[34:35], v[53:54], v[45:46]
	v_fma_f64 v[26:27], -v[32:33], v[53:54], v[55:56]
	v_fma_f64 v[22:23], v[30:31], v[53:54], v[22:23]
	;; [unrolled: 2-line block ×4, first 2 shown]
	s_andn2_b64 exec, exec, s[10:11]
	s_cbranch_execnz .LBB16_27
; %bb.28:
	s_or_b64 exec, exec, s[10:11]
.LBB16_29:
	s_or_b64 exec, exec, s[8:9]
	v_cmp_lt_u32_e32 vcc, 23, v13
	s_and_saveexec_b64 s[8:9], vcc
	s_cbranch_execz .LBB16_33
; %bb.30:
	s_mov_b64 s[10:11], 0
	v_mov_b32_e32 v34, s13
	v_mov_b32_e32 v35, s7
	s_movk_i32 s7, 0x1000
.LBB16_31:                              ; =>This Inner Loop Header: Depth=1
	v_ashrrev_i32_e32 v10, 31, v9
	v_lshlrev_b64 v[13:14], 2, v[9:10]
	v_add_u32_e32 v9, 32, v9
	v_add_co_u32_e32 v15, vcc, s12, v13
	v_addc_co_u32_e32 v16, vcc, v34, v14, vcc
	global_load_dword v10, v[15:16], off
	global_load_dwordx4 v[39:42], v[11:12], off offset:48
	global_load_dwordx4 v[43:46], v[11:12], off offset:32
	;; [unrolled: 1-line block ×3, first 2 shown]
	global_load_dwordx4 v[51:54], v[11:12], off
	v_cmp_ge_i32_e64 s[0:1], v9, v38
	s_or_b64 s[10:11], s[0:1], s[10:11]
	s_waitcnt vmcnt(4)
	v_subrev_u32_e32 v10, s16, v10
	v_lshlrev_b32_e32 v13, 2, v10
	v_ashrrev_i32_e32 v14, 31, v13
	v_lshlrev_b64 v[13:14], 4, v[13:14]
	v_add_co_u32_e32 v13, vcc, s6, v13
	v_addc_co_u32_e32 v14, vcc, v35, v14, vcc
	global_load_dwordx4 v[55:58], v[13:14], off offset:48
	global_load_dwordx4 v[59:62], v[13:14], off offset:32
	;; [unrolled: 1-line block ×3, first 2 shown]
	global_load_dwordx4 v[67:70], v[13:14], off
	s_waitcnt vmcnt(0)
	v_fma_f64 v[19:20], v[53:54], v[67:68], v[19:20]
	v_fma_f64 v[13:14], v[51:52], v[67:68], v[24:25]
	;; [unrolled: 1-line block ×5, first 2 shown]
	v_fma_f64 v[13:14], -v[53:54], v[69:70], v[13:14]
	v_fma_f64 v[51:52], -v[49:50], v[69:70], v[19:20]
	v_fma_f64 v[19:20], v[49:50], v[67:68], v[22:23]
	v_fma_f64 v[47:48], v[47:48], v[69:70], v[19:20]
	v_fma_f64 v[19:20], v[43:44], v[67:68], v[30:31]
	v_fma_f64 v[49:50], -v[45:46], v[69:70], v[19:20]
	v_fma_f64 v[19:20], v[45:46], v[67:68], v[28:29]
	v_fma_f64 v[45:46], -v[41:42], v[69:70], v[17:18]
	v_fma_f64 v[17:18], v[41:42], v[67:68], v[32:33]
	v_fma_f64 v[43:44], v[43:44], v[69:70], v[19:20]
	;; [unrolled: 1-line block ×3, first 2 shown]
	global_load_dwordx4 v[17:20], v[11:12], off offset:112
	global_load_dwordx4 v[22:25], v[11:12], off offset:96
	;; [unrolled: 1-line block ×4, first 2 shown]
	s_waitcnt vmcnt(0)
	v_fma_f64 v[13:14], v[30:31], v[63:64], v[13:14]
	v_fma_f64 v[13:14], -v[32:33], v[65:66], v[13:14]
	v_fma_f64 v[32:33], v[32:33], v[63:64], v[36:37]
	v_fma_f64 v[36:37], v[30:31], v[65:66], v[32:33]
	v_fma_f64 v[30:31], v[26:27], v[63:64], v[51:52]
	v_fma_f64 v[41:42], -v[28:29], v[65:66], v[30:31]
	v_fma_f64 v[28:29], v[28:29], v[63:64], v[47:48]
	v_fma_f64 v[47:48], v[26:27], v[65:66], v[28:29]
	;; [unrolled: 4-line block ×4, first 2 shown]
	global_load_dwordx4 v[17:20], v[11:12], off offset:176
	global_load_dwordx4 v[22:25], v[11:12], off offset:160
	;; [unrolled: 1-line block ×4, first 2 shown]
	s_waitcnt vmcnt(0)
	v_fma_f64 v[13:14], v[30:31], v[59:60], v[13:14]
	v_fma_f64 v[13:14], -v[32:33], v[61:62], v[13:14]
	v_fma_f64 v[32:33], v[32:33], v[59:60], v[36:37]
	v_fma_f64 v[36:37], v[30:31], v[61:62], v[32:33]
	v_fma_f64 v[30:31], v[26:27], v[59:60], v[41:42]
	v_fma_f64 v[41:42], -v[28:29], v[61:62], v[30:31]
	v_fma_f64 v[28:29], v[28:29], v[59:60], v[47:48]
	v_fma_f64 v[47:48], v[26:27], v[61:62], v[28:29]
	;; [unrolled: 4-line block ×4, first 2 shown]
	global_load_dwordx4 v[17:20], v[11:12], off offset:240
	global_load_dwordx4 v[22:25], v[11:12], off offset:224
	;; [unrolled: 1-line block ×4, first 2 shown]
	global_load_dword v10, v[15:16], off offset:32
	s_waitcnt vmcnt(1)
	v_fma_f64 v[13:14], v[30:31], v[55:56], v[13:14]
	s_waitcnt vmcnt(0)
	v_subrev_u32_e32 v10, s16, v10
	v_fma_f64 v[13:14], -v[32:33], v[57:58], v[13:14]
	v_fma_f64 v[32:33], v[32:33], v[55:56], v[36:37]
	v_fma_f64 v[36:37], v[30:31], v[57:58], v[32:33]
	v_fma_f64 v[30:31], v[26:27], v[55:56], v[41:42]
	v_fma_f64 v[59:60], -v[28:29], v[57:58], v[30:31]
	v_fma_f64 v[28:29], v[28:29], v[55:56], v[47:48]
	v_fma_f64 v[61:62], v[26:27], v[57:58], v[28:29]
	v_fma_f64 v[26:27], v[22:23], v[55:56], v[49:50]
	;; [unrolled: 4-line block ×3, first 2 shown]
	v_fma_f64 v[67:68], -v[19:20], v[57:58], v[22:23]
	v_fma_f64 v[19:20], v[19:20], v[55:56], v[39:40]
	v_lshlrev_b32_e32 v39, 2, v10
	v_ashrrev_i32_e32 v40, 31, v39
	v_lshlrev_b64 v[39:40], 4, v[39:40]
	v_fma_f64 v[55:56], v[17:18], v[57:58], v[19:20]
	v_add_co_u32_e32 v57, vcc, s6, v39
	v_addc_co_u32_e32 v58, vcc, v35, v40, vcc
	global_load_dwordx4 v[17:20], v[11:12], off offset:2096
	global_load_dwordx4 v[22:25], v[11:12], off offset:2080
	;; [unrolled: 1-line block ×7, first 2 shown]
	global_load_dwordx4 v[51:54], v[57:58], off
	s_waitcnt vmcnt(0)
	v_fma_f64 v[13:14], v[30:31], v[51:52], v[13:14]
	v_fma_f64 v[13:14], -v[32:33], v[53:54], v[13:14]
	v_fma_f64 v[32:33], v[32:33], v[51:52], v[36:37]
	v_fma_f64 v[36:37], v[30:31], v[53:54], v[32:33]
	v_fma_f64 v[30:31], v[26:27], v[51:52], v[59:60]
	v_fma_f64 v[57:58], -v[28:29], v[53:54], v[30:31]
	v_fma_f64 v[28:29], v[28:29], v[51:52], v[61:62]
	v_fma_f64 v[59:60], v[26:27], v[53:54], v[28:29]
	v_fma_f64 v[26:27], v[22:23], v[51:52], v[63:64]
	v_fma_f64 v[61:62], -v[24:25], v[53:54], v[26:27]
	v_fma_f64 v[24:25], v[24:25], v[51:52], v[65:66]
	v_fma_f64 v[63:64], v[22:23], v[53:54], v[24:25]
	v_fma_f64 v[22:23], v[17:18], v[51:52], v[67:68]
	v_fma_f64 v[65:66], -v[19:20], v[53:54], v[22:23]
	v_fma_f64 v[19:20], v[19:20], v[51:52], v[55:56]
	v_fma_f64 v[51:52], v[17:18], v[53:54], v[19:20]
	global_load_dwordx4 v[17:20], v[11:12], off offset:2160
	global_load_dwordx4 v[22:25], v[11:12], off offset:2144
	global_load_dwordx4 v[26:29], v[11:12], off offset:2128
	global_load_dwordx4 v[30:33], v[11:12], off offset:2112
	s_waitcnt vmcnt(0)
	v_fma_f64 v[13:14], v[30:31], v[47:48], v[13:14]
	v_fma_f64 v[13:14], -v[32:33], v[49:50], v[13:14]
	v_fma_f64 v[32:33], v[32:33], v[47:48], v[36:37]
	v_fma_f64 v[36:37], v[30:31], v[49:50], v[32:33]
	v_fma_f64 v[30:31], v[26:27], v[47:48], v[57:58]
	v_fma_f64 v[53:54], -v[28:29], v[49:50], v[30:31]
	v_fma_f64 v[28:29], v[28:29], v[47:48], v[59:60]
	v_fma_f64 v[55:56], v[26:27], v[49:50], v[28:29]
	v_fma_f64 v[26:27], v[22:23], v[47:48], v[61:62]
	v_fma_f64 v[57:58], -v[24:25], v[49:50], v[26:27]
	v_fma_f64 v[24:25], v[24:25], v[47:48], v[63:64]
	v_fma_f64 v[59:60], v[22:23], v[49:50], v[24:25]
	v_fma_f64 v[22:23], v[17:18], v[47:48], v[65:66]
	v_fma_f64 v[61:62], -v[19:20], v[49:50], v[22:23]
	v_fma_f64 v[19:20], v[19:20], v[47:48], v[51:52]
	v_fma_f64 v[47:48], v[17:18], v[49:50], v[19:20]
	global_load_dwordx4 v[17:20], v[11:12], off offset:2224
	global_load_dwordx4 v[22:25], v[11:12], off offset:2208
	global_load_dwordx4 v[26:29], v[11:12], off offset:2192
	global_load_dwordx4 v[30:33], v[11:12], off offset:2176
	;; [unrolled: 21-line block ×3, first 2 shown]
	global_load_dword v10, v[15:16], off offset:64
	s_waitcnt vmcnt(1)
	v_fma_f64 v[13:14], v[30:31], v[39:40], v[13:14]
	s_waitcnt vmcnt(0)
	v_subrev_u32_e32 v10, s16, v10
	v_fma_f64 v[59:60], -v[32:33], v[41:42], v[13:14]
	v_fma_f64 v[13:14], v[32:33], v[39:40], v[36:37]
	v_fma_f64 v[36:37], v[30:31], v[41:42], v[13:14]
	v_fma_f64 v[13:14], v[26:27], v[39:40], v[49:50]
	v_fma_f64 v[61:62], -v[28:29], v[41:42], v[13:14]
	v_fma_f64 v[13:14], v[28:29], v[39:40], v[51:52]
	v_fma_f64 v[63:64], v[26:27], v[41:42], v[13:14]
	v_fma_f64 v[13:14], v[22:23], v[39:40], v[53:54]
	;; [unrolled: 4-line block ×3, first 2 shown]
	v_fma_f64 v[57:58], -v[19:20], v[41:42], v[13:14]
	v_fma_f64 v[13:14], v[19:20], v[39:40], v[43:44]
	v_lshlrev_b32_e32 v39, 2, v10
	v_ashrrev_i32_e32 v40, 31, v39
	v_lshlrev_b64 v[39:40], 4, v[39:40]
	v_fma_f64 v[67:68], v[17:18], v[41:42], v[13:14]
	v_add_co_u32_e32 v13, vcc, s7, v11
	v_addc_co_u32_e32 v14, vcc, 0, v12, vcc
	v_add_co_u32_e32 v69, vcc, s6, v39
	v_addc_co_u32_e32 v70, vcc, v35, v40, vcc
	global_load_dwordx4 v[17:20], v[13:14], off
	global_load_dwordx4 v[22:25], v[13:14], off offset:48
	global_load_dwordx4 v[26:29], v[13:14], off offset:32
	;; [unrolled: 1-line block ×6, first 2 shown]
	global_load_dwordx4 v[51:54], v[69:70], off
	s_waitcnt vmcnt(0)
	v_fma_f64 v[59:60], v[17:18], v[51:52], v[59:60]
	v_fma_f64 v[59:60], -v[19:20], v[53:54], v[59:60]
	v_fma_f64 v[19:20], v[19:20], v[51:52], v[36:37]
	v_fma_f64 v[36:37], v[17:18], v[53:54], v[19:20]
	v_fma_f64 v[17:18], v[30:31], v[51:52], v[61:62]
	v_fma_f64 v[61:62], -v[32:33], v[53:54], v[17:18]
	v_fma_f64 v[17:18], v[32:33], v[51:52], v[63:64]
	v_fma_f64 v[63:64], v[30:31], v[53:54], v[17:18]
	v_fma_f64 v[17:18], v[26:27], v[51:52], v[65:66]
	v_fma_f64 v[65:66], -v[28:29], v[53:54], v[17:18]
	v_fma_f64 v[17:18], v[28:29], v[51:52], v[55:56]
	v_fma_f64 v[55:56], v[26:27], v[53:54], v[17:18]
	v_fma_f64 v[17:18], v[22:23], v[51:52], v[57:58]
	v_fma_f64 v[57:58], -v[24:25], v[53:54], v[17:18]
	v_fma_f64 v[17:18], v[24:25], v[51:52], v[67:68]
	v_fma_f64 v[51:52], v[22:23], v[53:54], v[17:18]
	global_load_dwordx4 v[17:20], v[13:14], off offset:112
	global_load_dwordx4 v[22:25], v[13:14], off offset:96
	global_load_dwordx4 v[26:29], v[13:14], off offset:80
	global_load_dwordx4 v[30:33], v[13:14], off offset:64
	s_waitcnt vmcnt(0)
	v_fma_f64 v[53:54], v[30:31], v[47:48], v[59:60]
	v_fma_f64 v[53:54], -v[32:33], v[49:50], v[53:54]
	v_fma_f64 v[32:33], v[32:33], v[47:48], v[36:37]
	v_fma_f64 v[36:37], v[30:31], v[49:50], v[32:33]
	v_fma_f64 v[30:31], v[26:27], v[47:48], v[61:62]
	v_fma_f64 v[59:60], -v[28:29], v[49:50], v[30:31]
	v_fma_f64 v[28:29], v[28:29], v[47:48], v[63:64]
	v_fma_f64 v[61:62], v[26:27], v[49:50], v[28:29]
	v_fma_f64 v[26:27], v[22:23], v[47:48], v[65:66]
	v_fma_f64 v[63:64], -v[24:25], v[49:50], v[26:27]
	v_fma_f64 v[24:25], v[24:25], v[47:48], v[55:56]
	v_fma_f64 v[55:56], v[22:23], v[49:50], v[24:25]
	v_fma_f64 v[22:23], v[17:18], v[47:48], v[57:58]
	v_fma_f64 v[57:58], -v[19:20], v[49:50], v[22:23]
	v_fma_f64 v[19:20], v[19:20], v[47:48], v[51:52]
	v_fma_f64 v[47:48], v[17:18], v[49:50], v[19:20]
	global_load_dwordx4 v[17:20], v[13:14], off offset:176
	global_load_dwordx4 v[22:25], v[13:14], off offset:160
	global_load_dwordx4 v[26:29], v[13:14], off offset:144
	global_load_dwordx4 v[30:33], v[13:14], off offset:128
	;; [unrolled: 21-line block ×3, first 2 shown]
	global_load_dword v10, v[15:16], off offset:96
	s_waitcnt vmcnt(2)
	v_fma_f64 v[22:23], v[24:25], v[39:40], v[36:37]
	s_waitcnt vmcnt(1)
	v_fma_f64 v[17:18], v[47:48], v[39:40], v[51:52]
	v_fma_f64 v[19:20], v[49:50], v[39:40], v[32:33]
	v_fma_f64 v[32:33], v[45:46], v[39:40], v[61:62]
	s_waitcnt vmcnt(0)
	v_subrev_u32_e32 v10, s16, v10
	v_lshlrev_b32_e32 v15, 2, v10
	v_ashrrev_i32_e32 v16, 31, v15
	v_lshlrev_b64 v[15:16], 4, v[15:16]
	v_fma_f64 v[22:23], -v[26:27], v[41:42], v[22:23]
	v_fma_f64 v[26:27], v[26:27], v[39:40], v[53:54]
	v_add_co_u32_e32 v15, vcc, s6, v15
	v_addc_co_u32_e32 v16, vcc, v35, v16, vcc
	v_fma_f64 v[17:18], -v[49:50], v[41:42], v[17:18]
	v_fma_f64 v[19:20], v[47:48], v[41:42], v[19:20]
	v_fma_f64 v[32:33], v[43:44], v[41:42], v[32:33]
	;; [unrolled: 1-line block ×4, first 2 shown]
	v_add_co_u32_e32 v11, vcc, 0x2000, v11
	v_addc_co_u32_e32 v12, vcc, 0, v12, vcc
	v_fma_f64 v[26:27], -v[30:31], v[41:42], v[26:27]
	v_fma_f64 v[30:31], v[30:31], v[39:40], v[55:56]
	v_fma_f64 v[28:29], v[28:29], v[41:42], v[30:31]
	;; [unrolled: 1-line block ×3, first 2 shown]
	v_fma_f64 v[30:31], -v[45:46], v[41:42], v[30:31]
	global_load_dwordx4 v[39:42], v[13:14], off offset:2096
	global_load_dwordx4 v[43:46], v[13:14], off offset:2080
	global_load_dwordx4 v[47:50], v[13:14], off offset:2064
	global_load_dwordx4 v[51:54], v[13:14], off offset:2048
	global_load_dwordx4 v[55:58], v[15:16], off offset:48
	global_load_dwordx4 v[59:62], v[15:16], off offset:32
	global_load_dwordx4 v[63:66], v[15:16], off offset:16
	global_load_dwordx4 v[67:70], v[15:16], off
	s_waitcnt vmcnt(0)
	v_fma_f64 v[15:16], v[51:52], v[67:68], v[17:18]
	v_fma_f64 v[36:37], -v[53:54], v[69:70], v[15:16]
	v_fma_f64 v[15:16], v[53:54], v[67:68], v[19:20]
	v_fma_f64 v[19:20], v[51:52], v[69:70], v[15:16]
	v_fma_f64 v[15:16], v[47:48], v[67:68], v[22:23]
	v_fma_f64 v[51:52], -v[49:50], v[69:70], v[15:16]
	v_fma_f64 v[15:16], v[49:50], v[67:68], v[24:25]
	v_fma_f64 v[47:48], v[47:48], v[69:70], v[15:16]
	;; [unrolled: 4-line block ×4, first 2 shown]
	global_load_dwordx4 v[15:18], v[13:14], off offset:2160
	global_load_dwordx4 v[22:25], v[13:14], off offset:2144
	;; [unrolled: 1-line block ×4, first 2 shown]
	s_waitcnt vmcnt(0)
	v_fma_f64 v[19:20], v[32:33], v[63:64], v[19:20]
	v_fma_f64 v[36:37], v[30:31], v[63:64], v[36:37]
	;; [unrolled: 1-line block ×4, first 2 shown]
	v_fma_f64 v[36:37], -v[32:33], v[65:66], v[36:37]
	v_fma_f64 v[41:42], -v[28:29], v[65:66], v[30:31]
	v_fma_f64 v[28:29], v[28:29], v[63:64], v[47:48]
	v_fma_f64 v[47:48], v[26:27], v[65:66], v[28:29]
	;; [unrolled: 1-line block ×3, first 2 shown]
	v_fma_f64 v[49:50], -v[24:25], v[65:66], v[26:27]
	v_fma_f64 v[24:25], v[24:25], v[63:64], v[43:44]
	v_fma_f64 v[43:44], v[22:23], v[65:66], v[24:25]
	;; [unrolled: 1-line block ×3, first 2 shown]
	v_fma_f64 v[45:46], -v[17:18], v[65:66], v[22:23]
	v_fma_f64 v[17:18], v[17:18], v[63:64], v[39:40]
	v_fma_f64 v[39:40], v[15:16], v[65:66], v[17:18]
	global_load_dwordx4 v[15:18], v[13:14], off offset:2224
	global_load_dwordx4 v[22:25], v[13:14], off offset:2208
	;; [unrolled: 1-line block ×4, first 2 shown]
	s_waitcnt vmcnt(0)
	v_fma_f64 v[19:20], v[32:33], v[59:60], v[19:20]
	v_fma_f64 v[36:37], v[30:31], v[59:60], v[36:37]
	v_fma_f64 v[19:20], v[30:31], v[61:62], v[19:20]
	v_fma_f64 v[30:31], v[26:27], v[59:60], v[41:42]
	v_fma_f64 v[36:37], -v[32:33], v[61:62], v[36:37]
	v_fma_f64 v[32:33], -v[28:29], v[61:62], v[30:31]
	v_fma_f64 v[28:29], v[28:29], v[59:60], v[47:48]
	v_fma_f64 v[47:48], v[26:27], v[61:62], v[28:29]
	;; [unrolled: 1-line block ×3, first 2 shown]
	v_fma_f64 v[49:50], -v[24:25], v[61:62], v[26:27]
	v_fma_f64 v[24:25], v[24:25], v[59:60], v[43:44]
	v_fma_f64 v[51:52], v[22:23], v[61:62], v[24:25]
	;; [unrolled: 1-line block ×3, first 2 shown]
	v_fma_f64 v[53:54], -v[17:18], v[61:62], v[22:23]
	v_fma_f64 v[17:18], v[17:18], v[59:60], v[39:40]
	v_fma_f64 v[59:60], v[15:16], v[61:62], v[17:18]
	global_load_dwordx4 v[39:42], v[13:14], off offset:2288
	global_load_dwordx4 v[15:18], v[13:14], off offset:2272
	;; [unrolled: 1-line block ×4, first 2 shown]
	s_waitcnt vmcnt(0)
	v_fma_f64 v[13:14], v[43:44], v[55:56], v[36:37]
	v_fma_f64 v[24:25], -v[45:46], v[57:58], v[13:14]
	v_fma_f64 v[13:14], v[45:46], v[55:56], v[19:20]
	v_fma_f64 v[19:20], v[43:44], v[57:58], v[13:14]
	v_fma_f64 v[13:14], v[28:29], v[55:56], v[32:33]
	v_fma_f64 v[26:27], -v[30:31], v[57:58], v[13:14]
	v_fma_f64 v[13:14], v[30:31], v[55:56], v[47:48]
	v_fma_f64 v[22:23], v[28:29], v[57:58], v[13:14]
	;; [unrolled: 4-line block ×4, first 2 shown]
	s_andn2_b64 exec, exec, s[10:11]
	s_cbranch_execnz .LBB16_31
; %bb.32:
	s_or_b64 exec, exec, s[10:11]
.LBB16_33:
	s_or_b64 exec, exec, s[8:9]
.LBB16_34:
	s_or_b64 exec, exec, s[2:3]
.LBB16_35:
	v_mov_b32_dpp v9, v24 row_shr:1 row_mask:0xf bank_mask:0xf
	v_mov_b32_dpp v10, v25 row_shr:1 row_mask:0xf bank_mask:0xf
	v_add_f64 v[9:10], v[24:25], v[9:10]
	v_mov_b32_dpp v11, v19 row_shr:1 row_mask:0xf bank_mask:0xf
	v_mov_b32_dpp v12, v20 row_shr:1 row_mask:0xf bank_mask:0xf
	;; [unrolled: 1-line block ×4, first 2 shown]
	v_add_f64 v[11:12], v[19:20], v[11:12]
	v_add_f64 v[13:14], v[26:27], v[13:14]
	v_mov_b32_dpp v19, v22 row_shr:1 row_mask:0xf bank_mask:0xf
	v_mov_b32_dpp v20, v23 row_shr:1 row_mask:0xf bank_mask:0xf
	v_add_f64 v[19:20], v[22:23], v[19:20]
	v_mov_b32_dpp v15, v9 row_shr:2 row_mask:0xf bank_mask:0xf
	v_mov_b32_dpp v16, v10 row_shr:2 row_mask:0xf bank_mask:0xf
	;; [unrolled: 3-line block ×6, first 2 shown]
	v_mov_b32_dpp v36, v28 row_shr:1 row_mask:0xf bank_mask:0xf
	v_mov_b32_dpp v37, v29 row_shr:1 row_mask:0xf bank_mask:0xf
	v_add_f64 v[30:31], v[30:31], v[19:20]
	v_add_f64 v[28:29], v[28:29], v[36:37]
	v_mov_b32_dpp v36, v17 row_shr:1 row_mask:0xf bank_mask:0xf
	v_mov_b32_dpp v37, v18 row_shr:1 row_mask:0xf bank_mask:0xf
	v_add_f64 v[36:37], v[17:18], v[36:37]
	v_mov_b32_dpp v17, v32 row_shr:1 row_mask:0xf bank_mask:0xf
	v_mov_b32_dpp v18, v33 row_shr:1 row_mask:0xf bank_mask:0xf
	;; [unrolled: 3-line block ×5, first 2 shown]
	v_mov_b32_dpp v34, v32 row_shr:2 row_mask:0xf bank_mask:0xf
	v_mov_b32_dpp v35, v33 row_shr:2 row_mask:0xf bank_mask:0xf
	v_add_f64 v[30:31], v[36:37], v[30:31]
	v_add_f64 v[32:33], v[32:33], v[34:35]
	v_mov_b32_dpp v26, v9 row_shr:4 row_mask:0xf bank_mask:0xe
	v_mov_b32_dpp v27, v10 row_shr:4 row_mask:0xf bank_mask:0xe
	;; [unrolled: 1-line block ×16, first 2 shown]
	v_cmp_eq_u32_e32 vcc, 7, v0
	s_and_b64 exec, exec, vcc
	s_cbranch_execz .LBB16_8
; %bb.36:
	v_add_f64 v[11:12], v[11:12], v[24:25]
	v_add_f64 v[22:23], v[13:14], v[22:23]
	;; [unrolled: 1-line block ×8, first 2 shown]
	v_mul_f64 v[19:20], v[11:12], -v[7:8]
	v_mul_f64 v[11:12], v[5:6], v[11:12]
	v_mul_f64 v[28:29], v[13:14], -v[7:8]
	v_mul_f64 v[30:31], v[5:6], v[13:14]
	;; [unrolled: 2-line block ×4, first 2 shown]
	v_cmp_eq_f64_e32 vcc, 0, v[1:2]
	v_cmp_eq_f64_e64 s[0:1], 0, v[3:4]
	v_fma_f64 v[17:18], v[5:6], v[9:10], v[19:20]
	v_fma_f64 v[19:20], v[7:8], v[9:10], v[11:12]
	;; [unrolled: 1-line block ×8, first 2 shown]
	s_load_dwordx2 s[2:3], s[4:5], 0x60
	s_and_b64 s[0:1], vcc, s[0:1]
	v_lshlrev_b32_e32 v21, 2, v21
	s_and_saveexec_b64 s[4:5], s[0:1]
	s_xor_b64 s[0:1], exec, s[4:5]
	s_cbranch_execz .LBB16_38
; %bb.37:
	v_ashrrev_i32_e32 v22, 31, v21
	v_lshlrev_b64 v[0:1], 4, v[21:22]
	s_waitcnt lgkmcnt(0)
	v_mov_b32_e32 v2, s3
	v_add_co_u32_e32 v0, vcc, s2, v0
	v_addc_co_u32_e32 v1, vcc, v2, v1, vcc
	global_store_dwordx4 v[0:1], v[17:20], off
	global_store_dwordx4 v[0:1], v[13:16], off offset:16
	global_store_dwordx4 v[0:1], v[9:12], off offset:32
	;; [unrolled: 1-line block ×3, first 2 shown]
                                        ; implicit-def: $vgpr3_vgpr4
                                        ; implicit-def: $vgpr17_vgpr18
                                        ; implicit-def: $vgpr21
                                        ; implicit-def: $vgpr13_vgpr14
                                        ; implicit-def: $vgpr9_vgpr10
                                        ; implicit-def: $vgpr5_vgpr6
.LBB16_38:
	s_andn2_saveexec_b64 s[0:1], s[0:1]
	s_cbranch_execz .LBB16_8
; %bb.39:
	v_ashrrev_i32_e32 v22, 31, v21
	v_lshlrev_b64 v[21:22], 4, v[21:22]
	s_waitcnt lgkmcnt(0)
	v_mov_b32_e32 v0, s3
	v_add_co_u32_e32 v37, vcc, s2, v21
	v_addc_co_u32_e32 v38, vcc, v0, v22, vcc
	global_load_dwordx4 v[21:24], v[37:38], off
	global_load_dwordx4 v[25:28], v[37:38], off offset:16
	global_load_dwordx4 v[29:32], v[37:38], off offset:32
	;; [unrolled: 1-line block ×3, first 2 shown]
	s_waitcnt vmcnt(3)
	v_fma_f64 v[17:18], v[1:2], v[21:22], v[17:18]
	v_fma_f64 v[19:20], v[3:4], v[21:22], v[19:20]
	s_waitcnt vmcnt(2)
	v_fma_f64 v[13:14], v[1:2], v[25:26], v[13:14]
	v_fma_f64 v[15:16], v[3:4], v[25:26], v[15:16]
	;; [unrolled: 3-line block ×4, first 2 shown]
	v_fma_f64 v[5:6], -v[3:4], v[23:24], v[17:18]
	v_fma_f64 v[7:8], v[1:2], v[23:24], v[19:20]
	v_fma_f64 v[9:10], -v[3:4], v[27:28], v[13:14]
	v_fma_f64 v[11:12], v[1:2], v[27:28], v[15:16]
	;; [unrolled: 2-line block ×4, first 2 shown]
	global_store_dwordx4 v[37:38], v[5:8], off
	global_store_dwordx4 v[37:38], v[9:12], off offset:16
	global_store_dwordx4 v[37:38], v[13:16], off offset:32
	;; [unrolled: 1-line block ×3, first 2 shown]
	s_endpgm
	.section	.rodata,"a",@progbits
	.p2align	6, 0x0
	.amdhsa_kernel _ZN9rocsparseL18bsrxmvn_4x4_kernelILj128ELj8E21rocsparse_complex_numIdEiiS2_S2_S2_EEvT3_20rocsparse_direction_NS_24const_host_device_scalarIT1_EES3_PKS3_PKT2_SC_S9_PKT4_PKT5_S7_PT6_21rocsparse_index_base_b
		.amdhsa_group_segment_fixed_size 0
		.amdhsa_private_segment_fixed_size 0
		.amdhsa_kernarg_size 112
		.amdhsa_user_sgpr_count 6
		.amdhsa_user_sgpr_private_segment_buffer 1
		.amdhsa_user_sgpr_dispatch_ptr 0
		.amdhsa_user_sgpr_queue_ptr 0
		.amdhsa_user_sgpr_kernarg_segment_ptr 1
		.amdhsa_user_sgpr_dispatch_id 0
		.amdhsa_user_sgpr_flat_scratch_init 0
		.amdhsa_user_sgpr_private_segment_size 0
		.amdhsa_uses_dynamic_stack 0
		.amdhsa_system_sgpr_private_segment_wavefront_offset 0
		.amdhsa_system_sgpr_workgroup_id_x 1
		.amdhsa_system_sgpr_workgroup_id_y 0
		.amdhsa_system_sgpr_workgroup_id_z 0
		.amdhsa_system_sgpr_workgroup_info 0
		.amdhsa_system_vgpr_workitem_id 0
		.amdhsa_next_free_vgpr 83
		.amdhsa_next_free_sgpr 18
		.amdhsa_reserve_vcc 1
		.amdhsa_reserve_flat_scratch 0
		.amdhsa_float_round_mode_32 0
		.amdhsa_float_round_mode_16_64 0
		.amdhsa_float_denorm_mode_32 3
		.amdhsa_float_denorm_mode_16_64 3
		.amdhsa_dx10_clamp 1
		.amdhsa_ieee_mode 1
		.amdhsa_fp16_overflow 0
		.amdhsa_exception_fp_ieee_invalid_op 0
		.amdhsa_exception_fp_denorm_src 0
		.amdhsa_exception_fp_ieee_div_zero 0
		.amdhsa_exception_fp_ieee_overflow 0
		.amdhsa_exception_fp_ieee_underflow 0
		.amdhsa_exception_fp_ieee_inexact 0
		.amdhsa_exception_int_div_zero 0
	.end_amdhsa_kernel
	.section	.text._ZN9rocsparseL18bsrxmvn_4x4_kernelILj128ELj8E21rocsparse_complex_numIdEiiS2_S2_S2_EEvT3_20rocsparse_direction_NS_24const_host_device_scalarIT1_EES3_PKS3_PKT2_SC_S9_PKT4_PKT5_S7_PT6_21rocsparse_index_base_b,"axG",@progbits,_ZN9rocsparseL18bsrxmvn_4x4_kernelILj128ELj8E21rocsparse_complex_numIdEiiS2_S2_S2_EEvT3_20rocsparse_direction_NS_24const_host_device_scalarIT1_EES3_PKS3_PKT2_SC_S9_PKT4_PKT5_S7_PT6_21rocsparse_index_base_b,comdat
.Lfunc_end16:
	.size	_ZN9rocsparseL18bsrxmvn_4x4_kernelILj128ELj8E21rocsparse_complex_numIdEiiS2_S2_S2_EEvT3_20rocsparse_direction_NS_24const_host_device_scalarIT1_EES3_PKS3_PKT2_SC_S9_PKT4_PKT5_S7_PT6_21rocsparse_index_base_b, .Lfunc_end16-_ZN9rocsparseL18bsrxmvn_4x4_kernelILj128ELj8E21rocsparse_complex_numIdEiiS2_S2_S2_EEvT3_20rocsparse_direction_NS_24const_host_device_scalarIT1_EES3_PKS3_PKT2_SC_S9_PKT4_PKT5_S7_PT6_21rocsparse_index_base_b
                                        ; -- End function
	.set _ZN9rocsparseL18bsrxmvn_4x4_kernelILj128ELj8E21rocsparse_complex_numIdEiiS2_S2_S2_EEvT3_20rocsparse_direction_NS_24const_host_device_scalarIT1_EES3_PKS3_PKT2_SC_S9_PKT4_PKT5_S7_PT6_21rocsparse_index_base_b.num_vgpr, 83
	.set _ZN9rocsparseL18bsrxmvn_4x4_kernelILj128ELj8E21rocsparse_complex_numIdEiiS2_S2_S2_EEvT3_20rocsparse_direction_NS_24const_host_device_scalarIT1_EES3_PKS3_PKT2_SC_S9_PKT4_PKT5_S7_PT6_21rocsparse_index_base_b.num_agpr, 0
	.set _ZN9rocsparseL18bsrxmvn_4x4_kernelILj128ELj8E21rocsparse_complex_numIdEiiS2_S2_S2_EEvT3_20rocsparse_direction_NS_24const_host_device_scalarIT1_EES3_PKS3_PKT2_SC_S9_PKT4_PKT5_S7_PT6_21rocsparse_index_base_b.numbered_sgpr, 18
	.set _ZN9rocsparseL18bsrxmvn_4x4_kernelILj128ELj8E21rocsparse_complex_numIdEiiS2_S2_S2_EEvT3_20rocsparse_direction_NS_24const_host_device_scalarIT1_EES3_PKS3_PKT2_SC_S9_PKT4_PKT5_S7_PT6_21rocsparse_index_base_b.num_named_barrier, 0
	.set _ZN9rocsparseL18bsrxmvn_4x4_kernelILj128ELj8E21rocsparse_complex_numIdEiiS2_S2_S2_EEvT3_20rocsparse_direction_NS_24const_host_device_scalarIT1_EES3_PKS3_PKT2_SC_S9_PKT4_PKT5_S7_PT6_21rocsparse_index_base_b.private_seg_size, 0
	.set _ZN9rocsparseL18bsrxmvn_4x4_kernelILj128ELj8E21rocsparse_complex_numIdEiiS2_S2_S2_EEvT3_20rocsparse_direction_NS_24const_host_device_scalarIT1_EES3_PKS3_PKT2_SC_S9_PKT4_PKT5_S7_PT6_21rocsparse_index_base_b.uses_vcc, 1
	.set _ZN9rocsparseL18bsrxmvn_4x4_kernelILj128ELj8E21rocsparse_complex_numIdEiiS2_S2_S2_EEvT3_20rocsparse_direction_NS_24const_host_device_scalarIT1_EES3_PKS3_PKT2_SC_S9_PKT4_PKT5_S7_PT6_21rocsparse_index_base_b.uses_flat_scratch, 0
	.set _ZN9rocsparseL18bsrxmvn_4x4_kernelILj128ELj8E21rocsparse_complex_numIdEiiS2_S2_S2_EEvT3_20rocsparse_direction_NS_24const_host_device_scalarIT1_EES3_PKS3_PKT2_SC_S9_PKT4_PKT5_S7_PT6_21rocsparse_index_base_b.has_dyn_sized_stack, 0
	.set _ZN9rocsparseL18bsrxmvn_4x4_kernelILj128ELj8E21rocsparse_complex_numIdEiiS2_S2_S2_EEvT3_20rocsparse_direction_NS_24const_host_device_scalarIT1_EES3_PKS3_PKT2_SC_S9_PKT4_PKT5_S7_PT6_21rocsparse_index_base_b.has_recursion, 0
	.set _ZN9rocsparseL18bsrxmvn_4x4_kernelILj128ELj8E21rocsparse_complex_numIdEiiS2_S2_S2_EEvT3_20rocsparse_direction_NS_24const_host_device_scalarIT1_EES3_PKS3_PKT2_SC_S9_PKT4_PKT5_S7_PT6_21rocsparse_index_base_b.has_indirect_call, 0
	.section	.AMDGPU.csdata,"",@progbits
; Kernel info:
; codeLenInByte = 9812
; TotalNumSgprs: 22
; NumVgprs: 83
; ScratchSize: 0
; MemoryBound: 1
; FloatMode: 240
; IeeeMode: 1
; LDSByteSize: 0 bytes/workgroup (compile time only)
; SGPRBlocks: 2
; VGPRBlocks: 20
; NumSGPRsForWavesPerEU: 22
; NumVGPRsForWavesPerEU: 83
; Occupancy: 3
; WaveLimiterHint : 1
; COMPUTE_PGM_RSRC2:SCRATCH_EN: 0
; COMPUTE_PGM_RSRC2:USER_SGPR: 6
; COMPUTE_PGM_RSRC2:TRAP_HANDLER: 0
; COMPUTE_PGM_RSRC2:TGID_X_EN: 1
; COMPUTE_PGM_RSRC2:TGID_Y_EN: 0
; COMPUTE_PGM_RSRC2:TGID_Z_EN: 0
; COMPUTE_PGM_RSRC2:TIDIG_COMP_CNT: 0
	.section	.text._ZN9rocsparseL18bsrxmvn_4x4_kernelILj128ELj16E21rocsparse_complex_numIdEiiS2_S2_S2_EEvT3_20rocsparse_direction_NS_24const_host_device_scalarIT1_EES3_PKS3_PKT2_SC_S9_PKT4_PKT5_S7_PT6_21rocsparse_index_base_b,"axG",@progbits,_ZN9rocsparseL18bsrxmvn_4x4_kernelILj128ELj16E21rocsparse_complex_numIdEiiS2_S2_S2_EEvT3_20rocsparse_direction_NS_24const_host_device_scalarIT1_EES3_PKS3_PKT2_SC_S9_PKT4_PKT5_S7_PT6_21rocsparse_index_base_b,comdat
	.globl	_ZN9rocsparseL18bsrxmvn_4x4_kernelILj128ELj16E21rocsparse_complex_numIdEiiS2_S2_S2_EEvT3_20rocsparse_direction_NS_24const_host_device_scalarIT1_EES3_PKS3_PKT2_SC_S9_PKT4_PKT5_S7_PT6_21rocsparse_index_base_b ; -- Begin function _ZN9rocsparseL18bsrxmvn_4x4_kernelILj128ELj16E21rocsparse_complex_numIdEiiS2_S2_S2_EEvT3_20rocsparse_direction_NS_24const_host_device_scalarIT1_EES3_PKS3_PKT2_SC_S9_PKT4_PKT5_S7_PT6_21rocsparse_index_base_b
	.p2align	8
	.type	_ZN9rocsparseL18bsrxmvn_4x4_kernelILj128ELj16E21rocsparse_complex_numIdEiiS2_S2_S2_EEvT3_20rocsparse_direction_NS_24const_host_device_scalarIT1_EES3_PKS3_PKT2_SC_S9_PKT4_PKT5_S7_PT6_21rocsparse_index_base_b,@function
_ZN9rocsparseL18bsrxmvn_4x4_kernelILj128ELj16E21rocsparse_complex_numIdEiiS2_S2_S2_EEvT3_20rocsparse_direction_NS_24const_host_device_scalarIT1_EES3_PKS3_PKT2_SC_S9_PKT4_PKT5_S7_PT6_21rocsparse_index_base_b: ; @_ZN9rocsparseL18bsrxmvn_4x4_kernelILj128ELj16E21rocsparse_complex_numIdEiiS2_S2_S2_EEvT3_20rocsparse_direction_NS_24const_host_device_scalarIT1_EES3_PKS3_PKT2_SC_S9_PKT4_PKT5_S7_PT6_21rocsparse_index_base_b
; %bb.0:
	s_load_dwordx2 s[0:1], s[4:5], 0x8
	s_load_dwordx2 s[16:17], s[4:5], 0x68
	s_add_u32 s7, s4, 8
	s_addc_u32 s8, s5, 0
	s_add_u32 s9, s4, 0x50
	s_addc_u32 s10, s5, 0
	s_waitcnt lgkmcnt(0)
	s_bitcmp1_b32 s17, 0
	s_cselect_b32 s1, s8, s1
	s_cselect_b32 s0, s7, s0
	v_mov_b32_e32 v1, s0
	v_mov_b32_e32 v2, s1
	flat_load_dwordx4 v[5:8], v[1:2]
	s_load_dwordx2 s[2:3], s[4:5], 0x50
	s_waitcnt lgkmcnt(0)
	s_cselect_b32 s0, s10, s3
	s_cselect_b32 s1, s9, s2
	v_mov_b32_e32 v1, s1
	v_mov_b32_e32 v2, s0
	flat_load_dwordx4 v[1:4], v[1:2]
	s_waitcnt vmcnt(0)
	v_cmp_eq_f64_e32 vcc, 0, v[5:6]
	v_cmp_eq_f64_e64 s[0:1], 0, v[7:8]
	s_and_b64 s[8:9], vcc, s[0:1]
	s_mov_b64 s[0:1], -1
	s_and_saveexec_b64 s[2:3], s[8:9]
	s_cbranch_execz .LBB17_2
; %bb.1:
	s_waitcnt lgkmcnt(0)
	v_cmp_neq_f64_e32 vcc, 1.0, v[1:2]
	v_cmp_neq_f64_e64 s[0:1], 0, v[3:4]
	s_or_b64 s[0:1], vcc, s[0:1]
	s_orn2_b64 s[0:1], s[0:1], exec
.LBB17_2:
	s_or_b64 exec, exec, s[2:3]
	s_and_saveexec_b64 s[2:3], s[0:1]
	s_cbranch_execz .LBB17_8
; %bb.3:
	s_load_dwordx2 s[8:9], s[4:5], 0x20
	s_load_dwordx2 s[0:1], s[4:5], 0x0
	v_lshrrev_b32_e32 v9, 4, v0
	v_lshl_or_b32 v25, s6, 3, v9
	s_mov_b64 s[2:3], 0
	s_waitcnt lgkmcnt(0)
	s_cmp_lg_u64 s[8:9], 0
	s_cbranch_scc0 .LBB17_9
; %bb.4:
	s_load_dword s6, s[4:5], 0x18
                                        ; implicit-def: $vgpr9
	s_waitcnt lgkmcnt(0)
	v_cmp_gt_i32_e32 vcc, s6, v25
	s_and_saveexec_b64 s[6:7], vcc
	s_xor_b64 s[6:7], exec, s[6:7]
	s_cbranch_execz .LBB17_6
; %bb.5:
	v_ashrrev_i32_e32 v26, 31, v25
	v_lshlrev_b64 v[9:10], 2, v[25:26]
	v_mov_b32_e32 v11, s9
	v_add_co_u32_e32 v9, vcc, s8, v9
	v_addc_co_u32_e32 v10, vcc, v11, v10, vcc
	global_load_dword v9, v[9:10], off
	s_mov_b64 s[2:3], exec
	s_waitcnt vmcnt(0)
	v_subrev_u32_e32 v9, s16, v9
.LBB17_6:
	s_or_b64 exec, exec, s[6:7]
	s_branch .LBB17_10
.LBB17_7:
	v_cmp_gt_i32_e32 vcc, s0, v25
	s_andn2_b64 s[2:3], s[2:3], exec
	s_and_b64 s[6:7], vcc, exec
	s_or_b64 s[2:3], s[2:3], s[6:7]
	s_and_b64 exec, exec, s[2:3]
	s_cbranch_execnz .LBB17_11
.LBB17_8:
	s_endpgm
.LBB17_9:
                                        ; implicit-def: $vgpr9
	s_cbranch_execnz .LBB17_7
.LBB17_10:
	v_mov_b32_e32 v25, v9
	s_and_b64 exec, exec, s[2:3]
	s_cbranch_execz .LBB17_8
.LBB17_11:
	s_load_dwordx8 s[8:15], s[4:5], 0x28
	v_ashrrev_i32_e32 v26, 31, v25
	v_lshlrev_b64 v[9:10], 2, v[25:26]
	v_and_b32_e32 v0, 15, v0
	s_load_dwordx2 s[6:7], s[4:5], 0x48
	s_waitcnt lgkmcnt(0)
	v_mov_b32_e32 v12, s9
	v_add_co_u32_e32 v11, vcc, s8, v9
	v_addc_co_u32_e32 v12, vcc, v12, v10, vcc
	global_load_dword v55, v[11:12], off
	v_add_co_u32_e32 v11, vcc, 4, v11
	v_addc_co_u32_e32 v12, vcc, 0, v12, vcc
	v_mov_b32_e32 v13, s11
	v_add_co_u32_e32 v9, vcc, s10, v9
	s_cmp_eq_u64 s[10:11], 0
	v_addc_co_u32_e32 v10, vcc, v13, v10, vcc
	s_cselect_b64 vcc, -1, 0
	v_cndmask_b32_e32 v10, v10, v12, vcc
	v_cndmask_b32_e32 v9, v9, v11, vcc
	global_load_dword v9, v[9:10], off
	v_mov_b32_e32 v11, s15
	s_cmp_eq_u32 s1, 1
	s_waitcnt vmcnt(1)
	v_subrev_u32_e32 v10, s16, v55
	v_add_u32_e32 v26, v10, v0
	v_ashrrev_i32_e32 v27, 31, v26
	s_waitcnt vmcnt(0)
	v_subrev_u32_e32 v54, s16, v9
	v_lshlrev_b64 v[9:10], 8, v[26:27]
	v_cmp_lt_i32_e64 s[0:1], v26, v54
	v_add_co_u32_e32 v28, vcc, s14, v9
	v_addc_co_u32_e32 v29, vcc, v11, v10, vcc
	s_cbranch_scc1 .LBB17_23
; %bb.12:
	v_mov_b32_e32 v11, 0
	v_mov_b32_e32 v17, 0
	;; [unrolled: 1-line block ×16, first 2 shown]
	s_and_saveexec_b64 s[8:9], s[0:1]
	s_cbranch_execz .LBB17_22
; %bb.13:
	v_add_u32_e32 v9, v55, v0
	v_subrev_u32_e32 v9, s16, v9
	v_add_u32_e32 v9, 16, v9
	v_max_i32_e32 v9, v9, v54
	v_not_b32_e32 v10, v55
	v_add3_u32 v9, s16, v9, v10
	v_sub_u32_e32 v27, v9, v0
	v_and_b32_e32 v9, 48, v27
	v_cmp_ne_u32_e32 vcc, 48, v9
	v_mov_b32_e32 v9, 0
	v_mov_b32_e32 v13, 0
	;; [unrolled: 1-line block ×19, first 2 shown]
	s_and_saveexec_b64 s[10:11], vcc
	s_cbranch_execz .LBB17_17
; %bb.14:
	v_lshrrev_b32_e32 v9, 4, v27
	v_add_u32_e32 v9, 1, v9
	v_and_b32_e32 v9, 3, v9
	v_sub_u32_e32 v34, 0, v9
	v_mov_b32_e32 v11, 0
	v_mov_b32_e32 v17, 0
	;; [unrolled: 1-line block ×10, first 2 shown]
	s_mov_b64 s[14:15], 0
	v_mov_b32_e32 v35, s13
	v_mov_b32_e32 v36, s7
	v_mov_b32_e32 v30, v26
	v_mov_b32_e32 v18, 0
	v_mov_b32_e32 v24, 0
	v_mov_b32_e32 v20, 0
	v_mov_b32_e32 v22, 0
	v_mov_b32_e32 v16, 0
	v_mov_b32_e32 v14, 0
	v_mov_b32_e32 v10, 0
	v_mov_b32_e32 v32, v28
.LBB17_15:                              ; =>This Inner Loop Header: Depth=1
	v_ashrrev_i32_e32 v31, 31, v30
	v_lshlrev_b64 v[41:42], 2, v[30:31]
	global_load_dwordx4 v[37:40], v[32:33], off
	v_add_co_u32_e32 v41, vcc, s12, v41
	v_addc_co_u32_e32 v42, vcc, v35, v42, vcc
	global_load_dword v31, v[41:42], off
	v_add_co_u32_e64 v34, s[2:3], 1, v34
	s_or_b64 s[14:15], s[2:3], s[14:15]
	v_add_u32_e32 v30, 16, v30
	s_waitcnt vmcnt(0)
	v_subrev_u32_e32 v31, s16, v31
	v_lshlrev_b32_e32 v41, 2, v31
	v_ashrrev_i32_e32 v42, 31, v41
	v_lshlrev_b64 v[41:42], 4, v[41:42]
	v_add_co_u32_e32 v45, vcc, s6, v41
	v_addc_co_u32_e32 v46, vcc, v36, v42, vcc
	global_load_dwordx4 v[41:44], v[45:46], off
	s_waitcnt vmcnt(0)
	v_fma_f64 v[17:18], v[37:38], v[41:42], v[17:18]
	v_fma_f64 v[11:12], v[39:40], v[41:42], v[11:12]
	v_fma_f64 v[17:18], -v[39:40], v[43:44], v[17:18]
	v_fma_f64 v[47:48], v[37:38], v[43:44], v[11:12]
	global_load_dwordx4 v[37:40], v[32:33], off offset:64
	s_waitcnt vmcnt(0)
	v_fma_f64 v[11:12], v[37:38], v[41:42], v[13:14]
	v_fma_f64 v[9:10], v[39:40], v[41:42], v[9:10]
	v_fma_f64 v[39:40], -v[39:40], v[43:44], v[11:12]
	v_fma_f64 v[37:38], v[37:38], v[43:44], v[9:10]
	global_load_dwordx4 v[9:12], v[32:33], off offset:128
	s_waitcnt vmcnt(0)
	v_fma_f64 v[13:14], v[9:10], v[41:42], v[21:22]
	v_fma_f64 v[15:16], v[11:12], v[41:42], v[15:16]
	v_fma_f64 v[21:22], -v[11:12], v[43:44], v[13:14]
	v_fma_f64 v[49:50], v[9:10], v[43:44], v[15:16]
	global_load_dwordx4 v[9:12], v[32:33], off offset:192
	s_waitcnt vmcnt(0)
	v_fma_f64 v[13:14], v[9:10], v[41:42], v[23:24]
	v_fma_f64 v[15:16], v[11:12], v[41:42], v[19:20]
	v_fma_f64 v[19:20], -v[11:12], v[43:44], v[13:14]
	v_fma_f64 v[23:24], v[9:10], v[43:44], v[15:16]
	global_load_dwordx4 v[9:12], v[32:33], off offset:16
	global_load_dwordx4 v[13:16], v[45:46], off offset:16
	s_waitcnt vmcnt(0)
	v_fma_f64 v[17:18], v[9:10], v[13:14], v[17:18]
	v_fma_f64 v[41:42], v[11:12], v[13:14], v[47:48]
	v_fma_f64 v[17:18], -v[11:12], v[15:16], v[17:18]
	v_fma_f64 v[41:42], v[9:10], v[15:16], v[41:42]
	global_load_dwordx4 v[9:12], v[32:33], off offset:80
	s_waitcnt vmcnt(0)
	v_fma_f64 v[39:40], v[9:10], v[13:14], v[39:40]
	v_fma_f64 v[37:38], v[11:12], v[13:14], v[37:38]
	v_fma_f64 v[39:40], -v[11:12], v[15:16], v[39:40]
	v_fma_f64 v[37:38], v[9:10], v[15:16], v[37:38]
	global_load_dwordx4 v[9:12], v[32:33], off offset:144
	s_waitcnt vmcnt(0)
	v_fma_f64 v[21:22], v[9:10], v[13:14], v[21:22]
	v_fma_f64 v[43:44], v[11:12], v[13:14], v[49:50]
	v_fma_f64 v[21:22], -v[11:12], v[15:16], v[21:22]
	v_fma_f64 v[43:44], v[9:10], v[15:16], v[43:44]
	global_load_dwordx4 v[9:12], v[32:33], off offset:208
	s_waitcnt vmcnt(0)
	v_fma_f64 v[19:20], v[9:10], v[13:14], v[19:20]
	v_fma_f64 v[13:14], v[11:12], v[13:14], v[23:24]
	v_fma_f64 v[19:20], -v[11:12], v[15:16], v[19:20]
	v_fma_f64 v[23:24], v[9:10], v[15:16], v[13:14]
	global_load_dwordx4 v[9:12], v[32:33], off offset:32
	global_load_dwordx4 v[13:16], v[45:46], off offset:32
	;; [unrolled: 25-line block ×3, first 2 shown]
	global_load_dwordx4 v[37:40], v[45:46], off offset:48
	s_waitcnt vmcnt(0)
	v_fma_f64 v[13:14], v[9:10], v[37:38], v[17:18]
	v_fma_f64 v[41:42], v[11:12], v[37:38], v[41:42]
	;; [unrolled: 1-line block ×3, first 2 shown]
	v_fma_f64 v[17:18], -v[11:12], v[39:40], v[13:14]
	v_fma_f64 v[11:12], v[9:10], v[39:40], v[41:42]
	v_fma_f64 v[9:10], v[19:20], v[37:38], v[47:48]
	global_load_dwordx4 v[41:44], v[32:33], off offset:176
	v_fma_f64 v[13:14], -v[21:22], v[39:40], v[9:10]
	v_fma_f64 v[9:10], v[19:20], v[39:40], v[45:46]
	global_load_dwordx4 v[45:48], v[32:33], off offset:240
	v_add_co_u32_e32 v32, vcc, 0x1000, v32
	v_addc_co_u32_e32 v33, vcc, 0, v33, vcc
	s_waitcnt vmcnt(1)
	v_fma_f64 v[19:20], v[41:42], v[37:38], v[51:52]
	v_fma_f64 v[49:50], v[43:44], v[37:38], v[56:57]
	v_fma_f64 v[21:22], -v[43:44], v[39:40], v[19:20]
	s_waitcnt vmcnt(0)
	v_fma_f64 v[23:24], v[45:46], v[37:38], v[23:24]
	v_fma_f64 v[37:38], v[47:48], v[37:38], v[15:16]
	;; [unrolled: 1-line block ×3, first 2 shown]
	v_fma_f64 v[23:24], -v[47:48], v[39:40], v[23:24]
	v_fma_f64 v[19:20], v[45:46], v[39:40], v[37:38]
	s_andn2_b64 exec, exec, s[14:15]
	s_cbranch_execnz .LBB17_15
; %bb.16:
	s_or_b64 exec, exec, s[14:15]
.LBB17_17:
	s_or_b64 exec, exec, s[10:11]
	v_cmp_lt_u32_e32 vcc, 47, v27
	s_and_saveexec_b64 s[10:11], vcc
	s_cbranch_execz .LBB17_21
; %bb.18:
	s_mov_b64 s[14:15], 0
	v_mov_b32_e32 v27, s13
	v_mov_b32_e32 v56, s7
	s_movk_i32 s17, 0x1000
	s_movk_i32 s18, 0x2000
	;; [unrolled: 1-line block ×3, first 2 shown]
.LBB17_19:                              ; =>This Inner Loop Header: Depth=1
	v_ashrrev_i32_e32 v31, 31, v30
	v_lshlrev_b64 v[34:35], 2, v[30:31]
	v_add_u32_e32 v30, 64, v30
	v_add_co_u32_e32 v42, vcc, s12, v34
	v_addc_co_u32_e32 v43, vcc, v27, v35, vcc
	global_load_dword v31, v[42:43], off
	global_load_dwordx4 v[34:37], v[32:33], off offset:48
	global_load_dwordx4 v[38:41], v[32:33], off offset:32
	;; [unrolled: 1-line block ×3, first 2 shown]
	global_load_dwordx4 v[48:51], v[32:33], off
	v_cmp_ge_i32_e64 s[2:3], v30, v54
	s_or_b64 s[14:15], s[2:3], s[14:15]
	s_waitcnt vmcnt(4)
	v_subrev_u32_e32 v31, s16, v31
	v_lshlrev_b32_e32 v52, 2, v31
	v_ashrrev_i32_e32 v53, 31, v52
	v_lshlrev_b64 v[52:53], 4, v[52:53]
	v_add_co_u32_e32 v52, vcc, s6, v52
	v_addc_co_u32_e32 v53, vcc, v56, v53, vcc
	global_load_dwordx4 v[57:60], v[52:53], off offset:48
	global_load_dwordx4 v[61:64], v[52:53], off offset:32
	global_load_dwordx4 v[65:68], v[52:53], off offset:16
	global_load_dwordx4 v[69:72], v[52:53], off
	s_waitcnt vmcnt(0)
	v_fma_f64 v[17:18], v[48:49], v[69:70], v[17:18]
	v_fma_f64 v[11:12], v[50:51], v[69:70], v[11:12]
	v_fma_f64 v[17:18], -v[50:51], v[71:72], v[17:18]
	v_fma_f64 v[11:12], v[48:49], v[71:72], v[11:12]
	v_fma_f64 v[17:18], v[44:45], v[65:66], v[17:18]
	v_fma_f64 v[11:12], v[46:47], v[65:66], v[11:12]
	v_fma_f64 v[17:18], -v[46:47], v[67:68], v[17:18]
	v_fma_f64 v[11:12], v[44:45], v[67:68], v[11:12]
	;; [unrolled: 4-line block ×4, first 2 shown]
	global_load_dwordx4 v[34:37], v[32:33], off offset:112
	global_load_dwordx4 v[38:41], v[32:33], off offset:96
	;; [unrolled: 1-line block ×4, first 2 shown]
	s_waitcnt vmcnt(0)
	v_fma_f64 v[11:12], v[48:49], v[69:70], v[13:14]
	v_fma_f64 v[9:10], v[50:51], v[69:70], v[9:10]
	v_fma_f64 v[11:12], -v[50:51], v[71:72], v[11:12]
	v_fma_f64 v[9:10], v[48:49], v[71:72], v[9:10]
	v_fma_f64 v[11:12], v[44:45], v[65:66], v[11:12]
	v_fma_f64 v[9:10], v[46:47], v[65:66], v[9:10]
	v_fma_f64 v[11:12], -v[46:47], v[67:68], v[11:12]
	v_fma_f64 v[9:10], v[44:45], v[67:68], v[9:10]
	;; [unrolled: 4-line block ×4, first 2 shown]
	global_load_dwordx4 v[9:12], v[32:33], off offset:176
	global_load_dwordx4 v[34:37], v[32:33], off offset:160
	;; [unrolled: 1-line block ×4, first 2 shown]
	s_waitcnt vmcnt(0)
	v_fma_f64 v[13:14], v[44:45], v[69:70], v[21:22]
	v_fma_f64 v[15:16], v[46:47], v[69:70], v[15:16]
	v_fma_f64 v[13:14], -v[46:47], v[71:72], v[13:14]
	v_fma_f64 v[15:16], v[44:45], v[71:72], v[15:16]
	v_fma_f64 v[13:14], v[38:39], v[65:66], v[13:14]
	v_fma_f64 v[15:16], v[40:41], v[65:66], v[15:16]
	v_fma_f64 v[13:14], -v[40:41], v[67:68], v[13:14]
	v_fma_f64 v[15:16], v[38:39], v[67:68], v[15:16]
	;; [unrolled: 4-line block ×3, first 2 shown]
	v_fma_f64 v[13:14], v[9:10], v[57:58], v[13:14]
	v_fma_f64 v[81:82], -v[11:12], v[59:60], v[13:14]
	v_fma_f64 v[11:12], v[11:12], v[57:58], v[15:16]
	v_fma_f64 v[83:84], v[9:10], v[59:60], v[11:12]
	global_load_dwordx4 v[9:12], v[32:33], off offset:240
	global_load_dwordx4 v[13:16], v[32:33], off offset:224
	;; [unrolled: 1-line block ×4, first 2 shown]
	s_waitcnt vmcnt(0)
	v_fma_f64 v[17:18], v[38:39], v[69:70], v[23:24]
	v_fma_f64 v[19:20], v[40:41], v[69:70], v[19:20]
	v_fma_f64 v[17:18], -v[40:41], v[71:72], v[17:18]
	v_fma_f64 v[19:20], v[38:39], v[71:72], v[19:20]
	v_fma_f64 v[17:18], v[34:35], v[65:66], v[17:18]
	v_fma_f64 v[19:20], v[36:37], v[65:66], v[19:20]
	v_fma_f64 v[17:18], -v[36:37], v[67:68], v[17:18]
	v_fma_f64 v[19:20], v[34:35], v[67:68], v[19:20]
	v_fma_f64 v[17:18], v[13:14], v[61:62], v[17:18]
	v_fma_f64 v[17:18], -v[15:16], v[63:64], v[17:18]
	v_fma_f64 v[15:16], v[15:16], v[61:62], v[19:20]
	v_fma_f64 v[13:14], v[13:14], v[63:64], v[15:16]
	;; [unrolled: 1-line block ×3, first 2 shown]
	v_fma_f64 v[61:62], -v[11:12], v[59:60], v[15:16]
	v_fma_f64 v[11:12], v[11:12], v[57:58], v[13:14]
	v_fma_f64 v[57:58], v[9:10], v[59:60], v[11:12]
	global_load_dword v9, v[42:43], off offset:64
	v_add_co_u32_e32 v59, vcc, s17, v32
	v_addc_co_u32_e32 v60, vcc, 0, v33, vcc
	v_add_co_u32_e32 v48, vcc, s18, v32
	v_addc_co_u32_e32 v49, vcc, 0, v33, vcc
	s_waitcnt vmcnt(0)
	v_subrev_u32_e32 v9, s16, v9
	v_lshlrev_b32_e32 v34, 2, v9
	v_ashrrev_i32_e32 v35, 31, v34
	v_lshlrev_b64 v[34:35], 4, v[34:35]
	global_load_dwordx4 v[9:12], v[48:49], off offset:-4096
	global_load_dwordx4 v[13:16], v[59:60], off offset:48
	global_load_dwordx4 v[17:20], v[59:60], off offset:32
	;; [unrolled: 1-line block ×3, first 2 shown]
	v_add_co_u32_e32 v63, vcc, s6, v34
	v_addc_co_u32_e32 v64, vcc, v56, v35, vcc
	global_load_dwordx4 v[34:37], v[63:64], off offset:48
	global_load_dwordx4 v[38:41], v[63:64], off offset:32
	;; [unrolled: 1-line block ×3, first 2 shown]
	global_load_dwordx4 v[50:53], v[63:64], off
	s_waitcnt vmcnt(0)
	v_fma_f64 v[63:64], v[9:10], v[50:51], v[73:74]
	v_fma_f64 v[63:64], -v[11:12], v[52:53], v[63:64]
	v_fma_f64 v[11:12], v[11:12], v[50:51], v[75:76]
	v_fma_f64 v[9:10], v[9:10], v[52:53], v[11:12]
	;; [unrolled: 1-line block ×4, first 2 shown]
	v_fma_f64 v[11:12], -v[23:24], v[46:47], v[11:12]
	v_fma_f64 v[9:10], v[21:22], v[46:47], v[9:10]
	v_fma_f64 v[11:12], v[17:18], v[38:39], v[11:12]
	v_fma_f64 v[9:10], v[19:20], v[38:39], v[9:10]
	v_fma_f64 v[11:12], -v[19:20], v[40:41], v[11:12]
	v_fma_f64 v[9:10], v[17:18], v[40:41], v[9:10]
	v_fma_f64 v[11:12], v[13:14], v[34:35], v[11:12]
	;; [unrolled: 1-line block ×3, first 2 shown]
	v_fma_f64 v[63:64], -v[15:16], v[36:37], v[11:12]
	v_fma_f64 v[65:66], v[13:14], v[36:37], v[9:10]
	global_load_dwordx4 v[9:12], v[59:60], off offset:112
	global_load_dwordx4 v[13:16], v[59:60], off offset:96
	global_load_dwordx4 v[17:20], v[59:60], off offset:80
	global_load_dwordx4 v[21:24], v[59:60], off offset:64
	s_waitcnt vmcnt(0)
	v_fma_f64 v[67:68], v[21:22], v[50:51], v[77:78]
	v_fma_f64 v[67:68], -v[23:24], v[52:53], v[67:68]
	v_fma_f64 v[23:24], v[23:24], v[50:51], v[79:80]
	v_fma_f64 v[21:22], v[21:22], v[52:53], v[23:24]
	v_fma_f64 v[23:24], v[17:18], v[44:45], v[67:68]
	v_fma_f64 v[23:24], -v[19:20], v[46:47], v[23:24]
	v_fma_f64 v[19:20], v[19:20], v[44:45], v[21:22]
	v_fma_f64 v[17:18], v[17:18], v[46:47], v[19:20]
	v_fma_f64 v[19:20], v[13:14], v[38:39], v[23:24]
	v_fma_f64 v[19:20], -v[15:16], v[40:41], v[19:20]
	v_fma_f64 v[15:16], v[15:16], v[38:39], v[17:18]
	v_fma_f64 v[13:14], v[13:14], v[40:41], v[15:16]
	v_fma_f64 v[15:16], v[9:10], v[34:35], v[19:20]
	v_fma_f64 v[67:68], -v[11:12], v[36:37], v[15:16]
	v_fma_f64 v[11:12], v[11:12], v[34:35], v[13:14]
	v_fma_f64 v[69:70], v[9:10], v[36:37], v[11:12]
	global_load_dwordx4 v[9:12], v[59:60], off offset:176
	global_load_dwordx4 v[13:16], v[59:60], off offset:160
	global_load_dwordx4 v[17:20], v[59:60], off offset:144
	global_load_dwordx4 v[21:24], v[59:60], off offset:128
	s_waitcnt vmcnt(0)
	v_fma_f64 v[71:72], v[21:22], v[50:51], v[81:82]
	v_fma_f64 v[71:72], -v[23:24], v[52:53], v[71:72]
	v_fma_f64 v[23:24], v[23:24], v[50:51], v[83:84]
	v_fma_f64 v[21:22], v[21:22], v[52:53], v[23:24]
	v_fma_f64 v[23:24], v[17:18], v[44:45], v[71:72]
	v_fma_f64 v[23:24], -v[19:20], v[46:47], v[23:24]
	v_fma_f64 v[19:20], v[19:20], v[44:45], v[21:22]
	v_fma_f64 v[17:18], v[17:18], v[46:47], v[19:20]
	v_fma_f64 v[19:20], v[13:14], v[38:39], v[23:24]
	v_fma_f64 v[19:20], -v[15:16], v[40:41], v[19:20]
	v_fma_f64 v[15:16], v[15:16], v[38:39], v[17:18]
	v_fma_f64 v[13:14], v[13:14], v[40:41], v[15:16]
	v_fma_f64 v[15:16], v[9:10], v[34:35], v[19:20]
	v_fma_f64 v[71:72], -v[11:12], v[36:37], v[15:16]
	v_fma_f64 v[11:12], v[11:12], v[34:35], v[13:14]
	;; [unrolled: 21-line block ×3, first 2 shown]
	v_fma_f64 v[52:53], v[9:10], v[36:37], v[11:12]
	global_load_dword v9, v[42:43], off offset:128
	global_load_dwordx4 v[34:37], v[48:49], off
	global_load_dwordx4 v[38:41], v[48:49], off offset:48
	global_load_dwordx4 v[44:47], v[48:49], off offset:32
	global_load_dwordx4 v[57:60], v[48:49], off offset:16
	s_waitcnt vmcnt(4)
	v_subrev_u32_e32 v9, s16, v9
	v_lshlrev_b32_e32 v9, 2, v9
	v_ashrrev_i32_e32 v10, 31, v9
	v_lshlrev_b64 v[9:10], 4, v[9:10]
	v_add_co_u32_e32 v61, vcc, s6, v9
	v_addc_co_u32_e32 v62, vcc, v56, v10, vcc
	global_load_dwordx4 v[9:12], v[61:62], off offset:48
	global_load_dwordx4 v[13:16], v[61:62], off offset:32
	;; [unrolled: 1-line block ×3, first 2 shown]
	global_load_dwordx4 v[21:24], v[61:62], off
	s_waitcnt vmcnt(0)
	v_fma_f64 v[61:62], v[34:35], v[21:22], v[63:64]
	v_fma_f64 v[61:62], -v[36:37], v[23:24], v[61:62]
	v_fma_f64 v[36:37], v[36:37], v[21:22], v[65:66]
	v_fma_f64 v[34:35], v[34:35], v[23:24], v[36:37]
	;; [unrolled: 1-line block ×4, first 2 shown]
	v_fma_f64 v[36:37], -v[59:60], v[19:20], v[36:37]
	v_fma_f64 v[34:35], v[57:58], v[19:20], v[34:35]
	v_fma_f64 v[36:37], v[44:45], v[13:14], v[36:37]
	;; [unrolled: 1-line block ×3, first 2 shown]
	v_fma_f64 v[36:37], -v[46:47], v[15:16], v[36:37]
	v_fma_f64 v[34:35], v[44:45], v[15:16], v[34:35]
	v_fma_f64 v[36:37], v[38:39], v[9:10], v[36:37]
	;; [unrolled: 1-line block ×3, first 2 shown]
	v_fma_f64 v[44:45], -v[40:41], v[11:12], v[36:37]
	v_fma_f64 v[46:47], v[38:39], v[11:12], v[34:35]
	global_load_dwordx4 v[34:37], v[48:49], off offset:112
	global_load_dwordx4 v[38:41], v[48:49], off offset:96
	;; [unrolled: 1-line block ×4, first 2 shown]
	s_waitcnt vmcnt(0)
	v_fma_f64 v[65:66], v[61:62], v[21:22], v[67:68]
	v_fma_f64 v[65:66], -v[63:64], v[23:24], v[65:66]
	v_fma_f64 v[63:64], v[63:64], v[21:22], v[69:70]
	v_fma_f64 v[61:62], v[61:62], v[23:24], v[63:64]
	v_fma_f64 v[63:64], v[57:58], v[17:18], v[65:66]
	v_fma_f64 v[63:64], -v[59:60], v[19:20], v[63:64]
	v_fma_f64 v[59:60], v[59:60], v[17:18], v[61:62]
	v_fma_f64 v[57:58], v[57:58], v[19:20], v[59:60]
	;; [unrolled: 4-line block ×4, first 2 shown]
	global_load_dwordx4 v[57:60], v[48:49], off offset:176
	global_load_dwordx4 v[34:37], v[48:49], off offset:160
	;; [unrolled: 1-line block ×4, first 2 shown]
	s_waitcnt vmcnt(0)
	v_fma_f64 v[69:70], v[65:66], v[21:22], v[71:72]
	v_fma_f64 v[69:70], -v[67:68], v[23:24], v[69:70]
	v_fma_f64 v[67:68], v[67:68], v[21:22], v[73:74]
	v_fma_f64 v[65:66], v[65:66], v[23:24], v[67:68]
	v_fma_f64 v[67:68], v[61:62], v[17:18], v[69:70]
	v_fma_f64 v[67:68], -v[63:64], v[19:20], v[67:68]
	v_fma_f64 v[63:64], v[63:64], v[17:18], v[65:66]
	v_fma_f64 v[61:62], v[61:62], v[19:20], v[63:64]
	;; [unrolled: 4-line block ×3, first 2 shown]
	v_fma_f64 v[34:35], v[57:58], v[9:10], v[63:64]
	v_fma_f64 v[36:37], v[59:60], v[9:10], v[36:37]
	v_fma_f64 v[34:35], -v[59:60], v[11:12], v[34:35]
	v_fma_f64 v[36:37], v[57:58], v[11:12], v[36:37]
	global_load_dwordx4 v[57:60], v[48:49], off offset:240
	global_load_dwordx4 v[61:64], v[48:49], off offset:224
	global_load_dwordx4 v[65:68], v[48:49], off offset:208
	global_load_dwordx4 v[69:72], v[48:49], off offset:192
	s_waitcnt vmcnt(0)
	v_fma_f64 v[48:49], v[69:70], v[21:22], v[50:51]
	v_fma_f64 v[21:22], v[71:72], v[21:22], v[52:53]
	v_fma_f64 v[48:49], -v[71:72], v[23:24], v[48:49]
	v_fma_f64 v[21:22], v[69:70], v[23:24], v[21:22]
	v_fma_f64 v[23:24], v[65:66], v[17:18], v[48:49]
	v_fma_f64 v[17:18], v[67:68], v[17:18], v[21:22]
	v_fma_f64 v[23:24], -v[67:68], v[19:20], v[23:24]
	v_fma_f64 v[17:18], v[65:66], v[19:20], v[17:18]
	;; [unrolled: 4-line block ×4, first 2 shown]
	global_load_dword v9, v[42:43], off offset:192
	v_add_co_u32_e32 v42, vcc, s19, v32
	v_addc_co_u32_e32 v43, vcc, 0, v33, vcc
	s_waitcnt vmcnt(0)
	v_subrev_u32_e32 v9, s16, v9
	v_lshlrev_b32_e32 v17, 2, v9
	v_ashrrev_i32_e32 v18, 31, v17
	v_lshlrev_b64 v[17:18], 4, v[17:18]
	global_load_dwordx4 v[9:12], v[42:43], off
	global_load_dwordx4 v[13:16], v[42:43], off offset:48
	global_load_dwordx4 v[48:51], v[42:43], off offset:32
	;; [unrolled: 1-line block ×3, first 2 shown]
	v_add_co_u32_e32 v17, vcc, s6, v17
	v_addc_co_u32_e32 v18, vcc, v56, v18, vcc
	global_load_dwordx4 v[61:64], v[17:18], off offset:48
	global_load_dwordx4 v[65:68], v[17:18], off offset:32
	;; [unrolled: 1-line block ×3, first 2 shown]
	global_load_dwordx4 v[73:76], v[17:18], off
	v_add_co_u32_e32 v32, vcc, 0x4000, v32
	v_addc_co_u32_e32 v33, vcc, 0, v33, vcc
	s_waitcnt vmcnt(0)
	v_fma_f64 v[17:18], v[9:10], v[73:74], v[44:45]
	v_fma_f64 v[17:18], -v[11:12], v[75:76], v[17:18]
	v_fma_f64 v[11:12], v[11:12], v[73:74], v[46:47]
	v_fma_f64 v[9:10], v[9:10], v[75:76], v[11:12]
	;; [unrolled: 1-line block ×4, first 2 shown]
	v_fma_f64 v[11:12], -v[59:60], v[71:72], v[11:12]
	v_fma_f64 v[9:10], v[57:58], v[71:72], v[9:10]
	v_fma_f64 v[11:12], v[48:49], v[65:66], v[11:12]
	;; [unrolled: 1-line block ×3, first 2 shown]
	v_fma_f64 v[11:12], -v[50:51], v[67:68], v[11:12]
	v_fma_f64 v[9:10], v[48:49], v[67:68], v[9:10]
	v_fma_f64 v[11:12], v[13:14], v[61:62], v[11:12]
	;; [unrolled: 1-line block ×3, first 2 shown]
	v_fma_f64 v[17:18], -v[15:16], v[63:64], v[11:12]
	v_fma_f64 v[11:12], v[13:14], v[63:64], v[9:10]
	global_load_dwordx4 v[44:47], v[42:43], off offset:112
	global_load_dwordx4 v[13:16], v[42:43], off offset:96
	;; [unrolled: 1-line block ×4, first 2 shown]
	s_waitcnt vmcnt(0)
	v_fma_f64 v[9:10], v[57:58], v[73:74], v[38:39]
	v_fma_f64 v[21:22], v[59:60], v[73:74], v[40:41]
	v_fma_f64 v[9:10], -v[59:60], v[75:76], v[9:10]
	v_fma_f64 v[21:22], v[57:58], v[75:76], v[21:22]
	v_fma_f64 v[9:10], v[48:49], v[69:70], v[9:10]
	;; [unrolled: 1-line block ×3, first 2 shown]
	v_fma_f64 v[9:10], -v[50:51], v[71:72], v[9:10]
	v_fma_f64 v[21:22], v[48:49], v[71:72], v[21:22]
	v_fma_f64 v[9:10], v[13:14], v[65:66], v[9:10]
	v_fma_f64 v[9:10], -v[15:16], v[67:68], v[9:10]
	v_fma_f64 v[15:16], v[15:16], v[65:66], v[21:22]
	v_fma_f64 v[9:10], v[44:45], v[61:62], v[9:10]
	;; [unrolled: 1-line block ×3, first 2 shown]
	v_fma_f64 v[13:14], -v[46:47], v[63:64], v[9:10]
	v_fma_f64 v[9:10], v[46:47], v[61:62], v[15:16]
	v_fma_f64 v[9:10], v[44:45], v[63:64], v[9:10]
	global_load_dwordx4 v[38:41], v[42:43], off offset:176
	global_load_dwordx4 v[44:47], v[42:43], off offset:160
	global_load_dwordx4 v[48:51], v[42:43], off offset:144
	global_load_dwordx4 v[57:60], v[42:43], off offset:128
	s_waitcnt vmcnt(0)
	v_fma_f64 v[15:16], v[57:58], v[73:74], v[34:35]
	v_fma_f64 v[21:22], v[59:60], v[73:74], v[36:37]
	v_fma_f64 v[15:16], -v[59:60], v[75:76], v[15:16]
	v_fma_f64 v[21:22], v[57:58], v[75:76], v[21:22]
	v_fma_f64 v[15:16], v[48:49], v[69:70], v[15:16]
	v_fma_f64 v[21:22], v[50:51], v[69:70], v[21:22]
	v_fma_f64 v[15:16], -v[50:51], v[71:72], v[15:16]
	v_fma_f64 v[21:22], v[48:49], v[71:72], v[21:22]
	;; [unrolled: 4-line block ×3, first 2 shown]
	v_fma_f64 v[15:16], v[38:39], v[61:62], v[15:16]
	v_fma_f64 v[21:22], -v[40:41], v[63:64], v[15:16]
	v_fma_f64 v[15:16], v[40:41], v[61:62], v[34:35]
	v_fma_f64 v[15:16], v[38:39], v[63:64], v[15:16]
	global_load_dwordx4 v[34:37], v[42:43], off offset:240
	global_load_dwordx4 v[38:41], v[42:43], off offset:224
	global_load_dwordx4 v[44:47], v[42:43], off offset:208
	global_load_dwordx4 v[48:51], v[42:43], off offset:192
	s_waitcnt vmcnt(0)
	v_fma_f64 v[23:24], v[48:49], v[73:74], v[23:24]
	v_fma_f64 v[19:20], v[50:51], v[73:74], v[19:20]
	v_fma_f64 v[23:24], -v[50:51], v[75:76], v[23:24]
	v_fma_f64 v[19:20], v[48:49], v[75:76], v[19:20]
	v_fma_f64 v[23:24], v[44:45], v[69:70], v[23:24]
	v_fma_f64 v[19:20], v[46:47], v[69:70], v[19:20]
	v_fma_f64 v[23:24], -v[46:47], v[71:72], v[23:24]
	v_fma_f64 v[19:20], v[44:45], v[71:72], v[19:20]
	;; [unrolled: 4-line block ×4, first 2 shown]
	s_andn2_b64 exec, exec, s[14:15]
	s_cbranch_execnz .LBB17_19
; %bb.20:
	s_or_b64 exec, exec, s[14:15]
.LBB17_21:
	s_or_b64 exec, exec, s[10:11]
.LBB17_22:
	s_or_b64 exec, exec, s[8:9]
	s_cbranch_execz .LBB17_24
	s_branch .LBB17_35
.LBB17_23:
                                        ; implicit-def: $vgpr11_vgpr12
                                        ; implicit-def: $vgpr17_vgpr18
                                        ; implicit-def: $vgpr23_vgpr24
                                        ; implicit-def: $vgpr19_vgpr20
                                        ; implicit-def: $vgpr21_vgpr22
                                        ; implicit-def: $vgpr15_vgpr16
                                        ; implicit-def: $vgpr13_vgpr14
                                        ; implicit-def: $vgpr9_vgpr10
.LBB17_24:
	v_mov_b32_e32 v11, 0
	v_mov_b32_e32 v17, 0
	;; [unrolled: 1-line block ×16, first 2 shown]
	s_and_saveexec_b64 s[2:3], s[0:1]
	s_cbranch_execz .LBB17_34
; %bb.25:
	v_add_u32_e32 v9, v55, v0
	v_subrev_u32_e32 v9, s16, v9
	v_add_u32_e32 v9, 16, v9
	v_max_i32_e32 v9, v9, v54
	v_not_b32_e32 v10, v55
	v_add3_u32 v9, s16, v9, v10
	v_sub_u32_e32 v30, v9, v0
	v_and_b32_e32 v27, 48, v30
	v_mov_b32_e32 v9, 0
	v_mov_b32_e32 v13, 0
	v_mov_b32_e32 v15, 0
	v_mov_b32_e32 v21, 0
	v_mov_b32_e32 v19, 0
	v_mov_b32_e32 v23, 0
	v_mov_b32_e32 v17, 0
	v_mov_b32_e32 v11, 0
	v_mov_b32_e32 v10, 0
	v_mov_b32_e32 v14, 0
	v_mov_b32_e32 v16, 0
	v_mov_b32_e32 v22, 0
	v_mov_b32_e32 v20, 0
	v_mov_b32_e32 v24, 0
	v_mov_b32_e32 v18, 0
	v_mov_b32_e32 v12, 0
	v_cmp_ne_u32_e32 vcc, 48, v27
	s_and_saveexec_b64 s[8:9], vcc
	s_cbranch_execz .LBB17_29
; %bb.26:
	v_lshrrev_b32_e32 v9, 4, v30
	v_add_u32_e32 v9, 1, v9
	v_and_b32_e32 v9, 3, v9
	v_sub_u32_e32 v31, 0, v9
	v_mov_b32_e32 v11, 0
	v_mov_b32_e32 v17, 0
	;; [unrolled: 1-line block ×9, first 2 shown]
	s_mov_b64 s[10:11], 0
	v_mov_b32_e32 v32, s13
	v_mov_b32_e32 v18, 0
	;; [unrolled: 1-line block ×9, first 2 shown]
.LBB17_27:                              ; =>This Inner Loop Header: Depth=1
	v_ashrrev_i32_e32 v27, 31, v26
	v_lshlrev_b64 v[59:60], 2, v[26:27]
	global_load_dwordx4 v[34:37], v[28:29], off offset:48
	global_load_dwordx4 v[38:41], v[28:29], off offset:32
	;; [unrolled: 1-line block ×3, first 2 shown]
	global_load_dwordx4 v[46:49], v[28:29], off
	global_load_dwordx4 v[50:53], v[28:29], off offset:112
	global_load_dwordx4 v[55:58], v[28:29], off offset:96
	v_add_co_u32_e32 v59, vcc, s12, v59
	v_addc_co_u32_e32 v60, vcc, v32, v60, vcc
	global_load_dword v27, v[59:60], off
	v_add_co_u32_e64 v31, s[0:1], 1, v31
	s_or_b64 s[10:11], s[0:1], s[10:11]
	v_add_u32_e32 v26, 16, v26
	s_waitcnt vmcnt(0)
	v_subrev_u32_e32 v27, s16, v27
	v_lshlrev_b32_e32 v59, 2, v27
	v_ashrrev_i32_e32 v60, 31, v59
	v_lshlrev_b64 v[59:60], 4, v[59:60]
	v_add_co_u32_e32 v63, vcc, s6, v59
	v_addc_co_u32_e32 v64, vcc, v33, v60, vcc
	global_load_dwordx4 v[59:62], v[63:64], off
	s_waitcnt vmcnt(0)
	v_fma_f64 v[17:18], v[46:47], v[59:60], v[17:18]
	v_fma_f64 v[11:12], v[48:49], v[59:60], v[11:12]
	;; [unrolled: 1-line block ×5, first 2 shown]
	v_fma_f64 v[65:66], -v[48:49], v[61:62], v[17:18]
	v_fma_f64 v[67:68], v[46:47], v[61:62], v[11:12]
	v_fma_f64 v[11:12], v[42:43], v[59:60], v[13:14]
	v_fma_f64 v[13:14], v[38:39], v[59:60], v[21:22]
	v_fma_f64 v[17:18], v[34:35], v[59:60], v[23:24]
	global_load_dwordx4 v[46:49], v[28:29], off offset:80
	v_fma_f64 v[42:43], v[42:43], v[61:62], v[9:10]
	v_fma_f64 v[38:39], v[38:39], v[61:62], v[15:16]
	v_fma_f64 v[44:45], -v[44:45], v[61:62], v[11:12]
	global_load_dwordx4 v[9:12], v[28:29], off offset:64
	v_fma_f64 v[40:41], -v[40:41], v[61:62], v[13:14]
	global_load_dwordx4 v[13:16], v[28:29], off offset:176
	v_fma_f64 v[59:60], -v[36:37], v[61:62], v[17:18]
	v_fma_f64 v[61:62], v[34:35], v[61:62], v[19:20]
	global_load_dwordx4 v[17:20], v[28:29], off offset:160
	global_load_dwordx4 v[21:24], v[63:64], off offset:16
	s_waitcnt vmcnt(0)
	v_fma_f64 v[34:35], v[9:10], v[21:22], v[65:66]
	v_fma_f64 v[36:37], v[11:12], v[21:22], v[67:68]
	;; [unrolled: 1-line block ×4, first 2 shown]
	v_fma_f64 v[65:66], -v[11:12], v[23:24], v[34:35]
	v_fma_f64 v[67:68], v[9:10], v[23:24], v[36:37]
	v_fma_f64 v[34:35], v[46:47], v[21:22], v[44:45]
	;; [unrolled: 1-line block ×5, first 2 shown]
	global_load_dwordx4 v[9:12], v[28:29], off offset:144
	v_fma_f64 v[57:58], -v[57:58], v[23:24], v[40:41]
	v_fma_f64 v[55:56], v[55:56], v[23:24], v[38:39]
	global_load_dwordx4 v[38:41], v[28:29], off offset:224
	v_fma_f64 v[48:49], -v[48:49], v[23:24], v[34:35]
	v_fma_f64 v[46:47], v[46:47], v[23:24], v[36:37]
	;; [unrolled: 3-line block ×3, first 2 shown]
	global_load_dwordx4 v[21:24], v[28:29], off offset:208
	global_load_dwordx4 v[42:45], v[63:64], off offset:32
	s_waitcnt vmcnt(0)
	v_fma_f64 v[59:60], v[34:35], v[42:43], v[65:66]
	v_fma_f64 v[61:62], v[36:37], v[42:43], v[67:68]
	;; [unrolled: 1-line block ×8, first 2 shown]
	v_fma_f64 v[59:60], -v[36:37], v[44:45], v[59:60]
	v_fma_f64 v[61:62], v[34:35], v[44:45], v[61:62]
	global_load_dwordx4 v[34:37], v[28:29], off offset:192
	v_fma_f64 v[11:12], -v[11:12], v[44:45], v[48:49]
	v_fma_f64 v[9:10], v[9:10], v[44:45], v[46:47]
	global_load_dwordx4 v[46:49], v[28:29], off offset:240
	;; [unrolled: 3-line block ×3, first 2 shown]
	v_fma_f64 v[15:16], -v[15:16], v[44:45], v[52:53]
	v_fma_f64 v[13:14], v[13:14], v[44:45], v[42:43]
	v_add_co_u32_e32 v28, vcc, 0x1000, v28
	v_addc_co_u32_e32 v29, vcc, 0, v29, vcc
	s_waitcnt vmcnt(0)
	v_fma_f64 v[42:43], v[34:35], v[17:18], v[59:60]
	v_fma_f64 v[44:45], v[36:37], v[17:18], v[61:62]
	;; [unrolled: 1-line block ×8, first 2 shown]
	v_fma_f64 v[17:18], -v[36:37], v[19:20], v[42:43]
	v_fma_f64 v[11:12], v[34:35], v[19:20], v[44:45]
	v_fma_f64 v[13:14], -v[23:24], v[19:20], v[50:51]
	v_fma_f64 v[9:10], v[21:22], v[19:20], v[9:10]
	;; [unrolled: 2-line block ×4, first 2 shown]
	s_andn2_b64 exec, exec, s[10:11]
	s_cbranch_execnz .LBB17_27
; %bb.28:
	s_or_b64 exec, exec, s[10:11]
.LBB17_29:
	s_or_b64 exec, exec, s[8:9]
	v_cmp_lt_u32_e32 vcc, 47, v30
	s_and_saveexec_b64 s[8:9], vcc
	s_cbranch_execz .LBB17_33
; %bb.30:
	s_mov_b64 s[10:11], 0
	v_mov_b32_e32 v34, s13
	v_mov_b32_e32 v35, s7
	s_movk_i32 s7, 0x1000
	s_movk_i32 s13, 0x2000
	;; [unrolled: 1-line block ×3, first 2 shown]
.LBB17_31:                              ; =>This Inner Loop Header: Depth=1
	v_ashrrev_i32_e32 v27, 31, v26
	v_lshlrev_b64 v[30:31], 2, v[26:27]
	v_add_u32_e32 v26, 64, v26
	v_add_co_u32_e32 v30, vcc, s12, v30
	v_addc_co_u32_e32 v31, vcc, v34, v31, vcc
	global_load_dword v27, v[30:31], off
	global_load_dwordx4 v[36:39], v[28:29], off offset:48
	global_load_dwordx4 v[40:43], v[28:29], off offset:32
	;; [unrolled: 1-line block ×3, first 2 shown]
	global_load_dwordx4 v[48:51], v[28:29], off
	v_cmp_ge_i32_e64 s[0:1], v26, v54
	s_or_b64 s[10:11], s[0:1], s[10:11]
	s_waitcnt vmcnt(4)
	v_subrev_u32_e32 v27, s16, v27
	v_lshlrev_b32_e32 v32, 2, v27
	v_ashrrev_i32_e32 v33, 31, v32
	v_lshlrev_b64 v[32:33], 4, v[32:33]
	v_add_co_u32_e32 v32, vcc, s6, v32
	v_addc_co_u32_e32 v33, vcc, v35, v33, vcc
	global_load_dwordx4 v[55:58], v[32:33], off offset:48
	global_load_dwordx4 v[59:62], v[32:33], off offset:32
	;; [unrolled: 1-line block ×3, first 2 shown]
	global_load_dwordx4 v[67:70], v[32:33], off
	s_waitcnt vmcnt(0)
	v_fma_f64 v[11:12], v[50:51], v[67:68], v[11:12]
	v_fma_f64 v[9:10], v[46:47], v[67:68], v[9:10]
	;; [unrolled: 1-line block ×7, first 2 shown]
	v_fma_f64 v[32:33], -v[50:51], v[69:70], v[17:18]
	v_fma_f64 v[50:51], -v[46:47], v[69:70], v[11:12]
	;; [unrolled: 1-line block ×3, first 2 shown]
	v_fma_f64 v[9:10], v[42:43], v[67:68], v[15:16]
	v_fma_f64 v[40:41], v[40:41], v[69:70], v[9:10]
	v_fma_f64 v[9:10], v[36:37], v[67:68], v[23:24]
	v_fma_f64 v[42:43], -v[38:39], v[69:70], v[9:10]
	v_fma_f64 v[9:10], v[38:39], v[67:68], v[19:20]
	v_fma_f64 v[36:37], v[36:37], v[69:70], v[9:10]
	global_load_dwordx4 v[9:12], v[28:29], off offset:112
	global_load_dwordx4 v[13:16], v[28:29], off offset:96
	;; [unrolled: 1-line block ×4, first 2 shown]
	v_add_co_u32_e32 v69, vcc, s7, v28
	v_addc_co_u32_e32 v70, vcc, 0, v29, vcc
	s_waitcnt vmcnt(0)
	v_fma_f64 v[32:33], v[21:22], v[63:64], v[32:33]
	v_fma_f64 v[32:33], -v[23:24], v[65:66], v[32:33]
	v_fma_f64 v[23:24], v[23:24], v[63:64], v[48:49]
	v_fma_f64 v[38:39], v[21:22], v[65:66], v[23:24]
	v_fma_f64 v[21:22], v[17:18], v[63:64], v[50:51]
	v_fma_f64 v[48:49], -v[19:20], v[65:66], v[21:22]
	v_fma_f64 v[19:20], v[19:20], v[63:64], v[44:45]
	v_fma_f64 v[44:45], v[17:18], v[65:66], v[19:20]
	;; [unrolled: 4-line block ×4, first 2 shown]
	global_load_dwordx4 v[9:12], v[28:29], off offset:176
	global_load_dwordx4 v[13:16], v[28:29], off offset:160
	;; [unrolled: 1-line block ×4, first 2 shown]
	s_waitcnt vmcnt(0)
	v_fma_f64 v[32:33], v[21:22], v[59:60], v[32:33]
	v_fma_f64 v[32:33], -v[23:24], v[61:62], v[32:33]
	v_fma_f64 v[23:24], v[23:24], v[59:60], v[38:39]
	v_fma_f64 v[38:39], v[21:22], v[61:62], v[23:24]
	v_fma_f64 v[21:22], v[17:18], v[59:60], v[48:49]
	v_fma_f64 v[48:49], -v[19:20], v[61:62], v[21:22]
	v_fma_f64 v[19:20], v[19:20], v[59:60], v[44:45]
	v_fma_f64 v[44:45], v[17:18], v[61:62], v[19:20]
	;; [unrolled: 4-line block ×4, first 2 shown]
	global_load_dwordx4 v[9:12], v[28:29], off offset:240
	global_load_dwordx4 v[13:16], v[28:29], off offset:224
	;; [unrolled: 1-line block ×4, first 2 shown]
	s_waitcnt vmcnt(0)
	v_fma_f64 v[32:33], v[21:22], v[55:56], v[32:33]
	v_fma_f64 v[32:33], -v[23:24], v[57:58], v[32:33]
	v_fma_f64 v[23:24], v[23:24], v[55:56], v[38:39]
	v_fma_f64 v[23:24], v[21:22], v[57:58], v[23:24]
	v_fma_f64 v[21:22], v[17:18], v[55:56], v[48:49]
	v_fma_f64 v[52:53], -v[19:20], v[57:58], v[21:22]
	v_fma_f64 v[19:20], v[19:20], v[55:56], v[44:45]
	v_fma_f64 v[59:60], v[17:18], v[57:58], v[19:20]
	;; [unrolled: 4-line block ×3, first 2 shown]
	v_fma_f64 v[13:14], v[9:10], v[55:56], v[42:43]
	v_fma_f64 v[65:66], -v[11:12], v[57:58], v[13:14]
	v_fma_f64 v[11:12], v[11:12], v[55:56], v[36:37]
	v_add_co_u32_e32 v13, vcc, s13, v28
	v_addc_co_u32_e32 v14, vcc, 0, v29, vcc
	v_fma_f64 v[67:68], v[9:10], v[57:58], v[11:12]
	global_load_dword v9, v[30:31], off offset:64
	s_waitcnt vmcnt(0)
	v_subrev_u32_e32 v9, s16, v9
	v_lshlrev_b32_e32 v40, 2, v9
	v_ashrrev_i32_e32 v41, 31, v40
	v_lshlrev_b64 v[40:41], 4, v[40:41]
	global_load_dwordx4 v[9:12], v[13:14], off offset:-4096
	global_load_dwordx4 v[15:18], v[69:70], off offset:48
	global_load_dwordx4 v[19:22], v[69:70], off offset:32
	global_load_dwordx4 v[36:39], v[69:70], off offset:16
	v_add_co_u32_e32 v71, vcc, s6, v40
	v_addc_co_u32_e32 v72, vcc, v35, v41, vcc
	global_load_dwordx4 v[40:43], v[71:72], off offset:48
	global_load_dwordx4 v[44:47], v[71:72], off offset:32
	;; [unrolled: 1-line block ×3, first 2 shown]
	global_load_dwordx4 v[55:58], v[71:72], off
	s_waitcnt vmcnt(0)
	v_fma_f64 v[32:33], v[9:10], v[55:56], v[32:33]
	v_fma_f64 v[32:33], -v[11:12], v[57:58], v[32:33]
	v_fma_f64 v[11:12], v[11:12], v[55:56], v[23:24]
	v_fma_f64 v[23:24], v[9:10], v[57:58], v[11:12]
	v_fma_f64 v[9:10], v[36:37], v[55:56], v[52:53]
	v_fma_f64 v[52:53], -v[38:39], v[57:58], v[9:10]
	v_fma_f64 v[9:10], v[38:39], v[55:56], v[59:60]
	v_fma_f64 v[59:60], v[36:37], v[57:58], v[9:10]
	;; [unrolled: 4-line block ×4, first 2 shown]
	global_load_dwordx4 v[9:12], v[69:70], off offset:112
	global_load_dwordx4 v[15:18], v[69:70], off offset:96
	global_load_dwordx4 v[19:22], v[69:70], off offset:80
	global_load_dwordx4 v[36:39], v[69:70], off offset:64
	s_waitcnt vmcnt(0)
	v_fma_f64 v[23:24], v[38:39], v[48:49], v[23:24]
	v_fma_f64 v[32:33], v[36:37], v[48:49], v[32:33]
	v_fma_f64 v[23:24], v[36:37], v[50:51], v[23:24]
	v_fma_f64 v[36:37], v[19:20], v[48:49], v[52:53]
	v_fma_f64 v[32:33], -v[38:39], v[50:51], v[32:33]
	v_fma_f64 v[52:53], -v[21:22], v[50:51], v[36:37]
	v_fma_f64 v[21:22], v[21:22], v[48:49], v[59:60]
	v_fma_f64 v[57:58], v[19:20], v[50:51], v[21:22]
	v_fma_f64 v[19:20], v[15:16], v[48:49], v[61:62]
	v_fma_f64 v[59:60], -v[17:18], v[50:51], v[19:20]
	v_fma_f64 v[17:18], v[17:18], v[48:49], v[63:64]
	v_fma_f64 v[61:62], v[15:16], v[50:51], v[17:18]
	v_fma_f64 v[15:16], v[9:10], v[48:49], v[65:66]
	v_fma_f64 v[63:64], -v[11:12], v[50:51], v[15:16]
	v_fma_f64 v[11:12], v[11:12], v[48:49], v[55:56]
	v_fma_f64 v[48:49], v[9:10], v[50:51], v[11:12]
	global_load_dwordx4 v[9:12], v[69:70], off offset:176
	global_load_dwordx4 v[15:18], v[69:70], off offset:160
	global_load_dwordx4 v[19:22], v[69:70], off offset:144
	global_load_dwordx4 v[36:39], v[69:70], off offset:128
	s_waitcnt vmcnt(0)
	v_fma_f64 v[23:24], v[38:39], v[44:45], v[23:24]
	v_fma_f64 v[32:33], v[36:37], v[44:45], v[32:33]
	v_fma_f64 v[23:24], v[36:37], v[46:47], v[23:24]
	v_fma_f64 v[36:37], v[19:20], v[44:45], v[52:53]
	v_fma_f64 v[32:33], -v[38:39], v[46:47], v[32:33]
	v_fma_f64 v[50:51], -v[21:22], v[46:47], v[36:37]
	v_fma_f64 v[21:22], v[21:22], v[44:45], v[57:58]
	v_fma_f64 v[52:53], v[19:20], v[46:47], v[21:22]
	v_fma_f64 v[19:20], v[15:16], v[44:45], v[59:60]
	v_fma_f64 v[55:56], -v[17:18], v[46:47], v[19:20]
	v_fma_f64 v[17:18], v[17:18], v[44:45], v[61:62]
	v_fma_f64 v[57:58], v[15:16], v[46:47], v[17:18]
	v_fma_f64 v[15:16], v[9:10], v[44:45], v[63:64]
	v_fma_f64 v[59:60], -v[11:12], v[46:47], v[15:16]
	v_fma_f64 v[11:12], v[11:12], v[44:45], v[48:49]
	v_fma_f64 v[44:45], v[9:10], v[46:47], v[11:12]
	;; [unrolled: 21-line block ×3, first 2 shown]
	global_load_dword v9, v[30:31], off offset:128
	global_load_dwordx4 v[15:18], v[13:14], off
	global_load_dwordx4 v[19:22], v[13:14], off offset:48
	global_load_dwordx4 v[36:39], v[13:14], off offset:32
	;; [unrolled: 1-line block ×3, first 2 shown]
	s_waitcnt vmcnt(4)
	v_subrev_u32_e32 v9, s16, v9
	v_lshlrev_b32_e32 v9, 2, v9
	v_ashrrev_i32_e32 v10, 31, v9
	v_lshlrev_b64 v[9:10], 4, v[9:10]
	v_add_co_u32_e32 v69, vcc, s6, v9
	v_addc_co_u32_e32 v70, vcc, v35, v10, vcc
	global_load_dwordx4 v[9:12], v[69:70], off offset:48
	global_load_dwordx4 v[44:47], v[69:70], off offset:32
	global_load_dwordx4 v[48:51], v[69:70], off offset:16
	global_load_dwordx4 v[55:58], v[69:70], off
	s_waitcnt vmcnt(0)
	v_fma_f64 v[32:33], v[15:16], v[55:56], v[32:33]
	v_fma_f64 v[32:33], -v[17:18], v[57:58], v[32:33]
	v_fma_f64 v[17:18], v[17:18], v[55:56], v[23:24]
	v_fma_f64 v[23:24], v[15:16], v[57:58], v[17:18]
	v_fma_f64 v[15:16], v[40:41], v[55:56], v[61:62]
	v_fma_f64 v[61:62], -v[42:43], v[57:58], v[15:16]
	v_fma_f64 v[15:16], v[42:43], v[55:56], v[52:53]
	v_fma_f64 v[52:53], v[40:41], v[57:58], v[15:16]
	;; [unrolled: 4-line block ×4, first 2 shown]
	global_load_dwordx4 v[15:18], v[13:14], off offset:112
	global_load_dwordx4 v[19:22], v[13:14], off offset:96
	;; [unrolled: 1-line block ×4, first 2 shown]
	s_waitcnt vmcnt(0)
	v_fma_f64 v[23:24], v[42:43], v[48:49], v[23:24]
	v_fma_f64 v[32:33], v[40:41], v[48:49], v[32:33]
	;; [unrolled: 1-line block ×4, first 2 shown]
	v_fma_f64 v[32:33], -v[42:43], v[50:51], v[32:33]
	v_fma_f64 v[57:58], -v[38:39], v[50:51], v[40:41]
	v_fma_f64 v[38:39], v[38:39], v[48:49], v[52:53]
	v_fma_f64 v[52:53], v[36:37], v[50:51], v[38:39]
	;; [unrolled: 1-line block ×3, first 2 shown]
	v_fma_f64 v[61:62], -v[21:22], v[50:51], v[36:37]
	v_fma_f64 v[21:22], v[21:22], v[48:49], v[65:66]
	v_fma_f64 v[63:64], v[19:20], v[50:51], v[21:22]
	;; [unrolled: 1-line block ×3, first 2 shown]
	v_fma_f64 v[59:60], -v[17:18], v[50:51], v[19:20]
	v_fma_f64 v[17:18], v[17:18], v[48:49], v[55:56]
	v_fma_f64 v[48:49], v[15:16], v[50:51], v[17:18]
	global_load_dwordx4 v[15:18], v[13:14], off offset:176
	global_load_dwordx4 v[19:22], v[13:14], off offset:160
	;; [unrolled: 1-line block ×4, first 2 shown]
	s_waitcnt vmcnt(0)
	v_fma_f64 v[23:24], v[42:43], v[44:45], v[23:24]
	v_fma_f64 v[32:33], v[40:41], v[44:45], v[32:33]
	;; [unrolled: 1-line block ×4, first 2 shown]
	v_fma_f64 v[32:33], -v[42:43], v[46:47], v[32:33]
	v_fma_f64 v[50:51], -v[38:39], v[46:47], v[40:41]
	v_fma_f64 v[38:39], v[38:39], v[44:45], v[52:53]
	v_fma_f64 v[52:53], v[36:37], v[46:47], v[38:39]
	;; [unrolled: 1-line block ×3, first 2 shown]
	v_fma_f64 v[55:56], -v[21:22], v[46:47], v[36:37]
	v_fma_f64 v[21:22], v[21:22], v[44:45], v[63:64]
	v_fma_f64 v[57:58], v[19:20], v[46:47], v[21:22]
	;; [unrolled: 1-line block ×3, first 2 shown]
	v_fma_f64 v[59:60], -v[17:18], v[46:47], v[19:20]
	v_fma_f64 v[17:18], v[17:18], v[44:45], v[48:49]
	v_fma_f64 v[44:45], v[15:16], v[46:47], v[17:18]
	global_load_dwordx4 v[36:39], v[13:14], off offset:240
	global_load_dwordx4 v[40:43], v[13:14], off offset:224
	;; [unrolled: 1-line block ×4, first 2 shown]
	s_waitcnt vmcnt(0)
	v_fma_f64 v[13:14], v[15:16], v[9:10], v[32:33]
	v_fma_f64 v[32:33], v[36:37], v[9:10], v[59:60]
	v_fma_f64 v[13:14], -v[17:18], v[11:12], v[13:14]
	v_fma_f64 v[17:18], v[17:18], v[9:10], v[23:24]
	v_fma_f64 v[23:24], v[42:43], v[9:10], v[57:58]
	v_fma_f64 v[32:33], -v[38:39], v[11:12], v[32:33]
	v_fma_f64 v[15:16], v[15:16], v[11:12], v[17:18]
	v_fma_f64 v[17:18], v[19:20], v[9:10], v[50:51]
	;; [unrolled: 1-line block ×3, first 2 shown]
	v_fma_f64 v[17:18], -v[21:22], v[11:12], v[17:18]
	v_fma_f64 v[21:22], v[21:22], v[9:10], v[52:53]
	v_fma_f64 v[19:20], v[19:20], v[11:12], v[21:22]
	;; [unrolled: 1-line block ×4, first 2 shown]
	v_fma_f64 v[21:22], -v[42:43], v[11:12], v[21:22]
	v_fma_f64 v[11:12], v[36:37], v[11:12], v[9:10]
	global_load_dword v9, v[30:31], off offset:192
	s_waitcnt vmcnt(0)
	v_subrev_u32_e32 v9, s16, v9
	v_lshlrev_b32_e32 v30, 2, v9
	v_ashrrev_i32_e32 v31, 31, v30
	v_add_co_u32_e32 v9, vcc, s14, v28
	v_lshlrev_b64 v[30:31], 4, v[30:31]
	v_addc_co_u32_e32 v10, vcc, 0, v29, vcc
	v_add_co_u32_e32 v30, vcc, s6, v30
	v_addc_co_u32_e32 v31, vcc, v35, v31, vcc
	global_load_dwordx4 v[36:39], v[9:10], off
	global_load_dwordx4 v[40:43], v[9:10], off offset:48
	global_load_dwordx4 v[44:47], v[9:10], off offset:32
	;; [unrolled: 1-line block ×6, first 2 shown]
	global_load_dwordx4 v[67:70], v[30:31], off
	v_add_co_u32_e32 v28, vcc, 0x4000, v28
	v_addc_co_u32_e32 v29, vcc, 0, v29, vcc
	s_waitcnt vmcnt(0)
	v_fma_f64 v[13:14], v[36:37], v[67:68], v[13:14]
	v_fma_f64 v[11:12], v[42:43], v[67:68], v[11:12]
	v_fma_f64 v[52:53], -v[38:39], v[69:70], v[13:14]
	v_fma_f64 v[13:14], v[38:39], v[67:68], v[15:16]
	v_fma_f64 v[36:37], v[36:37], v[69:70], v[13:14]
	v_fma_f64 v[13:14], v[48:49], v[67:68], v[17:18]
	v_fma_f64 v[38:39], -v[50:51], v[69:70], v[13:14]
	v_fma_f64 v[13:14], v[50:51], v[67:68], v[19:20]
	;; [unrolled: 4-line block ×3, first 2 shown]
	v_fma_f64 v[23:24], v[44:45], v[69:70], v[13:14]
	v_fma_f64 v[13:14], v[40:41], v[67:68], v[32:33]
	v_fma_f64 v[40:41], v[40:41], v[69:70], v[11:12]
	v_fma_f64 v[44:45], -v[42:43], v[69:70], v[13:14]
	global_load_dwordx4 v[11:14], v[9:10], off offset:112
	global_load_dwordx4 v[15:18], v[9:10], off offset:96
	;; [unrolled: 1-line block ×4, first 2 shown]
	s_waitcnt vmcnt(0)
	v_fma_f64 v[42:43], v[30:31], v[63:64], v[52:53]
	v_fma_f64 v[42:43], -v[32:33], v[65:66], v[42:43]
	v_fma_f64 v[32:33], v[32:33], v[63:64], v[36:37]
	v_fma_f64 v[36:37], v[30:31], v[65:66], v[32:33]
	v_fma_f64 v[30:31], v[19:20], v[63:64], v[38:39]
	v_fma_f64 v[38:39], -v[21:22], v[65:66], v[30:31]
	v_fma_f64 v[21:22], v[21:22], v[63:64], v[48:49]
	v_fma_f64 v[46:47], v[19:20], v[65:66], v[21:22]
	v_fma_f64 v[19:20], v[15:16], v[63:64], v[50:51]
	v_fma_f64 v[48:49], -v[17:18], v[65:66], v[19:20]
	v_fma_f64 v[17:18], v[17:18], v[63:64], v[23:24]
	v_fma_f64 v[23:24], v[15:16], v[65:66], v[17:18]
	v_fma_f64 v[15:16], v[11:12], v[63:64], v[44:45]
	v_fma_f64 v[44:45], -v[13:14], v[65:66], v[15:16]
	v_fma_f64 v[13:14], v[13:14], v[63:64], v[40:41]
	v_fma_f64 v[40:41], v[11:12], v[65:66], v[13:14]
	global_load_dwordx4 v[11:14], v[9:10], off offset:176
	global_load_dwordx4 v[15:18], v[9:10], off offset:160
	;; [unrolled: 1-line block ×4, first 2 shown]
	s_waitcnt vmcnt(0)
	v_fma_f64 v[42:43], v[30:31], v[59:60], v[42:43]
	v_fma_f64 v[42:43], -v[32:33], v[61:62], v[42:43]
	v_fma_f64 v[32:33], v[32:33], v[59:60], v[36:37]
	v_fma_f64 v[50:51], v[30:31], v[61:62], v[32:33]
	v_fma_f64 v[30:31], v[19:20], v[59:60], v[38:39]
	v_fma_f64 v[52:53], -v[21:22], v[61:62], v[30:31]
	v_fma_f64 v[21:22], v[21:22], v[59:60], v[46:47]
	v_fma_f64 v[46:47], v[19:20], v[61:62], v[21:22]
	v_fma_f64 v[19:20], v[15:16], v[59:60], v[48:49]
	v_fma_f64 v[48:49], -v[17:18], v[61:62], v[19:20]
	v_fma_f64 v[17:18], v[17:18], v[59:60], v[23:24]
	v_fma_f64 v[15:16], v[15:16], v[61:62], v[17:18]
	v_fma_f64 v[17:18], v[11:12], v[59:60], v[44:45]
	v_fma_f64 v[23:24], -v[13:14], v[61:62], v[17:18]
	v_fma_f64 v[13:14], v[13:14], v[59:60], v[40:41]
	v_fma_f64 v[40:41], v[11:12], v[61:62], v[13:14]
	global_load_dwordx4 v[30:33], v[9:10], off offset:240
	global_load_dwordx4 v[36:39], v[9:10], off offset:224
	;; [unrolled: 1-line block ×4, first 2 shown]
	s_waitcnt vmcnt(2)
	v_fma_f64 v[15:16], v[38:39], v[55:56], v[15:16]
	s_waitcnt vmcnt(0)
	v_fma_f64 v[9:10], v[11:12], v[55:56], v[42:43]
	v_fma_f64 v[15:16], v[36:37], v[57:58], v[15:16]
	v_fma_f64 v[17:18], -v[13:14], v[57:58], v[9:10]
	v_fma_f64 v[9:10], v[13:14], v[55:56], v[50:51]
	v_fma_f64 v[11:12], v[11:12], v[57:58], v[9:10]
	v_fma_f64 v[9:10], v[19:20], v[55:56], v[52:53]
	v_fma_f64 v[13:14], -v[21:22], v[57:58], v[9:10]
	v_fma_f64 v[9:10], v[21:22], v[55:56], v[46:47]
	;; [unrolled: 4-line block ×3, first 2 shown]
	v_fma_f64 v[23:24], -v[32:33], v[57:58], v[19:20]
	v_fma_f64 v[19:20], v[32:33], v[55:56], v[40:41]
	v_fma_f64 v[19:20], v[30:31], v[57:58], v[19:20]
	s_andn2_b64 exec, exec, s[10:11]
	s_cbranch_execnz .LBB17_31
; %bb.32:
	s_or_b64 exec, exec, s[10:11]
.LBB17_33:
	s_or_b64 exec, exec, s[8:9]
.LBB17_34:
	s_or_b64 exec, exec, s[2:3]
.LBB17_35:
	v_mov_b32_dpp v26, v17 row_shr:1 row_mask:0xf bank_mask:0xf
	v_mov_b32_dpp v27, v18 row_shr:1 row_mask:0xf bank_mask:0xf
	v_add_f64 v[17:18], v[17:18], v[26:27]
	v_mov_b32_dpp v26, v11 row_shr:1 row_mask:0xf bank_mask:0xf
	v_mov_b32_dpp v27, v12 row_shr:1 row_mask:0xf bank_mask:0xf
	v_add_f64 v[11:12], v[11:12], v[26:27]
	;; [unrolled: 3-line block ×3, first 2 shown]
	v_mov_b32_dpp v34, v15 row_shr:1 row_mask:0xf bank_mask:0xf
	v_mov_b32_dpp v28, v17 row_shr:2 row_mask:0xf bank_mask:0xf
	;; [unrolled: 1-line block ×3, first 2 shown]
	v_add_f64 v[17:18], v[17:18], v[28:29]
	v_mov_b32_dpp v28, v11 row_shr:2 row_mask:0xf bank_mask:0xf
	v_mov_b32_dpp v29, v12 row_shr:2 row_mask:0xf bank_mask:0xf
	v_add_f64 v[11:12], v[11:12], v[28:29]
	v_mov_b32_dpp v28, v9 row_shr:1 row_mask:0xf bank_mask:0xf
	v_mov_b32_dpp v29, v10 row_shr:1 row_mask:0xf bank_mask:0xf
	;; [unrolled: 3-line block ×3, first 2 shown]
	v_add_f64 v[13:14], v[13:14], v[28:29]
	v_mov_b32_dpp v35, v16 row_shr:1 row_mask:0xf bank_mask:0xf
	v_add_f64 v[15:16], v[15:16], v[34:35]
	v_mov_b32_dpp v34, v23 row_shr:1 row_mask:0xf bank_mask:0xf
	v_mov_b32_dpp v35, v24 row_shr:1 row_mask:0xf bank_mask:0xf
	;; [unrolled: 1-line block ×4, first 2 shown]
	v_add_f64 v[26:27], v[26:27], v[28:29]
	v_mov_b32_dpp v28, v21 row_shr:1 row_mask:0xf bank_mask:0xf
	v_mov_b32_dpp v29, v22 row_shr:1 row_mask:0xf bank_mask:0xf
	v_add_f64 v[21:22], v[21:22], v[28:29]
	v_add_f64 v[34:35], v[23:24], v[34:35]
	v_mov_b32_dpp v23, v19 row_shr:1 row_mask:0xf bank_mask:0xf
	v_mov_b32_dpp v24, v20 row_shr:1 row_mask:0xf bank_mask:0xf
	v_add_f64 v[19:20], v[19:20], v[23:24]
	v_mov_b32_dpp v9, v17 row_shr:4 row_mask:0xf bank_mask:0xe
	v_mov_b32_dpp v10, v18 row_shr:4 row_mask:0xf bank_mask:0xe
	;; [unrolled: 3-line block ×5, first 2 shown]
	v_mov_b32_dpp v36, v15 row_shr:2 row_mask:0xf bank_mask:0xf
	v_mov_b32_dpp v37, v16 row_shr:2 row_mask:0xf bank_mask:0xf
	v_add_f64 v[17:18], v[26:27], v[17:18]
	v_mov_b32_dpp v26, v21 row_shr:2 row_mask:0xf bank_mask:0xf
	v_mov_b32_dpp v27, v22 row_shr:2 row_mask:0xf bank_mask:0xf
	v_add_f64 v[36:37], v[15:16], v[36:37]
	;; [unrolled: 3-line block ×3, first 2 shown]
	v_add_f64 v[34:35], v[34:35], v[15:16]
	v_mov_b32_dpp v15, v19 row_shr:2 row_mask:0xf bank_mask:0xf
	v_mov_b32_dpp v16, v20 row_shr:2 row_mask:0xf bank_mask:0xf
	v_add_f64 v[38:39], v[19:20], v[15:16]
	v_mov_b32_dpp v19, v36 row_shr:4 row_mask:0xf bank_mask:0xe
	v_mov_b32_dpp v20, v37 row_shr:4 row_mask:0xf bank_mask:0xe
	;; [unrolled: 3-line block ×4, first 2 shown]
	v_mov_b32_dpp v32, v38 row_shr:4 row_mask:0xf bank_mask:0xe
	v_mov_b32_dpp v33, v39 row_shr:4 row_mask:0xf bank_mask:0xe
	v_add_f64 v[23:24], v[34:35], v[22:23]
	v_add_f64 v[32:33], v[38:39], v[32:33]
	v_mov_b32_dpp v30, v9 row_shr:8 row_mask:0xf bank_mask:0xc
	v_mov_b32_dpp v31, v10 row_shr:8 row_mask:0xf bank_mask:0xc
	;; [unrolled: 1-line block ×16, first 2 shown]
	v_cmp_eq_u32_e32 vcc, 15, v0
	s_and_b64 exec, exec, vcc
	s_cbranch_execz .LBB17_8
; %bb.36:
	v_add_f64 v[11:12], v[11:12], v[28:29]
	v_add_f64 v[26:27], v[13:14], v[26:27]
	;; [unrolled: 1-line block ×8, first 2 shown]
	v_mul_f64 v[19:20], v[11:12], -v[7:8]
	v_mul_f64 v[11:12], v[5:6], v[11:12]
	v_mul_f64 v[28:29], v[13:14], -v[7:8]
	v_mul_f64 v[30:31], v[5:6], v[13:14]
	;; [unrolled: 2-line block ×4, first 2 shown]
	v_cmp_eq_f64_e32 vcc, 0, v[1:2]
	v_cmp_eq_f64_e64 s[0:1], 0, v[3:4]
	v_fma_f64 v[17:18], v[5:6], v[9:10], v[19:20]
	v_fma_f64 v[19:20], v[7:8], v[9:10], v[11:12]
	;; [unrolled: 1-line block ×8, first 2 shown]
	s_load_dwordx2 s[2:3], s[4:5], 0x60
	s_and_b64 s[0:1], vcc, s[0:1]
	v_lshlrev_b32_e32 v21, 2, v25
	s_and_saveexec_b64 s[4:5], s[0:1]
	s_xor_b64 s[0:1], exec, s[4:5]
	s_cbranch_execz .LBB17_38
; %bb.37:
	v_ashrrev_i32_e32 v22, 31, v21
	v_lshlrev_b64 v[0:1], 4, v[21:22]
	s_waitcnt lgkmcnt(0)
	v_mov_b32_e32 v2, s3
	v_add_co_u32_e32 v0, vcc, s2, v0
	v_addc_co_u32_e32 v1, vcc, v2, v1, vcc
	global_store_dwordx4 v[0:1], v[17:20], off
	global_store_dwordx4 v[0:1], v[13:16], off offset:16
	global_store_dwordx4 v[0:1], v[9:12], off offset:32
	;; [unrolled: 1-line block ×3, first 2 shown]
                                        ; implicit-def: $vgpr3_vgpr4
                                        ; implicit-def: $vgpr17_vgpr18
                                        ; implicit-def: $vgpr21
                                        ; implicit-def: $vgpr13_vgpr14
                                        ; implicit-def: $vgpr9_vgpr10
                                        ; implicit-def: $vgpr5_vgpr6
.LBB17_38:
	s_andn2_saveexec_b64 s[0:1], s[0:1]
	s_cbranch_execz .LBB17_8
; %bb.39:
	v_ashrrev_i32_e32 v22, 31, v21
	v_lshlrev_b64 v[21:22], 4, v[21:22]
	s_waitcnt lgkmcnt(0)
	v_mov_b32_e32 v0, s3
	v_add_co_u32_e32 v37, vcc, s2, v21
	v_addc_co_u32_e32 v38, vcc, v0, v22, vcc
	global_load_dwordx4 v[21:24], v[37:38], off
	global_load_dwordx4 v[25:28], v[37:38], off offset:16
	global_load_dwordx4 v[29:32], v[37:38], off offset:32
	;; [unrolled: 1-line block ×3, first 2 shown]
	s_waitcnt vmcnt(3)
	v_fma_f64 v[17:18], v[1:2], v[21:22], v[17:18]
	v_fma_f64 v[19:20], v[3:4], v[21:22], v[19:20]
	s_waitcnt vmcnt(2)
	v_fma_f64 v[13:14], v[1:2], v[25:26], v[13:14]
	v_fma_f64 v[15:16], v[3:4], v[25:26], v[15:16]
	s_waitcnt vmcnt(1)
	v_fma_f64 v[21:22], v[1:2], v[29:30], v[9:10]
	v_fma_f64 v[25:26], v[3:4], v[29:30], v[11:12]
	s_waitcnt vmcnt(0)
	v_fma_f64 v[29:30], v[1:2], v[33:34], v[5:6]
	v_fma_f64 v[33:34], v[3:4], v[33:34], v[7:8]
	v_fma_f64 v[5:6], -v[3:4], v[23:24], v[17:18]
	v_fma_f64 v[7:8], v[1:2], v[23:24], v[19:20]
	v_fma_f64 v[9:10], -v[3:4], v[27:28], v[13:14]
	v_fma_f64 v[11:12], v[1:2], v[27:28], v[15:16]
	;; [unrolled: 2-line block ×4, first 2 shown]
	global_store_dwordx4 v[37:38], v[5:8], off
	global_store_dwordx4 v[37:38], v[9:12], off offset:16
	global_store_dwordx4 v[37:38], v[13:16], off offset:32
	;; [unrolled: 1-line block ×3, first 2 shown]
	s_endpgm
	.section	.rodata,"a",@progbits
	.p2align	6, 0x0
	.amdhsa_kernel _ZN9rocsparseL18bsrxmvn_4x4_kernelILj128ELj16E21rocsparse_complex_numIdEiiS2_S2_S2_EEvT3_20rocsparse_direction_NS_24const_host_device_scalarIT1_EES3_PKS3_PKT2_SC_S9_PKT4_PKT5_S7_PT6_21rocsparse_index_base_b
		.amdhsa_group_segment_fixed_size 0
		.amdhsa_private_segment_fixed_size 0
		.amdhsa_kernarg_size 112
		.amdhsa_user_sgpr_count 6
		.amdhsa_user_sgpr_private_segment_buffer 1
		.amdhsa_user_sgpr_dispatch_ptr 0
		.amdhsa_user_sgpr_queue_ptr 0
		.amdhsa_user_sgpr_kernarg_segment_ptr 1
		.amdhsa_user_sgpr_dispatch_id 0
		.amdhsa_user_sgpr_flat_scratch_init 0
		.amdhsa_user_sgpr_private_segment_size 0
		.amdhsa_uses_dynamic_stack 0
		.amdhsa_system_sgpr_private_segment_wavefront_offset 0
		.amdhsa_system_sgpr_workgroup_id_x 1
		.amdhsa_system_sgpr_workgroup_id_y 0
		.amdhsa_system_sgpr_workgroup_id_z 0
		.amdhsa_system_sgpr_workgroup_info 0
		.amdhsa_system_vgpr_workitem_id 0
		.amdhsa_next_free_vgpr 85
		.amdhsa_next_free_sgpr 20
		.amdhsa_reserve_vcc 1
		.amdhsa_reserve_flat_scratch 0
		.amdhsa_float_round_mode_32 0
		.amdhsa_float_round_mode_16_64 0
		.amdhsa_float_denorm_mode_32 3
		.amdhsa_float_denorm_mode_16_64 3
		.amdhsa_dx10_clamp 1
		.amdhsa_ieee_mode 1
		.amdhsa_fp16_overflow 0
		.amdhsa_exception_fp_ieee_invalid_op 0
		.amdhsa_exception_fp_denorm_src 0
		.amdhsa_exception_fp_ieee_div_zero 0
		.amdhsa_exception_fp_ieee_overflow 0
		.amdhsa_exception_fp_ieee_underflow 0
		.amdhsa_exception_fp_ieee_inexact 0
		.amdhsa_exception_int_div_zero 0
	.end_amdhsa_kernel
	.section	.text._ZN9rocsparseL18bsrxmvn_4x4_kernelILj128ELj16E21rocsparse_complex_numIdEiiS2_S2_S2_EEvT3_20rocsparse_direction_NS_24const_host_device_scalarIT1_EES3_PKS3_PKT2_SC_S9_PKT4_PKT5_S7_PT6_21rocsparse_index_base_b,"axG",@progbits,_ZN9rocsparseL18bsrxmvn_4x4_kernelILj128ELj16E21rocsparse_complex_numIdEiiS2_S2_S2_EEvT3_20rocsparse_direction_NS_24const_host_device_scalarIT1_EES3_PKS3_PKT2_SC_S9_PKT4_PKT5_S7_PT6_21rocsparse_index_base_b,comdat
.Lfunc_end17:
	.size	_ZN9rocsparseL18bsrxmvn_4x4_kernelILj128ELj16E21rocsparse_complex_numIdEiiS2_S2_S2_EEvT3_20rocsparse_direction_NS_24const_host_device_scalarIT1_EES3_PKS3_PKT2_SC_S9_PKT4_PKT5_S7_PT6_21rocsparse_index_base_b, .Lfunc_end17-_ZN9rocsparseL18bsrxmvn_4x4_kernelILj128ELj16E21rocsparse_complex_numIdEiiS2_S2_S2_EEvT3_20rocsparse_direction_NS_24const_host_device_scalarIT1_EES3_PKS3_PKT2_SC_S9_PKT4_PKT5_S7_PT6_21rocsparse_index_base_b
                                        ; -- End function
	.set _ZN9rocsparseL18bsrxmvn_4x4_kernelILj128ELj16E21rocsparse_complex_numIdEiiS2_S2_S2_EEvT3_20rocsparse_direction_NS_24const_host_device_scalarIT1_EES3_PKS3_PKT2_SC_S9_PKT4_PKT5_S7_PT6_21rocsparse_index_base_b.num_vgpr, 85
	.set _ZN9rocsparseL18bsrxmvn_4x4_kernelILj128ELj16E21rocsparse_complex_numIdEiiS2_S2_S2_EEvT3_20rocsparse_direction_NS_24const_host_device_scalarIT1_EES3_PKS3_PKT2_SC_S9_PKT4_PKT5_S7_PT6_21rocsparse_index_base_b.num_agpr, 0
	.set _ZN9rocsparseL18bsrxmvn_4x4_kernelILj128ELj16E21rocsparse_complex_numIdEiiS2_S2_S2_EEvT3_20rocsparse_direction_NS_24const_host_device_scalarIT1_EES3_PKS3_PKT2_SC_S9_PKT4_PKT5_S7_PT6_21rocsparse_index_base_b.numbered_sgpr, 20
	.set _ZN9rocsparseL18bsrxmvn_4x4_kernelILj128ELj16E21rocsparse_complex_numIdEiiS2_S2_S2_EEvT3_20rocsparse_direction_NS_24const_host_device_scalarIT1_EES3_PKS3_PKT2_SC_S9_PKT4_PKT5_S7_PT6_21rocsparse_index_base_b.num_named_barrier, 0
	.set _ZN9rocsparseL18bsrxmvn_4x4_kernelILj128ELj16E21rocsparse_complex_numIdEiiS2_S2_S2_EEvT3_20rocsparse_direction_NS_24const_host_device_scalarIT1_EES3_PKS3_PKT2_SC_S9_PKT4_PKT5_S7_PT6_21rocsparse_index_base_b.private_seg_size, 0
	.set _ZN9rocsparseL18bsrxmvn_4x4_kernelILj128ELj16E21rocsparse_complex_numIdEiiS2_S2_S2_EEvT3_20rocsparse_direction_NS_24const_host_device_scalarIT1_EES3_PKS3_PKT2_SC_S9_PKT4_PKT5_S7_PT6_21rocsparse_index_base_b.uses_vcc, 1
	.set _ZN9rocsparseL18bsrxmvn_4x4_kernelILj128ELj16E21rocsparse_complex_numIdEiiS2_S2_S2_EEvT3_20rocsparse_direction_NS_24const_host_device_scalarIT1_EES3_PKS3_PKT2_SC_S9_PKT4_PKT5_S7_PT6_21rocsparse_index_base_b.uses_flat_scratch, 0
	.set _ZN9rocsparseL18bsrxmvn_4x4_kernelILj128ELj16E21rocsparse_complex_numIdEiiS2_S2_S2_EEvT3_20rocsparse_direction_NS_24const_host_device_scalarIT1_EES3_PKS3_PKT2_SC_S9_PKT4_PKT5_S7_PT6_21rocsparse_index_base_b.has_dyn_sized_stack, 0
	.set _ZN9rocsparseL18bsrxmvn_4x4_kernelILj128ELj16E21rocsparse_complex_numIdEiiS2_S2_S2_EEvT3_20rocsparse_direction_NS_24const_host_device_scalarIT1_EES3_PKS3_PKT2_SC_S9_PKT4_PKT5_S7_PT6_21rocsparse_index_base_b.has_recursion, 0
	.set _ZN9rocsparseL18bsrxmvn_4x4_kernelILj128ELj16E21rocsparse_complex_numIdEiiS2_S2_S2_EEvT3_20rocsparse_direction_NS_24const_host_device_scalarIT1_EES3_PKS3_PKT2_SC_S9_PKT4_PKT5_S7_PT6_21rocsparse_index_base_b.has_indirect_call, 0
	.section	.AMDGPU.csdata,"",@progbits
; Kernel info:
; codeLenInByte = 10052
; TotalNumSgprs: 24
; NumVgprs: 85
; ScratchSize: 0
; MemoryBound: 1
; FloatMode: 240
; IeeeMode: 1
; LDSByteSize: 0 bytes/workgroup (compile time only)
; SGPRBlocks: 2
; VGPRBlocks: 21
; NumSGPRsForWavesPerEU: 24
; NumVGPRsForWavesPerEU: 85
; Occupancy: 2
; WaveLimiterHint : 1
; COMPUTE_PGM_RSRC2:SCRATCH_EN: 0
; COMPUTE_PGM_RSRC2:USER_SGPR: 6
; COMPUTE_PGM_RSRC2:TRAP_HANDLER: 0
; COMPUTE_PGM_RSRC2:TGID_X_EN: 1
; COMPUTE_PGM_RSRC2:TGID_Y_EN: 0
; COMPUTE_PGM_RSRC2:TGID_Z_EN: 0
; COMPUTE_PGM_RSRC2:TIDIG_COMP_CNT: 0
	.section	.text._ZN9rocsparseL18bsrxmvn_4x4_kernelILj128ELj32E21rocsparse_complex_numIdEiiS2_S2_S2_EEvT3_20rocsparse_direction_NS_24const_host_device_scalarIT1_EES3_PKS3_PKT2_SC_S9_PKT4_PKT5_S7_PT6_21rocsparse_index_base_b,"axG",@progbits,_ZN9rocsparseL18bsrxmvn_4x4_kernelILj128ELj32E21rocsparse_complex_numIdEiiS2_S2_S2_EEvT3_20rocsparse_direction_NS_24const_host_device_scalarIT1_EES3_PKS3_PKT2_SC_S9_PKT4_PKT5_S7_PT6_21rocsparse_index_base_b,comdat
	.globl	_ZN9rocsparseL18bsrxmvn_4x4_kernelILj128ELj32E21rocsparse_complex_numIdEiiS2_S2_S2_EEvT3_20rocsparse_direction_NS_24const_host_device_scalarIT1_EES3_PKS3_PKT2_SC_S9_PKT4_PKT5_S7_PT6_21rocsparse_index_base_b ; -- Begin function _ZN9rocsparseL18bsrxmvn_4x4_kernelILj128ELj32E21rocsparse_complex_numIdEiiS2_S2_S2_EEvT3_20rocsparse_direction_NS_24const_host_device_scalarIT1_EES3_PKS3_PKT2_SC_S9_PKT4_PKT5_S7_PT6_21rocsparse_index_base_b
	.p2align	8
	.type	_ZN9rocsparseL18bsrxmvn_4x4_kernelILj128ELj32E21rocsparse_complex_numIdEiiS2_S2_S2_EEvT3_20rocsparse_direction_NS_24const_host_device_scalarIT1_EES3_PKS3_PKT2_SC_S9_PKT4_PKT5_S7_PT6_21rocsparse_index_base_b,@function
_ZN9rocsparseL18bsrxmvn_4x4_kernelILj128ELj32E21rocsparse_complex_numIdEiiS2_S2_S2_EEvT3_20rocsparse_direction_NS_24const_host_device_scalarIT1_EES3_PKS3_PKT2_SC_S9_PKT4_PKT5_S7_PT6_21rocsparse_index_base_b: ; @_ZN9rocsparseL18bsrxmvn_4x4_kernelILj128ELj32E21rocsparse_complex_numIdEiiS2_S2_S2_EEvT3_20rocsparse_direction_NS_24const_host_device_scalarIT1_EES3_PKS3_PKT2_SC_S9_PKT4_PKT5_S7_PT6_21rocsparse_index_base_b
; %bb.0:
	s_load_dwordx2 s[0:1], s[4:5], 0x8
	s_load_dwordx2 s[16:17], s[4:5], 0x68
	s_add_u32 s7, s4, 8
	s_addc_u32 s8, s5, 0
	s_add_u32 s9, s4, 0x50
	s_addc_u32 s10, s5, 0
	s_waitcnt lgkmcnt(0)
	s_bitcmp1_b32 s17, 0
	s_cselect_b32 s1, s8, s1
	s_cselect_b32 s0, s7, s0
	v_mov_b32_e32 v1, s0
	v_mov_b32_e32 v2, s1
	flat_load_dwordx4 v[5:8], v[1:2]
	s_load_dwordx2 s[2:3], s[4:5], 0x50
	s_waitcnt lgkmcnt(0)
	s_cselect_b32 s0, s10, s3
	s_cselect_b32 s1, s9, s2
	v_mov_b32_e32 v1, s1
	v_mov_b32_e32 v2, s0
	flat_load_dwordx4 v[1:4], v[1:2]
	s_waitcnt vmcnt(0)
	v_cmp_eq_f64_e32 vcc, 0, v[5:6]
	v_cmp_eq_f64_e64 s[0:1], 0, v[7:8]
	s_and_b64 s[8:9], vcc, s[0:1]
	s_mov_b64 s[0:1], -1
	s_and_saveexec_b64 s[2:3], s[8:9]
	s_cbranch_execz .LBB18_2
; %bb.1:
	s_waitcnt lgkmcnt(0)
	v_cmp_neq_f64_e32 vcc, 1.0, v[1:2]
	v_cmp_neq_f64_e64 s[0:1], 0, v[3:4]
	s_or_b64 s[0:1], vcc, s[0:1]
	s_orn2_b64 s[0:1], s[0:1], exec
.LBB18_2:
	s_or_b64 exec, exec, s[2:3]
	s_and_saveexec_b64 s[2:3], s[0:1]
	s_cbranch_execz .LBB18_8
; %bb.3:
	s_load_dwordx2 s[8:9], s[4:5], 0x20
	s_load_dwordx2 s[0:1], s[4:5], 0x0
	v_lshrrev_b32_e32 v9, 5, v0
	v_lshl_or_b32 v21, s6, 2, v9
	s_mov_b64 s[2:3], 0
	s_waitcnt lgkmcnt(0)
	s_cmp_lg_u64 s[8:9], 0
	s_cbranch_scc0 .LBB18_9
; %bb.4:
	s_load_dword s6, s[4:5], 0x18
                                        ; implicit-def: $vgpr9
	s_waitcnt lgkmcnt(0)
	v_cmp_gt_i32_e32 vcc, s6, v21
	s_and_saveexec_b64 s[6:7], vcc
	s_xor_b64 s[6:7], exec, s[6:7]
	s_cbranch_execz .LBB18_6
; %bb.5:
	v_ashrrev_i32_e32 v22, 31, v21
	v_lshlrev_b64 v[9:10], 2, v[21:22]
	v_mov_b32_e32 v11, s9
	v_add_co_u32_e32 v9, vcc, s8, v9
	v_addc_co_u32_e32 v10, vcc, v11, v10, vcc
	global_load_dword v9, v[9:10], off
	s_mov_b64 s[2:3], exec
	s_waitcnt vmcnt(0)
	v_subrev_u32_e32 v9, s16, v9
.LBB18_6:
	s_or_b64 exec, exec, s[6:7]
	s_branch .LBB18_10
.LBB18_7:
	v_cmp_gt_i32_e32 vcc, s0, v21
	s_andn2_b64 s[2:3], s[2:3], exec
	s_and_b64 s[6:7], vcc, exec
	s_or_b64 s[2:3], s[2:3], s[6:7]
	s_and_b64 exec, exec, s[2:3]
	s_cbranch_execnz .LBB18_11
.LBB18_8:
	s_endpgm
.LBB18_9:
                                        ; implicit-def: $vgpr9
	s_cbranch_execnz .LBB18_7
.LBB18_10:
	v_mov_b32_e32 v21, v9
	s_and_b64 exec, exec, s[2:3]
	s_cbranch_execz .LBB18_8
.LBB18_11:
	s_load_dwordx8 s[8:15], s[4:5], 0x28
	v_ashrrev_i32_e32 v22, 31, v21
	v_lshlrev_b64 v[9:10], 2, v[21:22]
	v_and_b32_e32 v0, 31, v0
	s_load_dwordx2 s[6:7], s[4:5], 0x48
	s_waitcnt lgkmcnt(0)
	v_mov_b32_e32 v12, s9
	v_add_co_u32_e32 v11, vcc, s8, v9
	v_addc_co_u32_e32 v12, vcc, v12, v10, vcc
	global_load_dword v37, v[11:12], off
	v_add_co_u32_e32 v11, vcc, 4, v11
	v_addc_co_u32_e32 v12, vcc, 0, v12, vcc
	v_mov_b32_e32 v13, s11
	v_add_co_u32_e32 v9, vcc, s10, v9
	s_cmp_eq_u64 s[10:11], 0
	v_addc_co_u32_e32 v10, vcc, v13, v10, vcc
	s_cselect_b64 vcc, -1, 0
	v_cndmask_b32_e32 v10, v10, v12, vcc
	v_cndmask_b32_e32 v9, v9, v11, vcc
	global_load_dword v10, v[9:10], off
	v_mov_b32_e32 v13, s15
	s_cmp_eq_u32 s1, 1
	s_waitcnt vmcnt(1)
	v_subrev_u32_e32 v9, s16, v37
	v_add_u32_e32 v9, v9, v0
	s_waitcnt vmcnt(0)
	v_subrev_u32_e32 v36, s16, v10
	v_ashrrev_i32_e32 v10, 31, v9
	v_lshlrev_b64 v[11:12], 8, v[9:10]
	v_cmp_lt_i32_e64 s[0:1], v9, v36
	v_add_co_u32_e32 v11, vcc, s14, v11
	v_addc_co_u32_e32 v12, vcc, v13, v12, vcc
	s_cbranch_scc1 .LBB18_23
; %bb.12:
	v_mov_b32_e32 v19, 0
	v_mov_b32_e32 v28, 0
	;; [unrolled: 1-line block ×16, first 2 shown]
	s_and_saveexec_b64 s[8:9], s[0:1]
	s_cbranch_execz .LBB18_22
; %bb.13:
	v_add_u32_e32 v10, v37, v0
	v_subrev_u32_e32 v10, s16, v10
	v_add_u32_e32 v10, 32, v10
	v_max_i32_e32 v10, v10, v36
	v_not_b32_e32 v13, v37
	v_add3_u32 v10, s16, v10, v13
	v_sub_u32_e32 v10, v10, v0
	s_movk_i32 s2, 0x60
	v_and_b32_e32 v13, 0x60, v10
	v_mov_b32_e32 v17, 0
	v_mov_b32_e32 v24, 0
	;; [unrolled: 1-line block ×9, first 2 shown]
	v_cmp_ne_u32_e32 vcc, s2, v13
	v_mov_b32_e32 v18, 0
	v_mov_b32_e32 v25, 0
	;; [unrolled: 1-line block ×10, first 2 shown]
	s_and_saveexec_b64 s[10:11], vcc
	s_cbranch_execz .LBB18_17
; %bb.14:
	v_lshrrev_b32_e32 v13, 5, v10
	v_add_u32_e32 v13, 1, v13
	v_and_b32_e32 v13, 3, v13
	v_mov_b32_e32 v19, 0
	v_mov_b32_e32 v28, 0
	;; [unrolled: 1-line block ×9, first 2 shown]
	v_sub_u32_e32 v34, 0, v13
	v_mov_b32_e32 v20, 0
	s_mov_b64 s[14:15], 0
	v_mov_b32_e32 v35, s13
	v_mov_b32_e32 v38, s7
	;; [unrolled: 1-line block ×11, first 2 shown]
.LBB18_15:                              ; =>This Inner Loop Header: Depth=1
	v_ashrrev_i32_e32 v14, 31, v13
	v_lshlrev_b64 v[43:44], 2, v[13:14]
	global_load_dwordx4 v[39:42], v[15:16], off
	v_add_co_u32_e32 v43, vcc, s12, v43
	v_addc_co_u32_e32 v44, vcc, v35, v44, vcc
	global_load_dword v14, v[43:44], off
	v_add_co_u32_e64 v34, s[2:3], 1, v34
	s_or_b64 s[14:15], s[2:3], s[14:15]
	v_add_u32_e32 v13, 32, v13
	s_waitcnt vmcnt(0)
	v_subrev_u32_e32 v14, s16, v14
	v_lshlrev_b32_e32 v43, 2, v14
	v_ashrrev_i32_e32 v44, 31, v43
	v_lshlrev_b64 v[43:44], 4, v[43:44]
	v_add_co_u32_e32 v47, vcc, s6, v43
	v_addc_co_u32_e32 v48, vcc, v38, v44, vcc
	global_load_dwordx4 v[43:46], v[47:48], off
	s_waitcnt vmcnt(0)
	v_fma_f64 v[28:29], v[39:40], v[43:44], v[28:29]
	v_fma_f64 v[19:20], v[41:42], v[43:44], v[19:20]
	v_fma_f64 v[28:29], -v[41:42], v[45:46], v[28:29]
	v_fma_f64 v[49:50], v[39:40], v[45:46], v[19:20]
	global_load_dwordx4 v[39:42], v[15:16], off offset:64
	s_waitcnt vmcnt(0)
	v_fma_f64 v[19:20], v[39:40], v[43:44], v[24:25]
	v_fma_f64 v[17:18], v[41:42], v[43:44], v[17:18]
	v_fma_f64 v[41:42], -v[41:42], v[45:46], v[19:20]
	v_fma_f64 v[39:40], v[39:40], v[45:46], v[17:18]
	global_load_dwordx4 v[17:20], v[15:16], off offset:128
	s_waitcnt vmcnt(0)
	v_fma_f64 v[24:25], v[17:18], v[43:44], v[26:27]
	v_fma_f64 v[22:23], v[19:20], v[43:44], v[22:23]
	v_fma_f64 v[26:27], -v[19:20], v[45:46], v[24:25]
	v_fma_f64 v[51:52], v[17:18], v[45:46], v[22:23]
	global_load_dwordx4 v[17:20], v[15:16], off offset:192
	s_waitcnt vmcnt(0)
	v_fma_f64 v[22:23], v[17:18], v[43:44], v[30:31]
	v_fma_f64 v[24:25], v[19:20], v[43:44], v[32:33]
	v_fma_f64 v[30:31], -v[19:20], v[45:46], v[22:23]
	v_fma_f64 v[32:33], v[17:18], v[45:46], v[24:25]
	global_load_dwordx4 v[17:20], v[15:16], off offset:16
	global_load_dwordx4 v[22:25], v[47:48], off offset:16
	s_waitcnt vmcnt(0)
	v_fma_f64 v[28:29], v[17:18], v[22:23], v[28:29]
	v_fma_f64 v[43:44], v[19:20], v[22:23], v[49:50]
	v_fma_f64 v[28:29], -v[19:20], v[24:25], v[28:29]
	v_fma_f64 v[43:44], v[17:18], v[24:25], v[43:44]
	global_load_dwordx4 v[17:20], v[15:16], off offset:80
	s_waitcnt vmcnt(0)
	v_fma_f64 v[41:42], v[17:18], v[22:23], v[41:42]
	v_fma_f64 v[39:40], v[19:20], v[22:23], v[39:40]
	v_fma_f64 v[41:42], -v[19:20], v[24:25], v[41:42]
	v_fma_f64 v[39:40], v[17:18], v[24:25], v[39:40]
	global_load_dwordx4 v[17:20], v[15:16], off offset:144
	s_waitcnt vmcnt(0)
	v_fma_f64 v[26:27], v[17:18], v[22:23], v[26:27]
	v_fma_f64 v[45:46], v[19:20], v[22:23], v[51:52]
	v_fma_f64 v[26:27], -v[19:20], v[24:25], v[26:27]
	v_fma_f64 v[45:46], v[17:18], v[24:25], v[45:46]
	global_load_dwordx4 v[17:20], v[15:16], off offset:208
	s_waitcnt vmcnt(0)
	v_fma_f64 v[30:31], v[17:18], v[22:23], v[30:31]
	v_fma_f64 v[22:23], v[19:20], v[22:23], v[32:33]
	v_fma_f64 v[30:31], -v[19:20], v[24:25], v[30:31]
	v_fma_f64 v[32:33], v[17:18], v[24:25], v[22:23]
	global_load_dwordx4 v[17:20], v[15:16], off offset:32
	global_load_dwordx4 v[22:25], v[47:48], off offset:32
	;; [unrolled: 25-line block ×3, first 2 shown]
	global_load_dwordx4 v[30:33], v[47:48], off offset:48
	s_waitcnt vmcnt(0)
	v_fma_f64 v[28:29], v[17:18], v[30:31], v[28:29]
	v_fma_f64 v[39:40], v[19:20], v[30:31], v[43:44]
	v_fma_f64 v[43:44], v[24:25], v[30:31], v[51:52]
	v_fma_f64 v[28:29], -v[19:20], v[32:33], v[28:29]
	v_fma_f64 v[19:20], v[17:18], v[32:33], v[39:40]
	v_fma_f64 v[17:18], v[22:23], v[30:31], v[49:50]
	global_load_dwordx4 v[39:42], v[15:16], off offset:176
	v_fma_f64 v[24:25], -v[24:25], v[32:33], v[17:18]
	v_fma_f64 v[17:18], v[22:23], v[32:33], v[43:44]
	global_load_dwordx4 v[43:46], v[15:16], off offset:240
	v_add_co_u32_e32 v15, vcc, 0x2000, v15
	v_addc_co_u32_e32 v16, vcc, 0, v16, vcc
	s_waitcnt vmcnt(1)
	v_fma_f64 v[22:23], v[39:40], v[30:31], v[26:27]
	v_fma_f64 v[47:48], v[41:42], v[30:31], v[53:54]
	v_fma_f64 v[26:27], -v[41:42], v[32:33], v[22:23]
	s_waitcnt vmcnt(0)
	v_fma_f64 v[49:50], v[43:44], v[30:31], v[55:56]
	v_fma_f64 v[51:52], v[45:46], v[30:31], v[57:58]
	v_fma_f64 v[22:23], v[39:40], v[32:33], v[47:48]
	v_fma_f64 v[30:31], -v[45:46], v[32:33], v[49:50]
	v_fma_f64 v[32:33], v[43:44], v[32:33], v[51:52]
	s_andn2_b64 exec, exec, s[14:15]
	s_cbranch_execnz .LBB18_15
; %bb.16:
	s_or_b64 exec, exec, s[14:15]
.LBB18_17:
	s_or_b64 exec, exec, s[10:11]
	s_movk_i32 s2, 0x5f
	v_cmp_lt_u32_e32 vcc, s2, v10
	s_and_saveexec_b64 s[10:11], vcc
	s_cbranch_execz .LBB18_21
; %bb.18:
	s_mov_b64 s[14:15], 0
	v_mov_b32_e32 v10, s13
	v_mov_b32_e32 v38, s7
	s_movk_i32 s17, 0x2000
	s_movk_i32 s18, 0x4000
	;; [unrolled: 1-line block ×3, first 2 shown]
.LBB18_19:                              ; =>This Inner Loop Header: Depth=1
	v_ashrrev_i32_e32 v14, 31, v13
	v_lshlrev_b64 v[34:35], 2, v[13:14]
	v_add_u32_e32 v13, 0x80, v13
	v_add_co_u32_e32 v34, vcc, s12, v34
	v_addc_co_u32_e32 v35, vcc, v10, v35, vcc
	global_load_dword v14, v[34:35], off
	global_load_dwordx4 v[39:42], v[15:16], off offset:48
	global_load_dwordx4 v[43:46], v[15:16], off offset:32
	;; [unrolled: 1-line block ×3, first 2 shown]
	global_load_dwordx4 v[51:54], v[15:16], off
	v_cmp_ge_i32_e64 s[2:3], v13, v36
	s_or_b64 s[14:15], s[2:3], s[14:15]
	s_waitcnt vmcnt(4)
	v_subrev_u32_e32 v14, s16, v14
	v_lshlrev_b32_e32 v55, 2, v14
	v_ashrrev_i32_e32 v56, 31, v55
	v_lshlrev_b64 v[55:56], 4, v[55:56]
	v_add_co_u32_e32 v71, vcc, s6, v55
	v_addc_co_u32_e32 v72, vcc, v38, v56, vcc
	global_load_dwordx4 v[55:58], v[71:72], off offset:48
	global_load_dwordx4 v[59:62], v[71:72], off offset:32
	;; [unrolled: 1-line block ×3, first 2 shown]
	global_load_dwordx4 v[67:70], v[71:72], off
	s_waitcnt vmcnt(0)
	v_fma_f64 v[28:29], v[51:52], v[67:68], v[28:29]
	v_fma_f64 v[19:20], v[53:54], v[67:68], v[19:20]
	v_fma_f64 v[28:29], -v[53:54], v[69:70], v[28:29]
	v_fma_f64 v[19:20], v[51:52], v[69:70], v[19:20]
	v_fma_f64 v[28:29], v[47:48], v[63:64], v[28:29]
	v_fma_f64 v[19:20], v[49:50], v[63:64], v[19:20]
	v_fma_f64 v[28:29], -v[49:50], v[65:66], v[28:29]
	v_fma_f64 v[19:20], v[47:48], v[65:66], v[19:20]
	;; [unrolled: 4-line block ×4, first 2 shown]
	global_load_dwordx4 v[39:42], v[15:16], off offset:112
	global_load_dwordx4 v[43:46], v[15:16], off offset:96
	;; [unrolled: 1-line block ×4, first 2 shown]
	s_waitcnt vmcnt(0)
	v_fma_f64 v[19:20], v[51:52], v[67:68], v[24:25]
	v_fma_f64 v[17:18], v[53:54], v[67:68], v[17:18]
	v_fma_f64 v[19:20], -v[53:54], v[69:70], v[19:20]
	v_fma_f64 v[17:18], v[51:52], v[69:70], v[17:18]
	v_fma_f64 v[19:20], v[47:48], v[63:64], v[19:20]
	v_fma_f64 v[17:18], v[49:50], v[63:64], v[17:18]
	v_fma_f64 v[19:20], -v[49:50], v[65:66], v[19:20]
	v_fma_f64 v[17:18], v[47:48], v[65:66], v[17:18]
	;; [unrolled: 4-line block ×4, first 2 shown]
	global_load_dwordx4 v[17:20], v[15:16], off offset:176
	global_load_dwordx4 v[39:42], v[15:16], off offset:160
	;; [unrolled: 1-line block ×4, first 2 shown]
	s_waitcnt vmcnt(0)
	v_fma_f64 v[24:25], v[47:48], v[67:68], v[26:27]
	v_fma_f64 v[22:23], v[49:50], v[67:68], v[22:23]
	v_fma_f64 v[24:25], -v[49:50], v[69:70], v[24:25]
	v_fma_f64 v[22:23], v[47:48], v[69:70], v[22:23]
	v_fma_f64 v[24:25], v[43:44], v[63:64], v[24:25]
	v_fma_f64 v[22:23], v[45:46], v[63:64], v[22:23]
	v_fma_f64 v[24:25], -v[45:46], v[65:66], v[24:25]
	v_fma_f64 v[22:23], v[43:44], v[65:66], v[22:23]
	;; [unrolled: 4-line block ×3, first 2 shown]
	v_fma_f64 v[24:25], v[17:18], v[55:56], v[24:25]
	v_fma_f64 v[79:80], -v[19:20], v[57:58], v[24:25]
	v_fma_f64 v[19:20], v[19:20], v[55:56], v[22:23]
	v_fma_f64 v[81:82], v[17:18], v[57:58], v[19:20]
	global_load_dwordx4 v[17:20], v[15:16], off offset:240
	global_load_dwordx4 v[22:25], v[15:16], off offset:224
	;; [unrolled: 1-line block ×4, first 2 shown]
	global_load_dword v14, v[34:35], off offset:128
	s_waitcnt vmcnt(1)
	v_fma_f64 v[30:31], v[39:40], v[67:68], v[30:31]
	v_fma_f64 v[32:33], v[41:42], v[67:68], v[32:33]
	s_waitcnt vmcnt(0)
	v_subrev_u32_e32 v14, s16, v14
	v_fma_f64 v[30:31], -v[41:42], v[69:70], v[30:31]
	v_fma_f64 v[32:33], v[39:40], v[69:70], v[32:33]
	v_lshlrev_b32_e32 v39, 2, v14
	v_ashrrev_i32_e32 v40, 31, v39
	v_lshlrev_b64 v[39:40], 4, v[39:40]
	v_fma_f64 v[30:31], v[26:27], v[63:64], v[30:31]
	v_fma_f64 v[30:31], -v[28:29], v[65:66], v[30:31]
	v_fma_f64 v[28:29], v[28:29], v[63:64], v[32:33]
	v_fma_f64 v[26:27], v[26:27], v[65:66], v[28:29]
	v_fma_f64 v[28:29], v[22:23], v[59:60], v[30:31]
	v_fma_f64 v[28:29], -v[24:25], v[61:62], v[28:29]
	v_fma_f64 v[24:25], v[24:25], v[59:60], v[26:27]
	v_fma_f64 v[22:23], v[22:23], v[61:62], v[24:25]
	;; [unrolled: 4-line block ×3, first 2 shown]
	v_add_co_u32_e32 v57, vcc, s17, v15
	v_addc_co_u32_e32 v58, vcc, 0, v16, vcc
	v_add_co_u32_e32 v61, vcc, s6, v39
	v_addc_co_u32_e32 v62, vcc, v38, v40, vcc
	global_load_dwordx4 v[17:20], v[57:58], off
	global_load_dwordx4 v[22:25], v[57:58], off offset:48
	global_load_dwordx4 v[26:29], v[57:58], off offset:32
	global_load_dwordx4 v[30:33], v[57:58], off offset:16
	global_load_dwordx4 v[39:42], v[61:62], off offset:48
	global_load_dwordx4 v[43:46], v[61:62], off offset:32
	global_load_dwordx4 v[47:50], v[61:62], off offset:16
	global_load_dwordx4 v[51:54], v[61:62], off
	s_waitcnt vmcnt(0)
	v_fma_f64 v[61:62], v[17:18], v[51:52], v[71:72]
	v_fma_f64 v[61:62], -v[19:20], v[53:54], v[61:62]
	v_fma_f64 v[19:20], v[19:20], v[51:52], v[73:74]
	v_fma_f64 v[17:18], v[17:18], v[53:54], v[19:20]
	;; [unrolled: 1-line block ×4, first 2 shown]
	v_fma_f64 v[19:20], -v[32:33], v[49:50], v[19:20]
	v_fma_f64 v[17:18], v[30:31], v[49:50], v[17:18]
	v_fma_f64 v[19:20], v[26:27], v[43:44], v[19:20]
	v_fma_f64 v[17:18], v[28:29], v[43:44], v[17:18]
	v_fma_f64 v[19:20], -v[28:29], v[45:46], v[19:20]
	v_fma_f64 v[17:18], v[26:27], v[45:46], v[17:18]
	v_fma_f64 v[19:20], v[22:23], v[39:40], v[19:20]
	;; [unrolled: 1-line block ×3, first 2 shown]
	v_fma_f64 v[61:62], -v[24:25], v[41:42], v[19:20]
	v_fma_f64 v[63:64], v[22:23], v[41:42], v[17:18]
	global_load_dwordx4 v[17:20], v[57:58], off offset:112
	global_load_dwordx4 v[22:25], v[57:58], off offset:96
	;; [unrolled: 1-line block ×4, first 2 shown]
	s_waitcnt vmcnt(0)
	v_fma_f64 v[65:66], v[30:31], v[51:52], v[75:76]
	v_fma_f64 v[65:66], -v[32:33], v[53:54], v[65:66]
	v_fma_f64 v[32:33], v[32:33], v[51:52], v[77:78]
	v_add_co_u32_e32 v77, vcc, s18, v15
	v_addc_co_u32_e32 v78, vcc, 0, v16, vcc
	v_fma_f64 v[30:31], v[30:31], v[53:54], v[32:33]
	v_fma_f64 v[32:33], v[26:27], v[47:48], v[65:66]
	v_fma_f64 v[32:33], -v[28:29], v[49:50], v[32:33]
	v_fma_f64 v[28:29], v[28:29], v[47:48], v[30:31]
	v_fma_f64 v[26:27], v[26:27], v[49:50], v[28:29]
	v_fma_f64 v[28:29], v[22:23], v[43:44], v[32:33]
	v_fma_f64 v[28:29], -v[24:25], v[45:46], v[28:29]
	v_fma_f64 v[24:25], v[24:25], v[43:44], v[26:27]
	;; [unrolled: 4-line block ×3, first 2 shown]
	v_fma_f64 v[67:68], v[17:18], v[41:42], v[19:20]
	global_load_dwordx4 v[17:20], v[57:58], off offset:176
	global_load_dwordx4 v[22:25], v[57:58], off offset:160
	;; [unrolled: 1-line block ×4, first 2 shown]
	s_waitcnt vmcnt(0)
	v_fma_f64 v[69:70], v[30:31], v[51:52], v[79:80]
	v_fma_f64 v[69:70], -v[32:33], v[53:54], v[69:70]
	v_fma_f64 v[32:33], v[32:33], v[51:52], v[81:82]
	v_fma_f64 v[30:31], v[30:31], v[53:54], v[32:33]
	v_fma_f64 v[32:33], v[26:27], v[47:48], v[69:70]
	v_fma_f64 v[32:33], -v[28:29], v[49:50], v[32:33]
	v_fma_f64 v[28:29], v[28:29], v[47:48], v[30:31]
	v_fma_f64 v[26:27], v[26:27], v[49:50], v[28:29]
	;; [unrolled: 4-line block ×4, first 2 shown]
	global_load_dwordx4 v[17:20], v[57:58], off offset:240
	global_load_dwordx4 v[22:25], v[57:58], off offset:224
	;; [unrolled: 1-line block ×4, first 2 shown]
	global_load_dword v14, v[34:35], off offset:256
	s_waitcnt vmcnt(1)
	v_fma_f64 v[57:58], v[30:31], v[51:52], v[59:60]
	s_waitcnt vmcnt(0)
	v_subrev_u32_e32 v14, s16, v14
	v_fma_f64 v[57:58], -v[32:33], v[53:54], v[57:58]
	v_fma_f64 v[32:33], v[32:33], v[51:52], v[55:56]
	v_fma_f64 v[30:31], v[30:31], v[53:54], v[32:33]
	v_fma_f64 v[32:33], v[26:27], v[47:48], v[57:58]
	v_fma_f64 v[32:33], -v[28:29], v[49:50], v[32:33]
	v_fma_f64 v[28:29], v[28:29], v[47:48], v[30:31]
	v_fma_f64 v[26:27], v[26:27], v[49:50], v[28:29]
	v_fma_f64 v[28:29], v[22:23], v[43:44], v[32:33]
	;; [unrolled: 4-line block ×3, first 2 shown]
	v_fma_f64 v[73:74], -v[19:20], v[41:42], v[24:25]
	v_fma_f64 v[19:20], v[19:20], v[39:40], v[22:23]
	v_lshlrev_b32_e32 v39, 2, v14
	v_ashrrev_i32_e32 v40, 31, v39
	v_lshlrev_b64 v[39:40], 4, v[39:40]
	v_add_co_u32_e32 v55, vcc, s6, v39
	v_addc_co_u32_e32 v56, vcc, v38, v40, vcc
	v_fma_f64 v[75:76], v[17:18], v[41:42], v[19:20]
	global_load_dwordx4 v[17:20], v[77:78], off
	global_load_dwordx4 v[22:25], v[77:78], off offset:48
	global_load_dwordx4 v[26:29], v[77:78], off offset:32
	;; [unrolled: 1-line block ×6, first 2 shown]
	global_load_dwordx4 v[51:54], v[55:56], off
	s_waitcnt vmcnt(0)
	v_fma_f64 v[55:56], v[17:18], v[51:52], v[61:62]
	v_fma_f64 v[55:56], -v[19:20], v[53:54], v[55:56]
	v_fma_f64 v[19:20], v[19:20], v[51:52], v[63:64]
	v_fma_f64 v[17:18], v[17:18], v[53:54], v[19:20]
	;; [unrolled: 1-line block ×4, first 2 shown]
	v_fma_f64 v[19:20], -v[32:33], v[49:50], v[19:20]
	v_fma_f64 v[17:18], v[30:31], v[49:50], v[17:18]
	v_fma_f64 v[19:20], v[26:27], v[43:44], v[19:20]
	;; [unrolled: 1-line block ×3, first 2 shown]
	v_fma_f64 v[19:20], -v[28:29], v[45:46], v[19:20]
	v_fma_f64 v[17:18], v[26:27], v[45:46], v[17:18]
	v_fma_f64 v[19:20], v[22:23], v[39:40], v[19:20]
	;; [unrolled: 1-line block ×3, first 2 shown]
	v_fma_f64 v[19:20], -v[24:25], v[41:42], v[19:20]
	v_fma_f64 v[28:29], v[22:23], v[41:42], v[17:18]
	global_load_dwordx4 v[22:25], v[77:78], off offset:112
	global_load_dwordx4 v[30:33], v[77:78], off offset:96
	global_load_dwordx4 v[55:58], v[77:78], off offset:80
	global_load_dwordx4 v[59:62], v[77:78], off offset:64
	s_waitcnt vmcnt(0)
	v_fma_f64 v[17:18], v[59:60], v[51:52], v[65:66]
	v_fma_f64 v[26:27], v[61:62], v[51:52], v[67:68]
	v_fma_f64 v[17:18], -v[61:62], v[53:54], v[17:18]
	v_fma_f64 v[26:27], v[59:60], v[53:54], v[26:27]
	v_fma_f64 v[17:18], v[55:56], v[47:48], v[17:18]
	v_fma_f64 v[26:27], v[57:58], v[47:48], v[26:27]
	v_fma_f64 v[17:18], -v[57:58], v[49:50], v[17:18]
	v_fma_f64 v[26:27], v[55:56], v[49:50], v[26:27]
	v_fma_f64 v[17:18], v[30:31], v[43:44], v[17:18]
	v_fma_f64 v[26:27], v[32:33], v[43:44], v[26:27]
	v_fma_f64 v[17:18], -v[32:33], v[45:46], v[17:18]
	v_fma_f64 v[26:27], v[30:31], v[45:46], v[26:27]
	global_load_dwordx4 v[30:33], v[77:78], off offset:176
	global_load_dwordx4 v[55:58], v[77:78], off offset:160
	;; [unrolled: 1-line block ×4, first 2 shown]
	v_fma_f64 v[17:18], v[22:23], v[39:40], v[17:18]
	v_fma_f64 v[17:18], -v[24:25], v[41:42], v[17:18]
	v_fma_f64 v[24:25], v[24:25], v[39:40], v[26:27]
	v_fma_f64 v[24:25], v[22:23], v[41:42], v[24:25]
	s_waitcnt vmcnt(0)
	v_fma_f64 v[22:23], v[63:64], v[51:52], v[69:70]
	v_fma_f64 v[26:27], v[65:66], v[51:52], v[71:72]
	v_fma_f64 v[22:23], -v[65:66], v[53:54], v[22:23]
	v_fma_f64 v[26:27], v[63:64], v[53:54], v[26:27]
	v_fma_f64 v[22:23], v[59:60], v[47:48], v[22:23]
	v_fma_f64 v[26:27], v[61:62], v[47:48], v[26:27]
	v_fma_f64 v[22:23], -v[61:62], v[49:50], v[22:23]
	v_fma_f64 v[26:27], v[59:60], v[49:50], v[26:27]
	;; [unrolled: 4-line block ×4, first 2 shown]
	global_load_dwordx4 v[55:58], v[77:78], off offset:240
	global_load_dwordx4 v[30:33], v[77:78], off offset:224
	;; [unrolled: 1-line block ×4, first 2 shown]
	global_load_dword v14, v[34:35], off offset:384
	v_add_co_u32_e32 v34, vcc, s19, v15
	v_addc_co_u32_e32 v35, vcc, 0, v16, vcc
	s_waitcnt vmcnt(1)
	v_fma_f64 v[67:68], v[63:64], v[51:52], v[73:74]
	v_fma_f64 v[51:52], v[65:66], v[51:52], v[75:76]
	s_waitcnt vmcnt(0)
	v_subrev_u32_e32 v14, s16, v14
	v_fma_f64 v[67:68], -v[65:66], v[53:54], v[67:68]
	v_fma_f64 v[51:52], v[63:64], v[53:54], v[51:52]
	v_fma_f64 v[53:54], v[59:60], v[47:48], v[67:68]
	;; [unrolled: 1-line block ×3, first 2 shown]
	v_fma_f64 v[53:54], -v[61:62], v[49:50], v[53:54]
	v_fma_f64 v[47:48], v[59:60], v[49:50], v[47:48]
	v_fma_f64 v[49:50], v[30:31], v[43:44], v[53:54]
	v_fma_f64 v[49:50], -v[32:33], v[45:46], v[49:50]
	v_fma_f64 v[32:33], v[32:33], v[43:44], v[47:48]
	v_fma_f64 v[30:31], v[30:31], v[45:46], v[32:33]
	;; [unrolled: 1-line block ×4, first 2 shown]
	v_fma_f64 v[32:33], -v[57:58], v[41:42], v[32:33]
	v_fma_f64 v[30:31], v[55:56], v[41:42], v[30:31]
	v_lshlrev_b32_e32 v55, 2, v14
	v_ashrrev_i32_e32 v56, 31, v55
	v_lshlrev_b64 v[55:56], 4, v[55:56]
	global_load_dwordx4 v[39:42], v[34:35], off
	global_load_dwordx4 v[43:46], v[34:35], off offset:48
	global_load_dwordx4 v[47:50], v[34:35], off offset:32
	global_load_dwordx4 v[51:54], v[34:35], off offset:16
	v_add_co_u32_e32 v71, vcc, s6, v55
	v_addc_co_u32_e32 v72, vcc, v38, v56, vcc
	global_load_dwordx4 v[55:58], v[71:72], off offset:48
	global_load_dwordx4 v[59:62], v[71:72], off offset:32
	;; [unrolled: 1-line block ×3, first 2 shown]
	global_load_dwordx4 v[67:70], v[71:72], off
	v_add_co_u32_e32 v15, vcc, 0x8000, v15
	v_addc_co_u32_e32 v16, vcc, 0, v16, vcc
	s_waitcnt vmcnt(0)
	v_fma_f64 v[19:20], v[39:40], v[67:68], v[19:20]
	v_fma_f64 v[28:29], v[41:42], v[67:68], v[28:29]
	v_fma_f64 v[19:20], -v[41:42], v[69:70], v[19:20]
	v_fma_f64 v[28:29], v[39:40], v[69:70], v[28:29]
	v_fma_f64 v[19:20], v[51:52], v[63:64], v[19:20]
	v_fma_f64 v[28:29], v[53:54], v[63:64], v[28:29]
	v_fma_f64 v[19:20], -v[53:54], v[65:66], v[19:20]
	v_fma_f64 v[28:29], v[51:52], v[65:66], v[28:29]
	v_fma_f64 v[19:20], v[47:48], v[59:60], v[19:20]
	v_fma_f64 v[28:29], v[49:50], v[59:60], v[28:29]
	v_fma_f64 v[19:20], -v[49:50], v[61:62], v[19:20]
	v_fma_f64 v[39:40], v[47:48], v[61:62], v[28:29]
	v_fma_f64 v[19:20], v[43:44], v[55:56], v[19:20]
	v_fma_f64 v[28:29], -v[45:46], v[57:58], v[19:20]
	v_fma_f64 v[19:20], v[45:46], v[55:56], v[39:40]
	v_fma_f64 v[19:20], v[43:44], v[57:58], v[19:20]
	global_load_dwordx4 v[39:42], v[34:35], off offset:112
	global_load_dwordx4 v[43:46], v[34:35], off offset:96
	global_load_dwordx4 v[47:50], v[34:35], off offset:80
	global_load_dwordx4 v[51:54], v[34:35], off offset:64
	s_waitcnt vmcnt(0)
	v_fma_f64 v[17:18], v[51:52], v[67:68], v[17:18]
	v_fma_f64 v[24:25], v[53:54], v[67:68], v[24:25]
	v_fma_f64 v[17:18], -v[53:54], v[69:70], v[17:18]
	v_fma_f64 v[24:25], v[51:52], v[69:70], v[24:25]
	v_fma_f64 v[17:18], v[47:48], v[63:64], v[17:18]
	v_fma_f64 v[24:25], v[49:50], v[63:64], v[24:25]
	v_fma_f64 v[17:18], -v[49:50], v[65:66], v[17:18]
	v_fma_f64 v[24:25], v[47:48], v[65:66], v[24:25]
	v_fma_f64 v[17:18], v[43:44], v[59:60], v[17:18]
	v_fma_f64 v[24:25], v[45:46], v[59:60], v[24:25]
	v_fma_f64 v[17:18], -v[45:46], v[61:62], v[17:18]
	v_fma_f64 v[43:44], v[43:44], v[61:62], v[24:25]
	v_fma_f64 v[17:18], v[39:40], v[55:56], v[17:18]
	v_fma_f64 v[24:25], -v[41:42], v[57:58], v[17:18]
	v_fma_f64 v[17:18], v[41:42], v[55:56], v[43:44]
	v_fma_f64 v[17:18], v[39:40], v[57:58], v[17:18]
	global_load_dwordx4 v[39:42], v[34:35], off offset:176
	global_load_dwordx4 v[43:46], v[34:35], off offset:160
	global_load_dwordx4 v[47:50], v[34:35], off offset:144
	global_load_dwordx4 v[51:54], v[34:35], off offset:128
	;; [unrolled: 21-line block ×3, first 2 shown]
	s_waitcnt vmcnt(0)
	v_fma_f64 v[32:33], v[51:52], v[67:68], v[32:33]
	v_fma_f64 v[30:31], v[53:54], v[67:68], v[30:31]
	v_fma_f64 v[32:33], -v[53:54], v[69:70], v[32:33]
	v_fma_f64 v[30:31], v[51:52], v[69:70], v[30:31]
	v_fma_f64 v[32:33], v[47:48], v[63:64], v[32:33]
	v_fma_f64 v[30:31], v[49:50], v[63:64], v[30:31]
	v_fma_f64 v[32:33], -v[49:50], v[65:66], v[32:33]
	v_fma_f64 v[30:31], v[47:48], v[65:66], v[30:31]
	;; [unrolled: 4-line block ×4, first 2 shown]
	s_andn2_b64 exec, exec, s[14:15]
	s_cbranch_execnz .LBB18_19
; %bb.20:
	s_or_b64 exec, exec, s[14:15]
.LBB18_21:
	s_or_b64 exec, exec, s[10:11]
.LBB18_22:
	s_or_b64 exec, exec, s[8:9]
	s_cbranch_execz .LBB18_24
	s_branch .LBB18_35
.LBB18_23:
                                        ; implicit-def: $vgpr19_vgpr20
                                        ; implicit-def: $vgpr28_vgpr29
                                        ; implicit-def: $vgpr30_vgpr31
                                        ; implicit-def: $vgpr32_vgpr33
                                        ; implicit-def: $vgpr26_vgpr27
                                        ; implicit-def: $vgpr22_vgpr23
                                        ; implicit-def: $vgpr24_vgpr25
                                        ; implicit-def: $vgpr17_vgpr18
.LBB18_24:
	v_mov_b32_e32 v19, 0
	v_mov_b32_e32 v28, 0
	;; [unrolled: 1-line block ×16, first 2 shown]
	s_and_saveexec_b64 s[2:3], s[0:1]
	s_cbranch_execz .LBB18_34
; %bb.25:
	v_add_u32_e32 v10, v37, v0
	v_subrev_u32_e32 v10, s16, v10
	v_add_u32_e32 v10, 32, v10
	v_max_i32_e32 v10, v10, v36
	v_not_b32_e32 v13, v37
	v_add3_u32 v10, s16, v10, v13
	v_sub_u32_e32 v13, v10, v0
	s_movk_i32 s0, 0x60
	v_and_b32_e32 v10, 0x60, v13
	v_mov_b32_e32 v17, 0
	v_mov_b32_e32 v24, 0
	v_mov_b32_e32 v22, 0
	v_mov_b32_e32 v26, 0
	v_mov_b32_e32 v32, 0
	v_mov_b32_e32 v30, 0
	v_mov_b32_e32 v28, 0
	v_mov_b32_e32 v19, 0
	v_mov_b32_e32 v18, 0
	v_mov_b32_e32 v25, 0
	v_mov_b32_e32 v23, 0
	v_mov_b32_e32 v27, 0
	v_mov_b32_e32 v33, 0
	v_mov_b32_e32 v31, 0
	v_mov_b32_e32 v29, 0
	v_mov_b32_e32 v20, 0
	v_cmp_ne_u32_e32 vcc, s0, v10
	s_and_saveexec_b64 s[8:9], vcc
	s_cbranch_execz .LBB18_29
; %bb.26:
	v_lshrrev_b32_e32 v10, 5, v13
	v_add_u32_e32 v10, 1, v10
	v_and_b32_e32 v10, 3, v10
	v_mov_b32_e32 v19, 0
	v_mov_b32_e32 v28, 0
	;; [unrolled: 1-line block ×8, first 2 shown]
	v_sub_u32_e32 v14, 0, v10
	v_mov_b32_e32 v20, 0
	s_mov_b64 s[10:11], 0
	v_mov_b32_e32 v15, s13
	v_mov_b32_e32 v29, 0
	;; [unrolled: 1-line block ×9, first 2 shown]
.LBB18_27:                              ; =>This Inner Loop Header: Depth=1
	v_ashrrev_i32_e32 v10, 31, v9
	v_lshlrev_b64 v[34:35], 2, v[9:10]
	global_load_dwordx4 v[37:40], v[11:12], off offset:48
	global_load_dwordx4 v[41:44], v[11:12], off offset:32
	;; [unrolled: 1-line block ×3, first 2 shown]
	global_load_dwordx4 v[49:52], v[11:12], off
	global_load_dwordx4 v[53:56], v[11:12], off offset:112
	global_load_dwordx4 v[57:60], v[11:12], off offset:96
	v_add_co_u32_e32 v34, vcc, s12, v34
	v_addc_co_u32_e32 v35, vcc, v15, v35, vcc
	global_load_dword v10, v[34:35], off
	v_add_co_u32_e64 v14, s[0:1], 1, v14
	s_or_b64 s[10:11], s[0:1], s[10:11]
	v_add_u32_e32 v9, 32, v9
	s_waitcnt vmcnt(0)
	v_subrev_u32_e32 v10, s16, v10
	v_lshlrev_b32_e32 v34, 2, v10
	v_ashrrev_i32_e32 v35, 31, v34
	v_lshlrev_b64 v[34:35], 4, v[34:35]
	v_add_co_u32_e32 v34, vcc, s6, v34
	v_addc_co_u32_e32 v35, vcc, v16, v35, vcc
	global_load_dwordx4 v[61:64], v[34:35], off
	s_waitcnt vmcnt(0)
	v_fma_f64 v[28:29], v[49:50], v[61:62], v[28:29]
	v_fma_f64 v[19:20], v[51:52], v[61:62], v[19:20]
	v_fma_f64 v[17:18], v[47:48], v[61:62], v[17:18]
	v_fma_f64 v[22:23], v[43:44], v[61:62], v[22:23]
	v_fma_f64 v[65:66], -v[51:52], v[63:64], v[28:29]
	v_fma_f64 v[67:68], v[49:50], v[63:64], v[19:20]
	v_fma_f64 v[19:20], v[45:46], v[61:62], v[24:25]
	;; [unrolled: 1-line block ×5, first 2 shown]
	global_load_dwordx4 v[49:52], v[11:12], off offset:80
	v_fma_f64 v[45:46], v[45:46], v[63:64], v[17:18]
	v_fma_f64 v[41:42], v[41:42], v[63:64], v[22:23]
	v_fma_f64 v[47:48], -v[47:48], v[63:64], v[19:20]
	global_load_dwordx4 v[17:20], v[11:12], off offset:64
	v_fma_f64 v[43:44], -v[43:44], v[63:64], v[24:25]
	global_load_dwordx4 v[22:25], v[11:12], off offset:176
	v_fma_f64 v[61:62], -v[39:40], v[63:64], v[26:27]
	v_fma_f64 v[63:64], v[37:38], v[63:64], v[28:29]
	global_load_dwordx4 v[26:29], v[11:12], off offset:160
	global_load_dwordx4 v[30:33], v[34:35], off offset:16
	s_waitcnt vmcnt(0)
	v_fma_f64 v[37:38], v[17:18], v[30:31], v[65:66]
	v_fma_f64 v[39:40], v[19:20], v[30:31], v[67:68]
	;; [unrolled: 1-line block ×4, first 2 shown]
	v_fma_f64 v[65:66], -v[19:20], v[32:33], v[37:38]
	v_fma_f64 v[67:68], v[17:18], v[32:33], v[39:40]
	v_fma_f64 v[37:38], v[49:50], v[30:31], v[47:48]
	;; [unrolled: 1-line block ×5, first 2 shown]
	global_load_dwordx4 v[17:20], v[11:12], off offset:144
	v_fma_f64 v[59:60], -v[59:60], v[32:33], v[43:44]
	v_fma_f64 v[57:58], v[57:58], v[32:33], v[41:42]
	global_load_dwordx4 v[41:44], v[11:12], off offset:224
	v_fma_f64 v[51:52], -v[51:52], v[32:33], v[37:38]
	v_fma_f64 v[49:50], v[49:50], v[32:33], v[39:40]
	;; [unrolled: 3-line block ×3, first 2 shown]
	global_load_dwordx4 v[30:33], v[11:12], off offset:208
	global_load_dwordx4 v[45:48], v[34:35], off offset:32
	s_waitcnt vmcnt(0)
	v_fma_f64 v[53:54], v[37:38], v[45:46], v[65:66]
	v_fma_f64 v[55:56], v[39:40], v[45:46], v[67:68]
	;; [unrolled: 1-line block ×4, first 2 shown]
	v_fma_f64 v[65:66], -v[39:40], v[47:48], v[53:54]
	v_fma_f64 v[67:68], v[37:38], v[47:48], v[55:56]
	v_fma_f64 v[53:54], v[26:27], v[45:46], v[59:60]
	;; [unrolled: 1-line block ×3, first 2 shown]
	global_load_dwordx4 v[37:40], v[11:12], off offset:192
	v_fma_f64 v[19:20], -v[19:20], v[47:48], v[51:52]
	v_fma_f64 v[17:18], v[17:18], v[47:48], v[49:50]
	global_load_dwordx4 v[49:52], v[11:12], off offset:240
	v_add_co_u32_e32 v11, vcc, 0x2000, v11
	v_fma_f64 v[28:29], -v[28:29], v[47:48], v[53:54]
	v_fma_f64 v[26:27], v[26:27], v[47:48], v[55:56]
	global_load_dwordx4 v[53:56], v[34:35], off offset:48
	v_fma_f64 v[34:35], v[22:23], v[45:46], v[61:62]
	v_fma_f64 v[45:46], v[24:25], v[45:46], v[63:64]
	v_addc_co_u32_e32 v12, vcc, 0, v12, vcc
	v_fma_f64 v[24:25], -v[24:25], v[47:48], v[34:35]
	v_fma_f64 v[22:23], v[22:23], v[47:48], v[45:46]
	s_waitcnt vmcnt(0)
	v_fma_f64 v[34:35], v[37:38], v[53:54], v[65:66]
	v_fma_f64 v[45:46], v[39:40], v[53:54], v[67:68]
	;; [unrolled: 1-line block ×8, first 2 shown]
	v_fma_f64 v[28:29], -v[39:40], v[55:56], v[34:35]
	v_fma_f64 v[19:20], v[37:38], v[55:56], v[45:46]
	v_fma_f64 v[24:25], -v[32:33], v[55:56], v[47:48]
	v_fma_f64 v[17:18], v[30:31], v[55:56], v[17:18]
	;; [unrolled: 2-line block ×4, first 2 shown]
	s_andn2_b64 exec, exec, s[10:11]
	s_cbranch_execnz .LBB18_27
; %bb.28:
	s_or_b64 exec, exec, s[10:11]
.LBB18_29:
	s_or_b64 exec, exec, s[8:9]
	s_movk_i32 s0, 0x5f
	v_cmp_lt_u32_e32 vcc, s0, v13
	s_and_saveexec_b64 s[8:9], vcc
	s_cbranch_execz .LBB18_33
; %bb.30:
	s_mov_b64 s[10:11], 0
	v_mov_b32_e32 v34, s13
	v_mov_b32_e32 v35, s7
	s_movk_i32 s7, 0x2000
	s_movk_i32 s13, 0x4000
	;; [unrolled: 1-line block ×3, first 2 shown]
.LBB18_31:                              ; =>This Inner Loop Header: Depth=1
	v_ashrrev_i32_e32 v10, 31, v9
	v_lshlrev_b64 v[13:14], 2, v[9:10]
	v_add_u32_e32 v9, 0x80, v9
	v_add_co_u32_e32 v13, vcc, s12, v13
	v_addc_co_u32_e32 v14, vcc, v34, v14, vcc
	global_load_dword v10, v[13:14], off
	global_load_dwordx4 v[37:40], v[11:12], off offset:48
	global_load_dwordx4 v[41:44], v[11:12], off offset:32
	;; [unrolled: 1-line block ×3, first 2 shown]
	global_load_dwordx4 v[49:52], v[11:12], off
	v_cmp_ge_i32_e64 s[0:1], v9, v36
	s_or_b64 s[10:11], s[0:1], s[10:11]
	s_waitcnt vmcnt(4)
	v_subrev_u32_e32 v10, s16, v10
	v_lshlrev_b32_e32 v15, 2, v10
	v_ashrrev_i32_e32 v16, 31, v15
	v_lshlrev_b64 v[15:16], 4, v[15:16]
	v_add_co_u32_e32 v15, vcc, s6, v15
	v_addc_co_u32_e32 v16, vcc, v35, v16, vcc
	global_load_dwordx4 v[53:56], v[15:16], off offset:48
	global_load_dwordx4 v[57:60], v[15:16], off offset:32
	global_load_dwordx4 v[61:64], v[15:16], off offset:16
	global_load_dwordx4 v[65:68], v[15:16], off
	s_waitcnt vmcnt(0)
	v_fma_f64 v[15:16], v[49:50], v[65:66], v[28:29]
	v_fma_f64 v[69:70], -v[51:52], v[67:68], v[15:16]
	v_fma_f64 v[15:16], v[51:52], v[65:66], v[19:20]
	v_fma_f64 v[19:20], v[49:50], v[67:68], v[15:16]
	v_fma_f64 v[15:16], v[45:46], v[65:66], v[24:25]
	v_fma_f64 v[49:50], -v[47:48], v[67:68], v[15:16]
	v_fma_f64 v[15:16], v[47:48], v[65:66], v[17:18]
	v_fma_f64 v[45:46], v[45:46], v[67:68], v[15:16]
	;; [unrolled: 4-line block ×4, first 2 shown]
	global_load_dwordx4 v[15:18], v[11:12], off offset:112
	global_load_dwordx4 v[22:25], v[11:12], off offset:96
	;; [unrolled: 1-line block ×4, first 2 shown]
	s_waitcnt vmcnt(0)
	v_fma_f64 v[19:20], v[32:33], v[61:62], v[19:20]
	v_fma_f64 v[39:40], v[30:31], v[61:62], v[69:70]
	;; [unrolled: 1-line block ×4, first 2 shown]
	v_fma_f64 v[39:40], -v[32:33], v[63:64], v[39:40]
	v_fma_f64 v[49:50], -v[28:29], v[63:64], v[30:31]
	v_fma_f64 v[28:29], v[28:29], v[61:62], v[45:46]
	v_fma_f64 v[45:46], v[26:27], v[63:64], v[28:29]
	;; [unrolled: 1-line block ×3, first 2 shown]
	v_fma_f64 v[47:48], -v[24:25], v[63:64], v[26:27]
	v_fma_f64 v[24:25], v[24:25], v[61:62], v[41:42]
	v_fma_f64 v[41:42], v[22:23], v[63:64], v[24:25]
	;; [unrolled: 1-line block ×3, first 2 shown]
	v_fma_f64 v[43:44], -v[17:18], v[63:64], v[22:23]
	v_fma_f64 v[17:18], v[17:18], v[61:62], v[37:38]
	v_fma_f64 v[37:38], v[15:16], v[63:64], v[17:18]
	global_load_dwordx4 v[15:18], v[11:12], off offset:176
	global_load_dwordx4 v[22:25], v[11:12], off offset:160
	;; [unrolled: 1-line block ×4, first 2 shown]
	s_waitcnt vmcnt(0)
	v_fma_f64 v[19:20], v[32:33], v[57:58], v[19:20]
	v_fma_f64 v[39:40], v[30:31], v[57:58], v[39:40]
	;; [unrolled: 1-line block ×4, first 2 shown]
	v_fma_f64 v[39:40], -v[32:33], v[59:60], v[39:40]
	v_fma_f64 v[49:50], -v[28:29], v[59:60], v[30:31]
	v_fma_f64 v[28:29], v[28:29], v[57:58], v[45:46]
	v_fma_f64 v[45:46], v[26:27], v[59:60], v[28:29]
	;; [unrolled: 1-line block ×3, first 2 shown]
	v_fma_f64 v[47:48], -v[24:25], v[59:60], v[26:27]
	v_fma_f64 v[24:25], v[24:25], v[57:58], v[41:42]
	v_fma_f64 v[41:42], v[22:23], v[59:60], v[24:25]
	;; [unrolled: 1-line block ×3, first 2 shown]
	v_fma_f64 v[43:44], -v[17:18], v[59:60], v[22:23]
	v_fma_f64 v[17:18], v[17:18], v[57:58], v[37:38]
	v_fma_f64 v[37:38], v[15:16], v[59:60], v[17:18]
	global_load_dwordx4 v[15:18], v[11:12], off offset:240
	global_load_dwordx4 v[22:25], v[11:12], off offset:224
	;; [unrolled: 1-line block ×4, first 2 shown]
	global_load_dword v10, v[13:14], off offset:128
	s_waitcnt vmcnt(1)
	v_fma_f64 v[19:20], v[32:33], v[53:54], v[19:20]
	v_fma_f64 v[39:40], v[30:31], v[53:54], v[39:40]
	s_waitcnt vmcnt(0)
	v_subrev_u32_e32 v10, s16, v10
	v_fma_f64 v[19:20], v[30:31], v[55:56], v[19:20]
	v_fma_f64 v[30:31], v[26:27], v[53:54], v[49:50]
	v_fma_f64 v[57:58], -v[32:33], v[55:56], v[39:40]
	v_fma_f64 v[59:60], -v[28:29], v[55:56], v[30:31]
	v_fma_f64 v[28:29], v[28:29], v[53:54], v[45:46]
	v_fma_f64 v[61:62], v[26:27], v[55:56], v[28:29]
	;; [unrolled: 1-line block ×3, first 2 shown]
	v_fma_f64 v[63:64], -v[24:25], v[55:56], v[26:27]
	v_fma_f64 v[24:25], v[24:25], v[53:54], v[41:42]
	v_fma_f64 v[65:66], v[22:23], v[55:56], v[24:25]
	;; [unrolled: 1-line block ×3, first 2 shown]
	v_fma_f64 v[67:68], -v[17:18], v[55:56], v[22:23]
	v_fma_f64 v[17:18], v[17:18], v[53:54], v[37:38]
	v_lshlrev_b32_e32 v37, 2, v10
	v_ashrrev_i32_e32 v38, 31, v37
	v_lshlrev_b64 v[37:38], 4, v[37:38]
	v_fma_f64 v[53:54], v[15:16], v[55:56], v[17:18]
	v_add_co_u32_e32 v55, vcc, s7, v11
	v_addc_co_u32_e32 v56, vcc, 0, v12, vcc
	v_add_co_u32_e32 v69, vcc, s6, v37
	v_addc_co_u32_e32 v70, vcc, v35, v38, vcc
	global_load_dwordx4 v[15:18], v[55:56], off
	global_load_dwordx4 v[22:25], v[55:56], off offset:48
	global_load_dwordx4 v[26:29], v[55:56], off offset:32
	;; [unrolled: 1-line block ×6, first 2 shown]
	global_load_dwordx4 v[49:52], v[69:70], off
	s_waitcnt vmcnt(0)
	v_fma_f64 v[57:58], v[15:16], v[49:50], v[57:58]
	v_fma_f64 v[57:58], -v[17:18], v[51:52], v[57:58]
	v_fma_f64 v[17:18], v[17:18], v[49:50], v[19:20]
	v_fma_f64 v[19:20], v[15:16], v[51:52], v[17:18]
	v_fma_f64 v[15:16], v[30:31], v[49:50], v[59:60]
	v_fma_f64 v[59:60], -v[32:33], v[51:52], v[15:16]
	v_fma_f64 v[15:16], v[32:33], v[49:50], v[61:62]
	v_fma_f64 v[61:62], v[30:31], v[51:52], v[15:16]
	;; [unrolled: 4-line block ×4, first 2 shown]
	global_load_dwordx4 v[15:18], v[55:56], off offset:112
	global_load_dwordx4 v[22:25], v[55:56], off offset:96
	;; [unrolled: 1-line block ×4, first 2 shown]
	s_waitcnt vmcnt(0)
	v_fma_f64 v[19:20], v[32:33], v[45:46], v[19:20]
	v_fma_f64 v[51:52], v[30:31], v[45:46], v[57:58]
	;; [unrolled: 1-line block ×4, first 2 shown]
	v_fma_f64 v[51:52], -v[32:33], v[47:48], v[51:52]
	v_fma_f64 v[53:54], -v[28:29], v[47:48], v[30:31]
	v_fma_f64 v[28:29], v[28:29], v[45:46], v[61:62]
	v_fma_f64 v[57:58], v[26:27], v[47:48], v[28:29]
	;; [unrolled: 1-line block ×3, first 2 shown]
	v_fma_f64 v[59:60], -v[24:25], v[47:48], v[26:27]
	v_fma_f64 v[24:25], v[24:25], v[45:46], v[65:66]
	v_fma_f64 v[61:62], v[22:23], v[47:48], v[24:25]
	;; [unrolled: 1-line block ×3, first 2 shown]
	v_add_co_u32_e32 v67, vcc, s13, v11
	v_addc_co_u32_e32 v68, vcc, 0, v12, vcc
	v_fma_f64 v[63:64], -v[17:18], v[47:48], v[22:23]
	v_fma_f64 v[17:18], v[17:18], v[45:46], v[49:50]
	v_fma_f64 v[45:46], v[15:16], v[47:48], v[17:18]
	global_load_dwordx4 v[15:18], v[55:56], off offset:176
	global_load_dwordx4 v[22:25], v[55:56], off offset:160
	;; [unrolled: 1-line block ×4, first 2 shown]
	s_waitcnt vmcnt(0)
	v_fma_f64 v[19:20], v[32:33], v[41:42], v[19:20]
	v_fma_f64 v[47:48], v[30:31], v[41:42], v[51:52]
	;; [unrolled: 1-line block ×4, first 2 shown]
	v_fma_f64 v[47:48], -v[32:33], v[43:44], v[47:48]
	v_fma_f64 v[49:50], -v[28:29], v[43:44], v[30:31]
	v_fma_f64 v[28:29], v[28:29], v[41:42], v[57:58]
	v_fma_f64 v[51:52], v[26:27], v[43:44], v[28:29]
	;; [unrolled: 1-line block ×3, first 2 shown]
	v_fma_f64 v[53:54], -v[24:25], v[43:44], v[26:27]
	v_fma_f64 v[24:25], v[24:25], v[41:42], v[61:62]
	v_fma_f64 v[57:58], v[22:23], v[43:44], v[24:25]
	;; [unrolled: 1-line block ×3, first 2 shown]
	v_fma_f64 v[59:60], -v[17:18], v[43:44], v[22:23]
	v_fma_f64 v[17:18], v[17:18], v[41:42], v[45:46]
	v_fma_f64 v[41:42], v[15:16], v[43:44], v[17:18]
	global_load_dwordx4 v[15:18], v[55:56], off offset:240
	global_load_dwordx4 v[22:25], v[55:56], off offset:224
	global_load_dwordx4 v[26:29], v[55:56], off offset:208
	global_load_dwordx4 v[30:33], v[55:56], off offset:192
	global_load_dword v10, v[13:14], off offset:256
	s_waitcnt vmcnt(1)
	v_fma_f64 v[19:20], v[32:33], v[37:38], v[19:20]
	v_fma_f64 v[43:44], v[30:31], v[37:38], v[47:48]
	s_waitcnt vmcnt(0)
	v_subrev_u32_e32 v10, s16, v10
	v_fma_f64 v[19:20], v[30:31], v[39:40], v[19:20]
	v_fma_f64 v[30:31], v[26:27], v[37:38], v[49:50]
	v_fma_f64 v[55:56], -v[32:33], v[39:40], v[43:44]
	v_fma_f64 v[61:62], -v[28:29], v[39:40], v[30:31]
	v_fma_f64 v[28:29], v[28:29], v[37:38], v[51:52]
	v_fma_f64 v[63:64], v[26:27], v[39:40], v[28:29]
	;; [unrolled: 1-line block ×3, first 2 shown]
	v_fma_f64 v[53:54], -v[24:25], v[39:40], v[26:27]
	v_fma_f64 v[24:25], v[24:25], v[37:38], v[57:58]
	v_fma_f64 v[57:58], v[22:23], v[39:40], v[24:25]
	;; [unrolled: 1-line block ×3, first 2 shown]
	v_fma_f64 v[59:60], -v[17:18], v[39:40], v[22:23]
	v_fma_f64 v[17:18], v[17:18], v[37:38], v[41:42]
	v_lshlrev_b32_e32 v37, 2, v10
	v_ashrrev_i32_e32 v38, 31, v37
	v_lshlrev_b64 v[37:38], 4, v[37:38]
	v_add_co_u32_e32 v69, vcc, s6, v37
	v_addc_co_u32_e32 v70, vcc, v35, v38, vcc
	v_fma_f64 v[65:66], v[15:16], v[39:40], v[17:18]
	global_load_dwordx4 v[15:18], v[67:68], off
	global_load_dwordx4 v[22:25], v[67:68], off offset:48
	global_load_dwordx4 v[26:29], v[67:68], off offset:32
	;; [unrolled: 1-line block ×6, first 2 shown]
	global_load_dwordx4 v[49:52], v[69:70], off
	s_waitcnt vmcnt(0)
	v_fma_f64 v[55:56], v[15:16], v[49:50], v[55:56]
	v_fma_f64 v[55:56], -v[17:18], v[51:52], v[55:56]
	v_fma_f64 v[17:18], v[17:18], v[49:50], v[19:20]
	v_fma_f64 v[19:20], v[15:16], v[51:52], v[17:18]
	v_fma_f64 v[15:16], v[30:31], v[49:50], v[61:62]
	v_fma_f64 v[61:62], -v[32:33], v[51:52], v[15:16]
	v_fma_f64 v[15:16], v[32:33], v[49:50], v[63:64]
	v_fma_f64 v[63:64], v[30:31], v[51:52], v[15:16]
	;; [unrolled: 4-line block ×4, first 2 shown]
	global_load_dwordx4 v[15:18], v[67:68], off offset:112
	global_load_dwordx4 v[22:25], v[67:68], off offset:96
	;; [unrolled: 1-line block ×4, first 2 shown]
	s_waitcnt vmcnt(0)
	v_fma_f64 v[19:20], v[32:33], v[45:46], v[19:20]
	v_fma_f64 v[51:52], v[30:31], v[45:46], v[55:56]
	;; [unrolled: 1-line block ×4, first 2 shown]
	v_fma_f64 v[51:52], -v[32:33], v[47:48], v[51:52]
	v_fma_f64 v[55:56], -v[28:29], v[47:48], v[30:31]
	v_fma_f64 v[28:29], v[28:29], v[45:46], v[63:64]
	v_fma_f64 v[61:62], v[26:27], v[47:48], v[28:29]
	v_fma_f64 v[26:27], v[22:23], v[45:46], v[53:54]
	v_fma_f64 v[53:54], -v[24:25], v[47:48], v[26:27]
	v_fma_f64 v[24:25], v[24:25], v[45:46], v[57:58]
	v_fma_f64 v[57:58], v[22:23], v[47:48], v[24:25]
	;; [unrolled: 1-line block ×3, first 2 shown]
	v_fma_f64 v[59:60], -v[17:18], v[47:48], v[22:23]
	v_fma_f64 v[17:18], v[17:18], v[45:46], v[49:50]
	v_fma_f64 v[45:46], v[15:16], v[47:48], v[17:18]
	global_load_dwordx4 v[15:18], v[67:68], off offset:176
	global_load_dwordx4 v[22:25], v[67:68], off offset:160
	global_load_dwordx4 v[26:29], v[67:68], off offset:144
	global_load_dwordx4 v[30:33], v[67:68], off offset:128
	s_waitcnt vmcnt(0)
	v_fma_f64 v[19:20], v[32:33], v[41:42], v[19:20]
	v_fma_f64 v[47:48], v[30:31], v[41:42], v[51:52]
	;; [unrolled: 1-line block ×4, first 2 shown]
	v_fma_f64 v[47:48], -v[32:33], v[43:44], v[47:48]
	v_fma_f64 v[51:52], -v[28:29], v[43:44], v[19:20]
	v_fma_f64 v[19:20], v[28:29], v[41:42], v[61:62]
	v_fma_f64 v[55:56], v[26:27], v[43:44], v[19:20]
	;; [unrolled: 1-line block ×3, first 2 shown]
	v_fma_f64 v[53:54], -v[24:25], v[43:44], v[19:20]
	v_fma_f64 v[19:20], v[24:25], v[41:42], v[57:58]
	v_fma_f64 v[57:58], v[22:23], v[43:44], v[19:20]
	;; [unrolled: 1-line block ×3, first 2 shown]
	v_fma_f64 v[59:60], -v[17:18], v[43:44], v[19:20]
	v_fma_f64 v[17:18], v[17:18], v[41:42], v[45:46]
	v_fma_f64 v[41:42], v[15:16], v[43:44], v[17:18]
	global_load_dwordx4 v[30:33], v[67:68], off offset:240
	global_load_dwordx4 v[26:29], v[67:68], off offset:224
	;; [unrolled: 1-line block ×4, first 2 shown]
	global_load_dword v10, v[13:14], off offset:384
	v_add_co_u32_e32 v13, vcc, s14, v11
	v_addc_co_u32_e32 v14, vcc, 0, v12, vcc
	s_waitcnt vmcnt(1)
	v_fma_f64 v[15:16], v[17:18], v[37:38], v[47:48]
	s_waitcnt vmcnt(0)
	v_subrev_u32_e32 v10, s16, v10
	v_fma_f64 v[15:16], -v[19:20], v[39:40], v[15:16]
	v_fma_f64 v[19:20], v[19:20], v[37:38], v[49:50]
	v_fma_f64 v[17:18], v[17:18], v[39:40], v[19:20]
	v_fma_f64 v[19:20], v[22:23], v[37:38], v[51:52]
	v_fma_f64 v[19:20], -v[24:25], v[39:40], v[19:20]
	v_fma_f64 v[24:25], v[24:25], v[37:38], v[55:56]
	v_fma_f64 v[22:23], v[22:23], v[39:40], v[24:25]
	v_fma_f64 v[24:25], v[26:27], v[37:38], v[53:54]
	;; [unrolled: 4-line block ×3, first 2 shown]
	v_fma_f64 v[28:29], -v[32:33], v[39:40], v[28:29]
	v_fma_f64 v[32:33], v[32:33], v[37:38], v[41:42]
	v_fma_f64 v[30:31], v[30:31], v[39:40], v[32:33]
	v_lshlrev_b32_e32 v32, 2, v10
	v_ashrrev_i32_e32 v33, 31, v32
	v_lshlrev_b64 v[32:33], 4, v[32:33]
	global_load_dwordx4 v[37:40], v[13:14], off
	global_load_dwordx4 v[41:44], v[13:14], off offset:48
	global_load_dwordx4 v[45:48], v[13:14], off offset:32
	;; [unrolled: 1-line block ×3, first 2 shown]
	v_add_co_u32_e32 v32, vcc, s6, v32
	v_addc_co_u32_e32 v33, vcc, v35, v33, vcc
	global_load_dwordx4 v[53:56], v[32:33], off offset:48
	global_load_dwordx4 v[57:60], v[32:33], off offset:32
	;; [unrolled: 1-line block ×3, first 2 shown]
	global_load_dwordx4 v[65:68], v[32:33], off
	v_add_co_u32_e32 v11, vcc, 0x8000, v11
	v_addc_co_u32_e32 v12, vcc, 0, v12, vcc
	s_waitcnt vmcnt(0)
	v_fma_f64 v[15:16], v[37:38], v[65:66], v[15:16]
	v_fma_f64 v[69:70], -v[39:40], v[67:68], v[15:16]
	v_fma_f64 v[15:16], v[39:40], v[65:66], v[17:18]
	v_fma_f64 v[37:38], v[37:38], v[67:68], v[15:16]
	v_fma_f64 v[15:16], v[49:50], v[65:66], v[19:20]
	v_fma_f64 v[19:20], -v[51:52], v[67:68], v[15:16]
	v_fma_f64 v[15:16], v[51:52], v[65:66], v[22:23]
	v_fma_f64 v[39:40], v[49:50], v[67:68], v[15:16]
	;; [unrolled: 4-line block ×4, first 2 shown]
	global_load_dwordx4 v[15:18], v[13:14], off offset:112
	global_load_dwordx4 v[22:25], v[13:14], off offset:96
	global_load_dwordx4 v[26:29], v[13:14], off offset:80
	global_load_dwordx4 v[30:33], v[13:14], off offset:64
	s_waitcnt vmcnt(1)
	v_fma_f64 v[19:20], v[26:27], v[61:62], v[19:20]
	s_waitcnt vmcnt(0)
	v_fma_f64 v[43:44], v[30:31], v[61:62], v[69:70]
	v_fma_f64 v[19:20], -v[28:29], v[63:64], v[19:20]
	v_fma_f64 v[28:29], v[28:29], v[61:62], v[39:40]
	v_fma_f64 v[43:44], -v[32:33], v[63:64], v[43:44]
	v_fma_f64 v[32:33], v[32:33], v[61:62], v[37:38]
	v_fma_f64 v[39:40], v[26:27], v[63:64], v[28:29]
	v_fma_f64 v[26:27], v[22:23], v[61:62], v[49:50]
	v_fma_f64 v[37:38], v[30:31], v[63:64], v[32:33]
	v_fma_f64 v[49:50], -v[24:25], v[63:64], v[26:27]
	v_fma_f64 v[24:25], v[24:25], v[61:62], v[45:46]
	v_fma_f64 v[45:46], v[22:23], v[63:64], v[24:25]
	;; [unrolled: 1-line block ×3, first 2 shown]
	v_fma_f64 v[47:48], -v[17:18], v[63:64], v[22:23]
	v_fma_f64 v[17:18], v[17:18], v[61:62], v[41:42]
	v_fma_f64 v[41:42], v[15:16], v[63:64], v[17:18]
	global_load_dwordx4 v[15:18], v[13:14], off offset:176
	global_load_dwordx4 v[22:25], v[13:14], off offset:160
	;; [unrolled: 1-line block ×4, first 2 shown]
	s_waitcnt vmcnt(1)
	v_fma_f64 v[19:20], v[26:27], v[57:58], v[19:20]
	s_waitcnt vmcnt(0)
	v_fma_f64 v[43:44], v[30:31], v[57:58], v[43:44]
	v_fma_f64 v[61:62], -v[28:29], v[59:60], v[19:20]
	v_fma_f64 v[19:20], v[28:29], v[57:58], v[39:40]
	v_fma_f64 v[43:44], -v[32:33], v[59:60], v[43:44]
	v_fma_f64 v[32:33], v[32:33], v[57:58], v[37:38]
	v_fma_f64 v[26:27], v[26:27], v[59:60], v[19:20]
	v_fma_f64 v[19:20], v[22:23], v[57:58], v[49:50]
	v_fma_f64 v[51:52], v[30:31], v[59:60], v[32:33]
	v_fma_f64 v[49:50], -v[24:25], v[59:60], v[19:20]
	v_fma_f64 v[19:20], v[24:25], v[57:58], v[45:46]
	v_fma_f64 v[45:46], v[22:23], v[59:60], v[19:20]
	;; [unrolled: 1-line block ×3, first 2 shown]
	v_fma_f64 v[47:48], -v[17:18], v[59:60], v[19:20]
	v_fma_f64 v[17:18], v[17:18], v[57:58], v[41:42]
	v_fma_f64 v[41:42], v[15:16], v[59:60], v[17:18]
	global_load_dwordx4 v[37:40], v[13:14], off offset:240
	global_load_dwordx4 v[30:33], v[13:14], off offset:224
	;; [unrolled: 1-line block ×4, first 2 shown]
	s_waitcnt vmcnt(0)
	v_fma_f64 v[13:14], v[22:23], v[53:54], v[43:44]
	v_fma_f64 v[28:29], -v[24:25], v[55:56], v[13:14]
	v_fma_f64 v[13:14], v[24:25], v[53:54], v[51:52]
	v_fma_f64 v[19:20], v[22:23], v[55:56], v[13:14]
	v_fma_f64 v[13:14], v[15:16], v[53:54], v[61:62]
	v_fma_f64 v[24:25], -v[17:18], v[55:56], v[13:14]
	v_fma_f64 v[13:14], v[17:18], v[53:54], v[26:27]
	v_fma_f64 v[17:18], v[15:16], v[55:56], v[13:14]
	;; [unrolled: 4-line block ×4, first 2 shown]
	s_andn2_b64 exec, exec, s[10:11]
	s_cbranch_execnz .LBB18_31
; %bb.32:
	s_or_b64 exec, exec, s[10:11]
.LBB18_33:
	s_or_b64 exec, exec, s[8:9]
.LBB18_34:
	s_or_b64 exec, exec, s[2:3]
.LBB18_35:
	v_mov_b32_dpp v9, v28 row_shr:1 row_mask:0xf bank_mask:0xf
	v_mov_b32_dpp v10, v29 row_shr:1 row_mask:0xf bank_mask:0xf
	v_add_f64 v[9:10], v[28:29], v[9:10]
	v_mov_b32_dpp v11, v19 row_shr:1 row_mask:0xf bank_mask:0xf
	v_mov_b32_dpp v12, v20 row_shr:1 row_mask:0xf bank_mask:0xf
	v_add_f64 v[11:12], v[19:20], v[11:12]
	v_mov_b32_dpp v13, v24 row_shr:1 row_mask:0xf bank_mask:0xf
	v_mov_b32_dpp v16, v18 row_shr:1 row_mask:0xf bank_mask:0xf
	v_cmp_eq_u32_e32 vcc, 31, v0
	v_mov_b32_dpp v14, v9 row_shr:2 row_mask:0xf bank_mask:0xf
	v_mov_b32_dpp v15, v10 row_shr:2 row_mask:0xf bank_mask:0xf
	v_add_f64 v[9:10], v[9:10], v[14:15]
	v_mov_b32_dpp v14, v25 row_shr:1 row_mask:0xf bank_mask:0xf
	v_mov_b32_dpp v19, v11 row_shr:2 row_mask:0xf bank_mask:0xf
	;; [unrolled: 1-line block ×4, first 2 shown]
	v_add_f64 v[13:14], v[24:25], v[13:14]
	v_add_f64 v[11:12], v[11:12], v[19:20]
	v_add_f64 v[15:16], v[17:18], v[15:16]
	v_mov_b32_dpp v19, v9 row_shr:4 row_mask:0xf bank_mask:0xe
	v_mov_b32_dpp v20, v10 row_shr:4 row_mask:0xf bank_mask:0xe
	v_add_f64 v[9:10], v[9:10], v[19:20]
	v_mov_b32_dpp v17, v13 row_shr:2 row_mask:0xf bank_mask:0xf
	v_mov_b32_dpp v18, v14 row_shr:2 row_mask:0xf bank_mask:0xf
	;; [unrolled: 1-line block ×4, first 2 shown]
	v_add_f64 v[11:12], v[11:12], v[19:20]
	v_add_f64 v[13:14], v[13:14], v[17:18]
	v_mov_b32_dpp v18, v15 row_shr:2 row_mask:0xf bank_mask:0xf
	v_mov_b32_dpp v19, v16 row_shr:2 row_mask:0xf bank_mask:0xf
	v_add_f64 v[15:16], v[15:16], v[18:19]
	v_mov_b32_dpp v17, v9 row_shr:8 row_mask:0xf bank_mask:0xc
	v_mov_b32_dpp v18, v10 row_shr:8 row_mask:0xf bank_mask:0xc
	;; [unrolled: 3-line block ×3, first 2 shown]
	v_mov_b32_dpp v20, v14 row_shr:4 row_mask:0xf bank_mask:0xe
	v_add_f64 v[13:14], v[13:14], v[19:20]
	v_mov_b32_dpp v19, v15 row_shr:4 row_mask:0xf bank_mask:0xe
	v_mov_b32_dpp v20, v16 row_shr:4 row_mask:0xf bank_mask:0xe
	v_add_f64 v[15:16], v[15:16], v[19:20]
	v_mov_b32_dpp v19, v26 row_shr:1 row_mask:0xf bank_mask:0xf
	v_mov_b32_dpp v20, v27 row_shr:1 row_mask:0xf bank_mask:0xf
	v_add_f64 v[19:20], v[26:27], v[19:20]
	v_mov_b32_dpp v18, v12 row_shr:8 row_mask:0xf bank_mask:0xc
	v_add_f64 v[11:12], v[11:12], v[17:18]
	v_mov_b32_dpp v17, v13 row_shr:8 row_mask:0xf bank_mask:0xc
	v_mov_b32_dpp v18, v14 row_shr:8 row_mask:0xf bank_mask:0xc
	v_add_f64 v[13:14], v[13:14], v[17:18]
	v_mov_b32_dpp v17, v15 row_shr:8 row_mask:0xf bank_mask:0xc
	v_mov_b32_dpp v18, v16 row_shr:8 row_mask:0xf bank_mask:0xc
	;; [unrolled: 3-line block ×3, first 2 shown]
	v_add_f64 v[28:29], v[19:20], v[17:18]
	v_mov_b32_dpp v26, v9 row_bcast:15 row_mask:0xa bank_mask:0xf
	v_mov_b32_dpp v27, v10 row_bcast:15 row_mask:0xa bank_mask:0xf
	;; [unrolled: 1-line block ×7, first 2 shown]
	v_mov_b32_dpp v34, v28 row_shr:4 row_mask:0xf bank_mask:0xe
	v_mov_b32_dpp v35, v29 row_shr:4 row_mask:0xf bank_mask:0xe
	v_add_f64 v[28:29], v[28:29], v[34:35]
	v_mov_b32_dpp v34, v22 row_shr:1 row_mask:0xf bank_mask:0xf
	v_mov_b32_dpp v35, v23 row_shr:1 row_mask:0xf bank_mask:0xf
	v_add_f64 v[22:23], v[22:23], v[34:35]
	;; [unrolled: 3-line block ×4, first 2 shown]
	v_mov_b32_dpp v34, v28 row_shr:8 row_mask:0xf bank_mask:0xc
	v_mov_b32_dpp v35, v22 row_shr:2 row_mask:0xf bank_mask:0xf
	;; [unrolled: 1-line block ×3, first 2 shown]
	v_add_f64 v[22:23], v[22:23], v[35:36]
	v_mov_b32_dpp v35, v30 row_shr:2 row_mask:0xf bank_mask:0xf
	v_mov_b32_dpp v36, v31 row_shr:2 row_mask:0xf bank_mask:0xf
	v_add_f64 v[30:31], v[30:31], v[35:36]
	v_mov_b32_dpp v35, v32 row_shr:2 row_mask:0xf bank_mask:0xf
	v_mov_b32_dpp v36, v33 row_shr:2 row_mask:0xf bank_mask:0xf
	;; [unrolled: 3-line block ×3, first 2 shown]
	v_mov_b32_dpp v37, v23 row_shr:4 row_mask:0xf bank_mask:0xe
	v_add_f64 v[36:37], v[22:23], v[36:37]
	v_mov_b32_dpp v22, v30 row_shr:4 row_mask:0xf bank_mask:0xe
	v_mov_b32_dpp v23, v31 row_shr:4 row_mask:0xf bank_mask:0xe
	v_add_f64 v[30:31], v[30:31], v[22:23]
	v_mov_b32_dpp v22, v32 row_shr:4 row_mask:0xf bank_mask:0xe
	v_mov_b32_dpp v23, v33 row_shr:4 row_mask:0xf bank_mask:0xe
	v_add_f64 v[32:33], v[32:33], v[22:23]
	v_add_f64 v[22:23], v[28:29], v[34:35]
	v_mov_b32_dpp v28, v36 row_shr:8 row_mask:0xf bank_mask:0xc
	v_mov_b32_dpp v29, v37 row_shr:8 row_mask:0xf bank_mask:0xc
	v_add_f64 v[28:29], v[36:37], v[28:29]
	v_mov_b32_dpp v34, v30 row_shr:8 row_mask:0xf bank_mask:0xc
	v_mov_b32_dpp v35, v31 row_shr:8 row_mask:0xf bank_mask:0xc
	v_add_f64 v[30:31], v[30:31], v[34:35]
	v_mov_b32_dpp v34, v32 row_shr:8 row_mask:0xf bank_mask:0xc
	v_mov_b32_dpp v35, v33 row_shr:8 row_mask:0xf bank_mask:0xc
	v_add_f64 v[32:33], v[32:33], v[34:35]
	v_mov_b32_dpp v18, v16 row_bcast:15 row_mask:0xa bank_mask:0xf
	v_mov_b32_dpp v40, v22 row_bcast:15 row_mask:0xa bank_mask:0xf
	;; [unrolled: 1-line block ×9, first 2 shown]
	s_and_b64 exec, exec, vcc
	s_cbranch_execz .LBB18_8
; %bb.36:
	v_add_f64 v[11:12], v[11:12], v[24:25]
	v_add_f64 v[24:25], v[13:14], v[19:20]
	v_add_f64 v[13:14], v[15:16], v[17:18]
	v_add_f64 v[15:16], v[28:29], v[38:39]
	v_add_f64 v[17:18], v[32:33], v[34:35]
	v_add_f64 v[9:10], v[9:10], v[26:27]
	v_add_f64 v[22:23], v[22:23], v[40:41]
	v_add_f64 v[26:27], v[30:31], v[36:37]
	v_mul_f64 v[19:20], v[11:12], -v[7:8]
	v_mul_f64 v[11:12], v[5:6], v[11:12]
	v_mul_f64 v[28:29], v[13:14], -v[7:8]
	v_mul_f64 v[30:31], v[5:6], v[13:14]
	;; [unrolled: 2-line block ×4, first 2 shown]
	v_cmp_eq_f64_e32 vcc, 0, v[1:2]
	v_cmp_eq_f64_e64 s[0:1], 0, v[3:4]
	v_fma_f64 v[17:18], v[5:6], v[9:10], v[19:20]
	v_fma_f64 v[19:20], v[7:8], v[9:10], v[11:12]
	;; [unrolled: 1-line block ×8, first 2 shown]
	s_load_dwordx2 s[2:3], s[4:5], 0x60
	s_and_b64 s[0:1], vcc, s[0:1]
	v_lshlrev_b32_e32 v21, 2, v21
	s_and_saveexec_b64 s[4:5], s[0:1]
	s_xor_b64 s[0:1], exec, s[4:5]
	s_cbranch_execz .LBB18_38
; %bb.37:
	v_ashrrev_i32_e32 v22, 31, v21
	v_lshlrev_b64 v[0:1], 4, v[21:22]
	s_waitcnt lgkmcnt(0)
	v_mov_b32_e32 v2, s3
	v_add_co_u32_e32 v0, vcc, s2, v0
	v_addc_co_u32_e32 v1, vcc, v2, v1, vcc
	global_store_dwordx4 v[0:1], v[17:20], off
	global_store_dwordx4 v[0:1], v[13:16], off offset:16
	global_store_dwordx4 v[0:1], v[9:12], off offset:32
	global_store_dwordx4 v[0:1], v[5:8], off offset:48
                                        ; implicit-def: $vgpr3_vgpr4
                                        ; implicit-def: $vgpr17_vgpr18
                                        ; implicit-def: $vgpr21
                                        ; implicit-def: $vgpr13_vgpr14
                                        ; implicit-def: $vgpr9_vgpr10
                                        ; implicit-def: $vgpr5_vgpr6
.LBB18_38:
	s_andn2_saveexec_b64 s[0:1], s[0:1]
	s_cbranch_execz .LBB18_8
; %bb.39:
	v_ashrrev_i32_e32 v22, 31, v21
	v_lshlrev_b64 v[21:22], 4, v[21:22]
	s_waitcnt lgkmcnt(0)
	v_mov_b32_e32 v0, s3
	v_add_co_u32_e32 v37, vcc, s2, v21
	v_addc_co_u32_e32 v38, vcc, v0, v22, vcc
	global_load_dwordx4 v[21:24], v[37:38], off
	global_load_dwordx4 v[25:28], v[37:38], off offset:16
	global_load_dwordx4 v[29:32], v[37:38], off offset:32
	;; [unrolled: 1-line block ×3, first 2 shown]
	s_waitcnt vmcnt(3)
	v_fma_f64 v[17:18], v[1:2], v[21:22], v[17:18]
	v_fma_f64 v[19:20], v[3:4], v[21:22], v[19:20]
	s_waitcnt vmcnt(2)
	v_fma_f64 v[13:14], v[1:2], v[25:26], v[13:14]
	v_fma_f64 v[15:16], v[3:4], v[25:26], v[15:16]
	;; [unrolled: 3-line block ×4, first 2 shown]
	v_fma_f64 v[5:6], -v[3:4], v[23:24], v[17:18]
	v_fma_f64 v[7:8], v[1:2], v[23:24], v[19:20]
	v_fma_f64 v[9:10], -v[3:4], v[27:28], v[13:14]
	v_fma_f64 v[11:12], v[1:2], v[27:28], v[15:16]
	;; [unrolled: 2-line block ×4, first 2 shown]
	global_store_dwordx4 v[37:38], v[5:8], off
	global_store_dwordx4 v[37:38], v[9:12], off offset:16
	global_store_dwordx4 v[37:38], v[13:16], off offset:32
	;; [unrolled: 1-line block ×3, first 2 shown]
	s_endpgm
	.section	.rodata,"a",@progbits
	.p2align	6, 0x0
	.amdhsa_kernel _ZN9rocsparseL18bsrxmvn_4x4_kernelILj128ELj32E21rocsparse_complex_numIdEiiS2_S2_S2_EEvT3_20rocsparse_direction_NS_24const_host_device_scalarIT1_EES3_PKS3_PKT2_SC_S9_PKT4_PKT5_S7_PT6_21rocsparse_index_base_b
		.amdhsa_group_segment_fixed_size 0
		.amdhsa_private_segment_fixed_size 0
		.amdhsa_kernarg_size 112
		.amdhsa_user_sgpr_count 6
		.amdhsa_user_sgpr_private_segment_buffer 1
		.amdhsa_user_sgpr_dispatch_ptr 0
		.amdhsa_user_sgpr_queue_ptr 0
		.amdhsa_user_sgpr_kernarg_segment_ptr 1
		.amdhsa_user_sgpr_dispatch_id 0
		.amdhsa_user_sgpr_flat_scratch_init 0
		.amdhsa_user_sgpr_private_segment_size 0
		.amdhsa_uses_dynamic_stack 0
		.amdhsa_system_sgpr_private_segment_wavefront_offset 0
		.amdhsa_system_sgpr_workgroup_id_x 1
		.amdhsa_system_sgpr_workgroup_id_y 0
		.amdhsa_system_sgpr_workgroup_id_z 0
		.amdhsa_system_sgpr_workgroup_info 0
		.amdhsa_system_vgpr_workitem_id 0
		.amdhsa_next_free_vgpr 83
		.amdhsa_next_free_sgpr 20
		.amdhsa_reserve_vcc 1
		.amdhsa_reserve_flat_scratch 0
		.amdhsa_float_round_mode_32 0
		.amdhsa_float_round_mode_16_64 0
		.amdhsa_float_denorm_mode_32 3
		.amdhsa_float_denorm_mode_16_64 3
		.amdhsa_dx10_clamp 1
		.amdhsa_ieee_mode 1
		.amdhsa_fp16_overflow 0
		.amdhsa_exception_fp_ieee_invalid_op 0
		.amdhsa_exception_fp_denorm_src 0
		.amdhsa_exception_fp_ieee_div_zero 0
		.amdhsa_exception_fp_ieee_overflow 0
		.amdhsa_exception_fp_ieee_underflow 0
		.amdhsa_exception_fp_ieee_inexact 0
		.amdhsa_exception_int_div_zero 0
	.end_amdhsa_kernel
	.section	.text._ZN9rocsparseL18bsrxmvn_4x4_kernelILj128ELj32E21rocsparse_complex_numIdEiiS2_S2_S2_EEvT3_20rocsparse_direction_NS_24const_host_device_scalarIT1_EES3_PKS3_PKT2_SC_S9_PKT4_PKT5_S7_PT6_21rocsparse_index_base_b,"axG",@progbits,_ZN9rocsparseL18bsrxmvn_4x4_kernelILj128ELj32E21rocsparse_complex_numIdEiiS2_S2_S2_EEvT3_20rocsparse_direction_NS_24const_host_device_scalarIT1_EES3_PKS3_PKT2_SC_S9_PKT4_PKT5_S7_PT6_21rocsparse_index_base_b,comdat
.Lfunc_end18:
	.size	_ZN9rocsparseL18bsrxmvn_4x4_kernelILj128ELj32E21rocsparse_complex_numIdEiiS2_S2_S2_EEvT3_20rocsparse_direction_NS_24const_host_device_scalarIT1_EES3_PKS3_PKT2_SC_S9_PKT4_PKT5_S7_PT6_21rocsparse_index_base_b, .Lfunc_end18-_ZN9rocsparseL18bsrxmvn_4x4_kernelILj128ELj32E21rocsparse_complex_numIdEiiS2_S2_S2_EEvT3_20rocsparse_direction_NS_24const_host_device_scalarIT1_EES3_PKS3_PKT2_SC_S9_PKT4_PKT5_S7_PT6_21rocsparse_index_base_b
                                        ; -- End function
	.set _ZN9rocsparseL18bsrxmvn_4x4_kernelILj128ELj32E21rocsparse_complex_numIdEiiS2_S2_S2_EEvT3_20rocsparse_direction_NS_24const_host_device_scalarIT1_EES3_PKS3_PKT2_SC_S9_PKT4_PKT5_S7_PT6_21rocsparse_index_base_b.num_vgpr, 83
	.set _ZN9rocsparseL18bsrxmvn_4x4_kernelILj128ELj32E21rocsparse_complex_numIdEiiS2_S2_S2_EEvT3_20rocsparse_direction_NS_24const_host_device_scalarIT1_EES3_PKS3_PKT2_SC_S9_PKT4_PKT5_S7_PT6_21rocsparse_index_base_b.num_agpr, 0
	.set _ZN9rocsparseL18bsrxmvn_4x4_kernelILj128ELj32E21rocsparse_complex_numIdEiiS2_S2_S2_EEvT3_20rocsparse_direction_NS_24const_host_device_scalarIT1_EES3_PKS3_PKT2_SC_S9_PKT4_PKT5_S7_PT6_21rocsparse_index_base_b.numbered_sgpr, 20
	.set _ZN9rocsparseL18bsrxmvn_4x4_kernelILj128ELj32E21rocsparse_complex_numIdEiiS2_S2_S2_EEvT3_20rocsparse_direction_NS_24const_host_device_scalarIT1_EES3_PKS3_PKT2_SC_S9_PKT4_PKT5_S7_PT6_21rocsparse_index_base_b.num_named_barrier, 0
	.set _ZN9rocsparseL18bsrxmvn_4x4_kernelILj128ELj32E21rocsparse_complex_numIdEiiS2_S2_S2_EEvT3_20rocsparse_direction_NS_24const_host_device_scalarIT1_EES3_PKS3_PKT2_SC_S9_PKT4_PKT5_S7_PT6_21rocsparse_index_base_b.private_seg_size, 0
	.set _ZN9rocsparseL18bsrxmvn_4x4_kernelILj128ELj32E21rocsparse_complex_numIdEiiS2_S2_S2_EEvT3_20rocsparse_direction_NS_24const_host_device_scalarIT1_EES3_PKS3_PKT2_SC_S9_PKT4_PKT5_S7_PT6_21rocsparse_index_base_b.uses_vcc, 1
	.set _ZN9rocsparseL18bsrxmvn_4x4_kernelILj128ELj32E21rocsparse_complex_numIdEiiS2_S2_S2_EEvT3_20rocsparse_direction_NS_24const_host_device_scalarIT1_EES3_PKS3_PKT2_SC_S9_PKT4_PKT5_S7_PT6_21rocsparse_index_base_b.uses_flat_scratch, 0
	.set _ZN9rocsparseL18bsrxmvn_4x4_kernelILj128ELj32E21rocsparse_complex_numIdEiiS2_S2_S2_EEvT3_20rocsparse_direction_NS_24const_host_device_scalarIT1_EES3_PKS3_PKT2_SC_S9_PKT4_PKT5_S7_PT6_21rocsparse_index_base_b.has_dyn_sized_stack, 0
	.set _ZN9rocsparseL18bsrxmvn_4x4_kernelILj128ELj32E21rocsparse_complex_numIdEiiS2_S2_S2_EEvT3_20rocsparse_direction_NS_24const_host_device_scalarIT1_EES3_PKS3_PKT2_SC_S9_PKT4_PKT5_S7_PT6_21rocsparse_index_base_b.has_recursion, 0
	.set _ZN9rocsparseL18bsrxmvn_4x4_kernelILj128ELj32E21rocsparse_complex_numIdEiiS2_S2_S2_EEvT3_20rocsparse_direction_NS_24const_host_device_scalarIT1_EES3_PKS3_PKT2_SC_S9_PKT4_PKT5_S7_PT6_21rocsparse_index_base_b.has_indirect_call, 0
	.section	.AMDGPU.csdata,"",@progbits
; Kernel info:
; codeLenInByte = 10280
; TotalNumSgprs: 24
; NumVgprs: 83
; ScratchSize: 0
; MemoryBound: 1
; FloatMode: 240
; IeeeMode: 1
; LDSByteSize: 0 bytes/workgroup (compile time only)
; SGPRBlocks: 2
; VGPRBlocks: 20
; NumSGPRsForWavesPerEU: 24
; NumVGPRsForWavesPerEU: 83
; Occupancy: 3
; WaveLimiterHint : 1
; COMPUTE_PGM_RSRC2:SCRATCH_EN: 0
; COMPUTE_PGM_RSRC2:USER_SGPR: 6
; COMPUTE_PGM_RSRC2:TRAP_HANDLER: 0
; COMPUTE_PGM_RSRC2:TGID_X_EN: 1
; COMPUTE_PGM_RSRC2:TGID_Y_EN: 0
; COMPUTE_PGM_RSRC2:TGID_Z_EN: 0
; COMPUTE_PGM_RSRC2:TIDIG_COMP_CNT: 0
	.section	.text._ZN9rocsparseL18bsrxmvn_4x4_kernelILj128ELj64E21rocsparse_complex_numIdEiiS2_S2_S2_EEvT3_20rocsparse_direction_NS_24const_host_device_scalarIT1_EES3_PKS3_PKT2_SC_S9_PKT4_PKT5_S7_PT6_21rocsparse_index_base_b,"axG",@progbits,_ZN9rocsparseL18bsrxmvn_4x4_kernelILj128ELj64E21rocsparse_complex_numIdEiiS2_S2_S2_EEvT3_20rocsparse_direction_NS_24const_host_device_scalarIT1_EES3_PKS3_PKT2_SC_S9_PKT4_PKT5_S7_PT6_21rocsparse_index_base_b,comdat
	.globl	_ZN9rocsparseL18bsrxmvn_4x4_kernelILj128ELj64E21rocsparse_complex_numIdEiiS2_S2_S2_EEvT3_20rocsparse_direction_NS_24const_host_device_scalarIT1_EES3_PKS3_PKT2_SC_S9_PKT4_PKT5_S7_PT6_21rocsparse_index_base_b ; -- Begin function _ZN9rocsparseL18bsrxmvn_4x4_kernelILj128ELj64E21rocsparse_complex_numIdEiiS2_S2_S2_EEvT3_20rocsparse_direction_NS_24const_host_device_scalarIT1_EES3_PKS3_PKT2_SC_S9_PKT4_PKT5_S7_PT6_21rocsparse_index_base_b
	.p2align	8
	.type	_ZN9rocsparseL18bsrxmvn_4x4_kernelILj128ELj64E21rocsparse_complex_numIdEiiS2_S2_S2_EEvT3_20rocsparse_direction_NS_24const_host_device_scalarIT1_EES3_PKS3_PKT2_SC_S9_PKT4_PKT5_S7_PT6_21rocsparse_index_base_b,@function
_ZN9rocsparseL18bsrxmvn_4x4_kernelILj128ELj64E21rocsparse_complex_numIdEiiS2_S2_S2_EEvT3_20rocsparse_direction_NS_24const_host_device_scalarIT1_EES3_PKS3_PKT2_SC_S9_PKT4_PKT5_S7_PT6_21rocsparse_index_base_b: ; @_ZN9rocsparseL18bsrxmvn_4x4_kernelILj128ELj64E21rocsparse_complex_numIdEiiS2_S2_S2_EEvT3_20rocsparse_direction_NS_24const_host_device_scalarIT1_EES3_PKS3_PKT2_SC_S9_PKT4_PKT5_S7_PT6_21rocsparse_index_base_b
; %bb.0:
	s_load_dwordx2 s[0:1], s[4:5], 0x8
	s_load_dwordx2 s[16:17], s[4:5], 0x68
	s_add_u32 s7, s4, 8
	s_addc_u32 s8, s5, 0
	s_add_u32 s9, s4, 0x50
	s_addc_u32 s10, s5, 0
	s_waitcnt lgkmcnt(0)
	s_bitcmp1_b32 s17, 0
	s_cselect_b32 s1, s8, s1
	s_cselect_b32 s0, s7, s0
	v_mov_b32_e32 v1, s0
	v_mov_b32_e32 v2, s1
	flat_load_dwordx4 v[5:8], v[1:2]
	s_load_dwordx2 s[2:3], s[4:5], 0x50
	s_waitcnt lgkmcnt(0)
	s_cselect_b32 s0, s10, s3
	s_cselect_b32 s1, s9, s2
	v_mov_b32_e32 v1, s1
	v_mov_b32_e32 v2, s0
	flat_load_dwordx4 v[1:4], v[1:2]
	s_waitcnt vmcnt(0)
	v_cmp_eq_f64_e32 vcc, 0, v[5:6]
	v_cmp_eq_f64_e64 s[0:1], 0, v[7:8]
	s_and_b64 s[8:9], vcc, s[0:1]
	s_mov_b64 s[0:1], -1
	s_and_saveexec_b64 s[2:3], s[8:9]
	s_cbranch_execz .LBB19_2
; %bb.1:
	s_waitcnt lgkmcnt(0)
	v_cmp_neq_f64_e32 vcc, 1.0, v[1:2]
	v_cmp_neq_f64_e64 s[0:1], 0, v[3:4]
	s_or_b64 s[0:1], vcc, s[0:1]
	s_orn2_b64 s[0:1], s[0:1], exec
.LBB19_2:
	s_or_b64 exec, exec, s[2:3]
	s_and_saveexec_b64 s[2:3], s[0:1]
	s_cbranch_execz .LBB19_8
; %bb.3:
	s_load_dwordx2 s[8:9], s[4:5], 0x20
	s_load_dwordx2 s[0:1], s[4:5], 0x0
	v_lshrrev_b32_e32 v9, 6, v0
	v_lshl_or_b32 v21, s6, 1, v9
	s_mov_b64 s[2:3], 0
	s_waitcnt lgkmcnt(0)
	s_cmp_lg_u64 s[8:9], 0
	s_cbranch_scc0 .LBB19_9
; %bb.4:
	s_load_dword s6, s[4:5], 0x18
                                        ; implicit-def: $vgpr9
	s_waitcnt lgkmcnt(0)
	v_cmp_gt_i32_e32 vcc, s6, v21
	s_and_saveexec_b64 s[6:7], vcc
	s_xor_b64 s[6:7], exec, s[6:7]
	s_cbranch_execz .LBB19_6
; %bb.5:
	v_ashrrev_i32_e32 v22, 31, v21
	v_lshlrev_b64 v[9:10], 2, v[21:22]
	v_mov_b32_e32 v11, s9
	v_add_co_u32_e32 v9, vcc, s8, v9
	v_addc_co_u32_e32 v10, vcc, v11, v10, vcc
	global_load_dword v9, v[9:10], off
	s_mov_b64 s[2:3], exec
	s_waitcnt vmcnt(0)
	v_subrev_u32_e32 v9, s16, v9
.LBB19_6:
	s_or_b64 exec, exec, s[6:7]
	s_branch .LBB19_10
.LBB19_7:
	v_cmp_gt_i32_e32 vcc, s0, v21
	s_andn2_b64 s[2:3], s[2:3], exec
	s_and_b64 s[6:7], vcc, exec
	s_or_b64 s[2:3], s[2:3], s[6:7]
	s_and_b64 exec, exec, s[2:3]
	s_cbranch_execnz .LBB19_11
.LBB19_8:
	s_endpgm
.LBB19_9:
                                        ; implicit-def: $vgpr9
	s_cbranch_execnz .LBB19_7
.LBB19_10:
	v_mov_b32_e32 v21, v9
	s_and_b64 exec, exec, s[2:3]
	s_cbranch_execz .LBB19_8
.LBB19_11:
	s_load_dwordx8 s[8:15], s[4:5], 0x28
	v_ashrrev_i32_e32 v22, 31, v21
	v_lshlrev_b64 v[9:10], 2, v[21:22]
	v_and_b32_e32 v0, 63, v0
	s_load_dwordx2 s[6:7], s[4:5], 0x48
	s_waitcnt lgkmcnt(0)
	v_mov_b32_e32 v12, s9
	v_add_co_u32_e32 v11, vcc, s8, v9
	v_addc_co_u32_e32 v12, vcc, v12, v10, vcc
	global_load_dword v37, v[11:12], off
	v_add_co_u32_e32 v11, vcc, 4, v11
	v_addc_co_u32_e32 v12, vcc, 0, v12, vcc
	v_mov_b32_e32 v13, s11
	v_add_co_u32_e32 v9, vcc, s10, v9
	s_cmp_eq_u64 s[10:11], 0
	v_addc_co_u32_e32 v10, vcc, v13, v10, vcc
	s_cselect_b64 vcc, -1, 0
	v_cndmask_b32_e32 v10, v10, v12, vcc
	v_cndmask_b32_e32 v9, v9, v11, vcc
	global_load_dword v10, v[9:10], off
	v_mov_b32_e32 v13, s15
	s_cmp_eq_u32 s1, 1
	s_waitcnt vmcnt(1)
	v_subrev_u32_e32 v9, s16, v37
	v_add_u32_e32 v9, v9, v0
	s_waitcnt vmcnt(0)
	v_subrev_u32_e32 v36, s16, v10
	v_ashrrev_i32_e32 v10, 31, v9
	v_lshlrev_b64 v[11:12], 8, v[9:10]
	v_cmp_lt_i32_e64 s[0:1], v9, v36
	v_add_co_u32_e32 v11, vcc, s14, v11
	v_addc_co_u32_e32 v12, vcc, v13, v12, vcc
	s_cbranch_scc1 .LBB19_23
; %bb.12:
	v_mov_b32_e32 v22, 0
	v_mov_b32_e32 v28, 0
	;; [unrolled: 1-line block ×16, first 2 shown]
	s_and_saveexec_b64 s[8:9], s[0:1]
	s_cbranch_execz .LBB19_22
; %bb.13:
	v_add_u32_e32 v10, v37, v0
	v_subrev_u32_e32 v10, s16, v10
	v_add_u32_e32 v10, 64, v10
	v_max_i32_e32 v10, v10, v36
	v_not_b32_e32 v13, v37
	v_add3_u32 v10, s16, v10, v13
	v_sub_u32_e32 v10, v10, v0
	s_movk_i32 s2, 0xc0
	v_and_b32_e32 v13, 0xc0, v10
	v_mov_b32_e32 v19, 0
	v_mov_b32_e32 v24, 0
	;; [unrolled: 1-line block ×9, first 2 shown]
	v_cmp_ne_u32_e32 vcc, s2, v13
	v_mov_b32_e32 v20, 0
	v_mov_b32_e32 v25, 0
	;; [unrolled: 1-line block ×10, first 2 shown]
	s_and_saveexec_b64 s[10:11], vcc
	s_cbranch_execz .LBB19_17
; %bb.14:
	v_lshrrev_b32_e32 v13, 6, v10
	v_add_u32_e32 v13, 1, v13
	v_and_b32_e32 v13, 3, v13
	v_mov_b32_e32 v22, 0
	v_mov_b32_e32 v28, 0
	;; [unrolled: 1-line block ×9, first 2 shown]
	v_sub_u32_e32 v34, 0, v13
	v_mov_b32_e32 v23, 0
	s_mov_b64 s[14:15], 0
	v_mov_b32_e32 v35, s13
	v_mov_b32_e32 v38, s7
	;; [unrolled: 1-line block ×11, first 2 shown]
.LBB19_15:                              ; =>This Inner Loop Header: Depth=1
	v_ashrrev_i32_e32 v14, 31, v13
	v_lshlrev_b64 v[43:44], 2, v[13:14]
	global_load_dwordx4 v[39:42], v[15:16], off
	v_add_co_u32_e32 v43, vcc, s12, v43
	v_addc_co_u32_e32 v44, vcc, v35, v44, vcc
	global_load_dword v14, v[43:44], off
	v_add_co_u32_e64 v34, s[2:3], 1, v34
	s_or_b64 s[14:15], s[2:3], s[14:15]
	v_add_u32_e32 v13, 64, v13
	s_waitcnt vmcnt(0)
	v_subrev_u32_e32 v14, s16, v14
	v_lshlrev_b32_e32 v43, 2, v14
	v_ashrrev_i32_e32 v44, 31, v43
	v_lshlrev_b64 v[43:44], 4, v[43:44]
	v_add_co_u32_e32 v47, vcc, s6, v43
	v_addc_co_u32_e32 v48, vcc, v38, v44, vcc
	global_load_dwordx4 v[43:46], v[47:48], off
	s_waitcnt vmcnt(0)
	v_fma_f64 v[28:29], v[39:40], v[43:44], v[28:29]
	v_fma_f64 v[22:23], v[41:42], v[43:44], v[22:23]
	v_fma_f64 v[28:29], -v[41:42], v[45:46], v[28:29]
	v_fma_f64 v[49:50], v[39:40], v[45:46], v[22:23]
	global_load_dwordx4 v[39:42], v[15:16], off offset:64
	s_waitcnt vmcnt(0)
	v_fma_f64 v[22:23], v[39:40], v[43:44], v[24:25]
	v_fma_f64 v[19:20], v[41:42], v[43:44], v[19:20]
	v_fma_f64 v[41:42], -v[41:42], v[45:46], v[22:23]
	global_load_dwordx4 v[22:25], v[15:16], off offset:128
	v_fma_f64 v[39:40], v[39:40], v[45:46], v[19:20]
	s_waitcnt vmcnt(0)
	v_fma_f64 v[19:20], v[22:23], v[43:44], v[26:27]
	v_fma_f64 v[17:18], v[24:25], v[43:44], v[17:18]
	v_fma_f64 v[26:27], -v[24:25], v[45:46], v[19:20]
	v_fma_f64 v[51:52], v[22:23], v[45:46], v[17:18]
	global_load_dwordx4 v[17:20], v[15:16], off offset:192
	s_waitcnt vmcnt(0)
	v_fma_f64 v[22:23], v[17:18], v[43:44], v[30:31]
	v_fma_f64 v[24:25], v[19:20], v[43:44], v[32:33]
	v_fma_f64 v[30:31], -v[19:20], v[45:46], v[22:23]
	v_fma_f64 v[32:33], v[17:18], v[45:46], v[24:25]
	global_load_dwordx4 v[17:20], v[15:16], off offset:16
	global_load_dwordx4 v[22:25], v[47:48], off offset:16
	s_waitcnt vmcnt(0)
	v_fma_f64 v[28:29], v[17:18], v[22:23], v[28:29]
	v_fma_f64 v[43:44], v[19:20], v[22:23], v[49:50]
	v_fma_f64 v[28:29], -v[19:20], v[24:25], v[28:29]
	v_fma_f64 v[43:44], v[17:18], v[24:25], v[43:44]
	global_load_dwordx4 v[17:20], v[15:16], off offset:80
	s_waitcnt vmcnt(0)
	v_fma_f64 v[41:42], v[17:18], v[22:23], v[41:42]
	v_fma_f64 v[39:40], v[19:20], v[22:23], v[39:40]
	v_fma_f64 v[41:42], -v[19:20], v[24:25], v[41:42]
	v_fma_f64 v[39:40], v[17:18], v[24:25], v[39:40]
	;; [unrolled: 6-line block ×4, first 2 shown]
	global_load_dwordx4 v[17:20], v[15:16], off offset:32
	global_load_dwordx4 v[22:25], v[47:48], off offset:32
	s_waitcnt vmcnt(0)
	v_fma_f64 v[28:29], v[17:18], v[22:23], v[28:29]
	v_fma_f64 v[43:44], v[19:20], v[22:23], v[43:44]
	v_fma_f64 v[28:29], -v[19:20], v[24:25], v[28:29]
	v_fma_f64 v[43:44], v[17:18], v[24:25], v[43:44]
	global_load_dwordx4 v[17:20], v[15:16], off offset:96
	s_waitcnt vmcnt(0)
	v_fma_f64 v[41:42], v[17:18], v[22:23], v[41:42]
	v_fma_f64 v[39:40], v[19:20], v[22:23], v[39:40]
	v_fma_f64 v[49:50], -v[19:20], v[24:25], v[41:42]
	v_fma_f64 v[51:52], v[17:18], v[24:25], v[39:40]
	;; [unrolled: 6-line block ×4, first 2 shown]
	global_load_dwordx4 v[17:20], v[15:16], off offset:48
	global_load_dwordx4 v[30:33], v[15:16], off offset:112
	;; [unrolled: 1-line block ×3, first 2 shown]
	s_waitcnt vmcnt(0)
	v_fma_f64 v[22:23], v[17:18], v[39:40], v[28:29]
	v_fma_f64 v[24:25], v[19:20], v[39:40], v[43:44]
	global_load_dwordx4 v[43:46], v[15:16], off offset:176
	v_fma_f64 v[28:29], -v[19:20], v[41:42], v[22:23]
	v_fma_f64 v[22:23], v[17:18], v[41:42], v[24:25]
	v_fma_f64 v[17:18], v[30:31], v[39:40], v[49:50]
	global_load_dwordx4 v[47:50], v[15:16], off offset:240
	v_fma_f64 v[19:20], v[32:33], v[39:40], v[51:52]
	v_add_co_u32_e32 v15, vcc, 0x4000, v15
	v_addc_co_u32_e32 v16, vcc, 0, v16, vcc
	v_fma_f64 v[24:25], -v[32:33], v[41:42], v[17:18]
	v_fma_f64 v[19:20], v[30:31], v[41:42], v[19:20]
	s_waitcnt vmcnt(1)
	v_fma_f64 v[17:18], v[43:44], v[39:40], v[26:27]
	v_fma_f64 v[30:31], v[45:46], v[39:40], v[53:54]
	v_fma_f64 v[26:27], -v[45:46], v[41:42], v[17:18]
	s_waitcnt vmcnt(0)
	v_fma_f64 v[32:33], v[47:48], v[39:40], v[55:56]
	v_fma_f64 v[39:40], v[49:50], v[39:40], v[57:58]
	;; [unrolled: 1-line block ×3, first 2 shown]
	v_fma_f64 v[30:31], -v[49:50], v[41:42], v[32:33]
	v_fma_f64 v[32:33], v[47:48], v[41:42], v[39:40]
	s_andn2_b64 exec, exec, s[14:15]
	s_cbranch_execnz .LBB19_15
; %bb.16:
	s_or_b64 exec, exec, s[14:15]
.LBB19_17:
	s_or_b64 exec, exec, s[10:11]
	s_movk_i32 s2, 0xbf
	v_cmp_lt_u32_e32 vcc, s2, v10
	s_and_saveexec_b64 s[10:11], vcc
	s_cbranch_execz .LBB19_21
; %bb.18:
	s_mov_b64 s[14:15], 0
	v_mov_b32_e32 v10, s13
	v_mov_b32_e32 v38, s7
	s_movk_i32 s17, 0x4000
	s_mov_b32 s18, 0x8000
	s_mov_b32 s19, 0xc000
.LBB19_19:                              ; =>This Inner Loop Header: Depth=1
	v_ashrrev_i32_e32 v14, 31, v13
	v_lshlrev_b64 v[34:35], 2, v[13:14]
	v_add_u32_e32 v13, 0x100, v13
	v_add_co_u32_e32 v34, vcc, s12, v34
	v_addc_co_u32_e32 v35, vcc, v10, v35, vcc
	global_load_dword v14, v[34:35], off
	global_load_dwordx4 v[39:42], v[15:16], off offset:48
	global_load_dwordx4 v[43:46], v[15:16], off offset:32
	global_load_dwordx4 v[47:50], v[15:16], off offset:16
	global_load_dwordx4 v[51:54], v[15:16], off
	v_cmp_ge_i32_e64 s[2:3], v13, v36
	s_or_b64 s[14:15], s[2:3], s[14:15]
	s_waitcnt vmcnt(4)
	v_subrev_u32_e32 v14, s16, v14
	v_lshlrev_b32_e32 v55, 2, v14
	v_ashrrev_i32_e32 v56, 31, v55
	v_lshlrev_b64 v[55:56], 4, v[55:56]
	v_add_co_u32_e32 v71, vcc, s6, v55
	v_addc_co_u32_e32 v72, vcc, v38, v56, vcc
	global_load_dwordx4 v[55:58], v[71:72], off offset:48
	global_load_dwordx4 v[59:62], v[71:72], off offset:32
	global_load_dwordx4 v[63:66], v[71:72], off offset:16
	global_load_dwordx4 v[67:70], v[71:72], off
	s_waitcnt vmcnt(0)
	v_fma_f64 v[28:29], v[51:52], v[67:68], v[28:29]
	v_fma_f64 v[22:23], v[53:54], v[67:68], v[22:23]
	v_fma_f64 v[28:29], -v[53:54], v[69:70], v[28:29]
	v_fma_f64 v[22:23], v[51:52], v[69:70], v[22:23]
	v_fma_f64 v[28:29], v[47:48], v[63:64], v[28:29]
	v_fma_f64 v[22:23], v[49:50], v[63:64], v[22:23]
	v_fma_f64 v[28:29], -v[49:50], v[65:66], v[28:29]
	v_fma_f64 v[22:23], v[47:48], v[65:66], v[22:23]
	v_fma_f64 v[28:29], v[43:44], v[59:60], v[28:29]
	v_fma_f64 v[22:23], v[45:46], v[59:60], v[22:23]
	v_fma_f64 v[28:29], -v[45:46], v[61:62], v[28:29]
	v_fma_f64 v[22:23], v[43:44], v[61:62], v[22:23]
	v_fma_f64 v[28:29], v[39:40], v[55:56], v[28:29]
	v_fma_f64 v[22:23], v[41:42], v[55:56], v[22:23]
	v_fma_f64 v[71:72], -v[41:42], v[57:58], v[28:29]
	v_fma_f64 v[73:74], v[39:40], v[57:58], v[22:23]
	global_load_dwordx4 v[39:42], v[15:16], off offset:112
	global_load_dwordx4 v[43:46], v[15:16], off offset:96
	global_load_dwordx4 v[47:50], v[15:16], off offset:80
	global_load_dwordx4 v[51:54], v[15:16], off offset:64
	s_waitcnt vmcnt(0)
	v_fma_f64 v[22:23], v[51:52], v[67:68], v[24:25]
	v_fma_f64 v[19:20], v[53:54], v[67:68], v[19:20]
	v_fma_f64 v[22:23], -v[53:54], v[69:70], v[22:23]
	v_fma_f64 v[19:20], v[51:52], v[69:70], v[19:20]
	v_fma_f64 v[22:23], v[47:48], v[63:64], v[22:23]
	v_fma_f64 v[19:20], v[49:50], v[63:64], v[19:20]
	v_fma_f64 v[22:23], -v[49:50], v[65:66], v[22:23]
	v_fma_f64 v[19:20], v[47:48], v[65:66], v[19:20]
	v_fma_f64 v[22:23], v[43:44], v[59:60], v[22:23]
	v_fma_f64 v[19:20], v[45:46], v[59:60], v[19:20]
	v_fma_f64 v[22:23], -v[45:46], v[61:62], v[22:23]
	v_fma_f64 v[19:20], v[43:44], v[61:62], v[19:20]
	v_fma_f64 v[22:23], v[39:40], v[55:56], v[22:23]
	v_fma_f64 v[19:20], v[41:42], v[55:56], v[19:20]
	v_fma_f64 v[75:76], -v[41:42], v[57:58], v[22:23]
	v_fma_f64 v[77:78], v[39:40], v[57:58], v[19:20]
	global_load_dwordx4 v[22:25], v[15:16], off offset:176
	global_load_dwordx4 v[39:42], v[15:16], off offset:160
	global_load_dwordx4 v[43:46], v[15:16], off offset:144
	global_load_dwordx4 v[47:50], v[15:16], off offset:128
	;; [unrolled: 21-line block ×3, first 2 shown]
	global_load_dword v14, v[34:35], off offset:256
	s_waitcnt vmcnt(1)
	v_fma_f64 v[30:31], v[39:40], v[67:68], v[30:31]
	v_fma_f64 v[32:33], v[41:42], v[67:68], v[32:33]
	s_waitcnt vmcnt(0)
	v_subrev_u32_e32 v14, s16, v14
	v_fma_f64 v[30:31], -v[41:42], v[69:70], v[30:31]
	v_fma_f64 v[32:33], v[39:40], v[69:70], v[32:33]
	v_lshlrev_b32_e32 v39, 2, v14
	v_ashrrev_i32_e32 v40, 31, v39
	v_lshlrev_b64 v[39:40], 4, v[39:40]
	v_fma_f64 v[30:31], v[26:27], v[63:64], v[30:31]
	v_fma_f64 v[30:31], -v[28:29], v[65:66], v[30:31]
	v_fma_f64 v[28:29], v[28:29], v[63:64], v[32:33]
	v_fma_f64 v[26:27], v[26:27], v[65:66], v[28:29]
	v_fma_f64 v[28:29], v[22:23], v[59:60], v[30:31]
	v_fma_f64 v[28:29], -v[24:25], v[61:62], v[28:29]
	v_fma_f64 v[24:25], v[24:25], v[59:60], v[26:27]
	v_fma_f64 v[22:23], v[22:23], v[61:62], v[24:25]
	;; [unrolled: 4-line block ×3, first 2 shown]
	v_add_co_u32_e32 v57, vcc, s17, v15
	v_addc_co_u32_e32 v58, vcc, 0, v16, vcc
	v_add_co_u32_e32 v61, vcc, s6, v39
	v_addc_co_u32_e32 v62, vcc, v38, v40, vcc
	global_load_dwordx4 v[17:20], v[57:58], off
	global_load_dwordx4 v[22:25], v[57:58], off offset:48
	global_load_dwordx4 v[26:29], v[57:58], off offset:32
	;; [unrolled: 1-line block ×6, first 2 shown]
	global_load_dwordx4 v[51:54], v[61:62], off
	s_waitcnt vmcnt(0)
	v_fma_f64 v[61:62], v[17:18], v[51:52], v[71:72]
	v_fma_f64 v[61:62], -v[19:20], v[53:54], v[61:62]
	v_fma_f64 v[19:20], v[19:20], v[51:52], v[73:74]
	v_fma_f64 v[17:18], v[17:18], v[53:54], v[19:20]
	;; [unrolled: 1-line block ×4, first 2 shown]
	v_fma_f64 v[19:20], -v[32:33], v[49:50], v[19:20]
	v_fma_f64 v[17:18], v[30:31], v[49:50], v[17:18]
	v_fma_f64 v[19:20], v[26:27], v[43:44], v[19:20]
	;; [unrolled: 1-line block ×3, first 2 shown]
	v_fma_f64 v[19:20], -v[28:29], v[45:46], v[19:20]
	v_fma_f64 v[17:18], v[26:27], v[45:46], v[17:18]
	v_fma_f64 v[19:20], v[22:23], v[39:40], v[19:20]
	;; [unrolled: 1-line block ×3, first 2 shown]
	v_fma_f64 v[61:62], -v[24:25], v[41:42], v[19:20]
	v_fma_f64 v[63:64], v[22:23], v[41:42], v[17:18]
	global_load_dwordx4 v[17:20], v[57:58], off offset:112
	global_load_dwordx4 v[22:25], v[57:58], off offset:96
	;; [unrolled: 1-line block ×4, first 2 shown]
	s_waitcnt vmcnt(0)
	v_fma_f64 v[65:66], v[30:31], v[51:52], v[75:76]
	v_fma_f64 v[65:66], -v[32:33], v[53:54], v[65:66]
	v_fma_f64 v[32:33], v[32:33], v[51:52], v[77:78]
	v_add_co_u32_e32 v77, vcc, s18, v15
	v_addc_co_u32_e32 v78, vcc, 0, v16, vcc
	v_fma_f64 v[30:31], v[30:31], v[53:54], v[32:33]
	v_fma_f64 v[32:33], v[26:27], v[47:48], v[65:66]
	v_fma_f64 v[32:33], -v[28:29], v[49:50], v[32:33]
	v_fma_f64 v[28:29], v[28:29], v[47:48], v[30:31]
	v_fma_f64 v[26:27], v[26:27], v[49:50], v[28:29]
	v_fma_f64 v[28:29], v[22:23], v[43:44], v[32:33]
	v_fma_f64 v[28:29], -v[24:25], v[45:46], v[28:29]
	v_fma_f64 v[24:25], v[24:25], v[43:44], v[26:27]
	;; [unrolled: 4-line block ×3, first 2 shown]
	v_fma_f64 v[67:68], v[17:18], v[41:42], v[19:20]
	global_load_dwordx4 v[17:20], v[57:58], off offset:176
	global_load_dwordx4 v[22:25], v[57:58], off offset:160
	;; [unrolled: 1-line block ×4, first 2 shown]
	s_waitcnt vmcnt(0)
	v_fma_f64 v[69:70], v[30:31], v[51:52], v[79:80]
	v_fma_f64 v[69:70], -v[32:33], v[53:54], v[69:70]
	v_fma_f64 v[32:33], v[32:33], v[51:52], v[81:82]
	v_fma_f64 v[30:31], v[30:31], v[53:54], v[32:33]
	v_fma_f64 v[32:33], v[26:27], v[47:48], v[69:70]
	v_fma_f64 v[32:33], -v[28:29], v[49:50], v[32:33]
	v_fma_f64 v[28:29], v[28:29], v[47:48], v[30:31]
	v_fma_f64 v[26:27], v[26:27], v[49:50], v[28:29]
	;; [unrolled: 4-line block ×4, first 2 shown]
	global_load_dwordx4 v[17:20], v[57:58], off offset:240
	global_load_dwordx4 v[22:25], v[57:58], off offset:224
	global_load_dwordx4 v[26:29], v[57:58], off offset:208
	global_load_dwordx4 v[30:33], v[57:58], off offset:192
	global_load_dword v14, v[34:35], off offset:512
	s_waitcnt vmcnt(1)
	v_fma_f64 v[57:58], v[30:31], v[51:52], v[59:60]
	s_waitcnt vmcnt(0)
	v_subrev_u32_e32 v14, s16, v14
	v_fma_f64 v[57:58], -v[32:33], v[53:54], v[57:58]
	v_fma_f64 v[32:33], v[32:33], v[51:52], v[55:56]
	v_fma_f64 v[30:31], v[30:31], v[53:54], v[32:33]
	v_fma_f64 v[32:33], v[26:27], v[47:48], v[57:58]
	v_fma_f64 v[32:33], -v[28:29], v[49:50], v[32:33]
	v_fma_f64 v[28:29], v[28:29], v[47:48], v[30:31]
	v_fma_f64 v[26:27], v[26:27], v[49:50], v[28:29]
	v_fma_f64 v[28:29], v[22:23], v[43:44], v[32:33]
	;; [unrolled: 4-line block ×3, first 2 shown]
	v_fma_f64 v[73:74], -v[19:20], v[41:42], v[24:25]
	v_fma_f64 v[19:20], v[19:20], v[39:40], v[22:23]
	v_lshlrev_b32_e32 v22, 2, v14
	v_ashrrev_i32_e32 v23, 31, v22
	v_lshlrev_b64 v[22:23], 4, v[22:23]
	v_add_co_u32_e32 v22, vcc, s6, v22
	v_addc_co_u32_e32 v23, vcc, v38, v23, vcc
	v_fma_f64 v[75:76], v[17:18], v[41:42], v[19:20]
	global_load_dwordx4 v[17:20], v[77:78], off
	global_load_dwordx4 v[24:27], v[77:78], off offset:48
	global_load_dwordx4 v[28:31], v[77:78], off offset:32
	;; [unrolled: 1-line block ×6, first 2 shown]
	global_load_dwordx4 v[55:58], v[22:23], off
	s_waitcnt vmcnt(0)
	v_fma_f64 v[22:23], v[17:18], v[55:56], v[61:62]
	v_fma_f64 v[22:23], -v[19:20], v[57:58], v[22:23]
	v_fma_f64 v[19:20], v[19:20], v[55:56], v[63:64]
	v_fma_f64 v[17:18], v[17:18], v[57:58], v[19:20]
	;; [unrolled: 1-line block ×4, first 2 shown]
	v_fma_f64 v[19:20], -v[41:42], v[53:54], v[19:20]
	v_fma_f64 v[17:18], v[39:40], v[53:54], v[17:18]
	v_fma_f64 v[19:20], v[28:29], v[47:48], v[19:20]
	;; [unrolled: 1-line block ×3, first 2 shown]
	v_fma_f64 v[19:20], -v[30:31], v[49:50], v[19:20]
	v_fma_f64 v[17:18], v[28:29], v[49:50], v[17:18]
	v_fma_f64 v[19:20], v[24:25], v[43:44], v[19:20]
	;; [unrolled: 1-line block ×3, first 2 shown]
	v_fma_f64 v[22:23], -v[26:27], v[45:46], v[19:20]
	v_fma_f64 v[28:29], v[24:25], v[45:46], v[17:18]
	global_load_dwordx4 v[24:27], v[77:78], off offset:112
	global_load_dwordx4 v[17:20], v[77:78], off offset:96
	;; [unrolled: 1-line block ×4, first 2 shown]
	s_waitcnt vmcnt(0)
	v_fma_f64 v[59:60], v[39:40], v[55:56], v[65:66]
	v_fma_f64 v[59:60], -v[41:42], v[57:58], v[59:60]
	v_fma_f64 v[41:42], v[41:42], v[55:56], v[67:68]
	v_fma_f64 v[39:40], v[39:40], v[57:58], v[41:42]
	v_fma_f64 v[41:42], v[30:31], v[51:52], v[59:60]
	v_fma_f64 v[41:42], -v[32:33], v[53:54], v[41:42]
	v_fma_f64 v[32:33], v[32:33], v[51:52], v[39:40]
	v_fma_f64 v[30:31], v[30:31], v[53:54], v[32:33]
	;; [unrolled: 4-line block ×3, first 2 shown]
	v_fma_f64 v[19:20], v[24:25], v[43:44], v[32:33]
	global_load_dwordx4 v[30:33], v[77:78], off offset:176
	global_load_dwordx4 v[39:42], v[77:78], off offset:160
	;; [unrolled: 1-line block ×4, first 2 shown]
	v_fma_f64 v[17:18], v[26:27], v[43:44], v[17:18]
	v_fma_f64 v[19:20], -v[26:27], v[45:46], v[19:20]
	v_fma_f64 v[24:25], v[24:25], v[45:46], v[17:18]
	s_waitcnt vmcnt(0)
	v_fma_f64 v[17:18], v[63:64], v[55:56], v[69:70]
	v_fma_f64 v[26:27], v[65:66], v[55:56], v[71:72]
	v_fma_f64 v[17:18], -v[65:66], v[57:58], v[17:18]
	v_fma_f64 v[26:27], v[63:64], v[57:58], v[26:27]
	v_fma_f64 v[17:18], v[59:60], v[51:52], v[17:18]
	v_fma_f64 v[26:27], v[61:62], v[51:52], v[26:27]
	v_fma_f64 v[17:18], -v[61:62], v[53:54], v[17:18]
	v_fma_f64 v[26:27], v[59:60], v[53:54], v[26:27]
	v_fma_f64 v[17:18], v[39:40], v[47:48], v[17:18]
	v_fma_f64 v[26:27], v[41:42], v[47:48], v[26:27]
	v_fma_f64 v[17:18], -v[41:42], v[49:50], v[17:18]
	v_fma_f64 v[26:27], v[39:40], v[49:50], v[26:27]
	v_fma_f64 v[17:18], v[30:31], v[43:44], v[17:18]
	v_fma_f64 v[26:27], v[32:33], v[43:44], v[26:27]
	v_fma_f64 v[17:18], -v[32:33], v[45:46], v[17:18]
	v_fma_f64 v[26:27], v[30:31], v[45:46], v[26:27]
	global_load_dwordx4 v[39:42], v[77:78], off offset:240
	global_load_dwordx4 v[30:33], v[77:78], off offset:224
	;; [unrolled: 1-line block ×4, first 2 shown]
	global_load_dword v14, v[34:35], off offset:768
	v_add_co_u32_e32 v34, vcc, s19, v15
	v_addc_co_u32_e32 v35, vcc, 0, v16, vcc
	s_waitcnt vmcnt(1)
	v_fma_f64 v[67:68], v[63:64], v[55:56], v[73:74]
	v_fma_f64 v[55:56], v[65:66], v[55:56], v[75:76]
	s_waitcnt vmcnt(0)
	v_subrev_u32_e32 v14, s16, v14
	v_fma_f64 v[67:68], -v[65:66], v[57:58], v[67:68]
	v_fma_f64 v[55:56], v[63:64], v[57:58], v[55:56]
	v_fma_f64 v[57:58], v[59:60], v[51:52], v[67:68]
	;; [unrolled: 1-line block ×3, first 2 shown]
	v_lshlrev_b32_e32 v55, 2, v14
	v_ashrrev_i32_e32 v56, 31, v55
	v_lshlrev_b64 v[55:56], 4, v[55:56]
	v_add_co_u32_e32 v71, vcc, s6, v55
	v_fma_f64 v[57:58], -v[61:62], v[53:54], v[57:58]
	v_fma_f64 v[51:52], v[59:60], v[53:54], v[51:52]
	v_addc_co_u32_e32 v72, vcc, v38, v56, vcc
	v_add_co_u32_e32 v15, vcc, 0x10000, v15
	v_addc_co_u32_e32 v16, vcc, 0, v16, vcc
	v_fma_f64 v[53:54], v[30:31], v[47:48], v[57:58]
	v_fma_f64 v[53:54], -v[32:33], v[49:50], v[53:54]
	v_fma_f64 v[32:33], v[32:33], v[47:48], v[51:52]
	v_fma_f64 v[30:31], v[30:31], v[49:50], v[32:33]
	;; [unrolled: 1-line block ×4, first 2 shown]
	v_fma_f64 v[32:33], -v[41:42], v[45:46], v[32:33]
	v_fma_f64 v[30:31], v[39:40], v[45:46], v[30:31]
	global_load_dwordx4 v[39:42], v[34:35], off
	global_load_dwordx4 v[43:46], v[34:35], off offset:48
	global_load_dwordx4 v[47:50], v[34:35], off offset:32
	;; [unrolled: 1-line block ×6, first 2 shown]
	global_load_dwordx4 v[67:70], v[71:72], off
	s_waitcnt vmcnt(0)
	v_fma_f64 v[22:23], v[39:40], v[67:68], v[22:23]
	v_fma_f64 v[28:29], v[41:42], v[67:68], v[28:29]
	v_fma_f64 v[22:23], -v[41:42], v[69:70], v[22:23]
	v_fma_f64 v[28:29], v[39:40], v[69:70], v[28:29]
	v_fma_f64 v[22:23], v[51:52], v[63:64], v[22:23]
	v_fma_f64 v[28:29], v[53:54], v[63:64], v[28:29]
	v_fma_f64 v[22:23], -v[53:54], v[65:66], v[22:23]
	v_fma_f64 v[28:29], v[51:52], v[65:66], v[28:29]
	v_fma_f64 v[22:23], v[47:48], v[59:60], v[22:23]
	v_fma_f64 v[28:29], v[49:50], v[59:60], v[28:29]
	v_fma_f64 v[22:23], -v[49:50], v[61:62], v[22:23]
	v_fma_f64 v[39:40], v[47:48], v[61:62], v[28:29]
	v_fma_f64 v[22:23], v[43:44], v[55:56], v[22:23]
	v_fma_f64 v[28:29], -v[45:46], v[57:58], v[22:23]
	v_fma_f64 v[22:23], v[45:46], v[55:56], v[39:40]
	v_fma_f64 v[22:23], v[43:44], v[57:58], v[22:23]
	global_load_dwordx4 v[39:42], v[34:35], off offset:112
	global_load_dwordx4 v[43:46], v[34:35], off offset:96
	global_load_dwordx4 v[47:50], v[34:35], off offset:80
	global_load_dwordx4 v[51:54], v[34:35], off offset:64
	s_waitcnt vmcnt(0)
	v_fma_f64 v[19:20], v[51:52], v[67:68], v[19:20]
	v_fma_f64 v[24:25], v[53:54], v[67:68], v[24:25]
	v_fma_f64 v[19:20], -v[53:54], v[69:70], v[19:20]
	v_fma_f64 v[24:25], v[51:52], v[69:70], v[24:25]
	v_fma_f64 v[19:20], v[47:48], v[63:64], v[19:20]
	v_fma_f64 v[24:25], v[49:50], v[63:64], v[24:25]
	v_fma_f64 v[19:20], -v[49:50], v[65:66], v[19:20]
	v_fma_f64 v[24:25], v[47:48], v[65:66], v[24:25]
	v_fma_f64 v[19:20], v[43:44], v[59:60], v[19:20]
	v_fma_f64 v[24:25], v[45:46], v[59:60], v[24:25]
	v_fma_f64 v[19:20], -v[45:46], v[61:62], v[19:20]
	v_fma_f64 v[43:44], v[43:44], v[61:62], v[24:25]
	v_fma_f64 v[19:20], v[39:40], v[55:56], v[19:20]
	v_fma_f64 v[24:25], -v[41:42], v[57:58], v[19:20]
	v_fma_f64 v[19:20], v[41:42], v[55:56], v[43:44]
	v_fma_f64 v[19:20], v[39:40], v[57:58], v[19:20]
	global_load_dwordx4 v[39:42], v[34:35], off offset:176
	global_load_dwordx4 v[43:46], v[34:35], off offset:160
	global_load_dwordx4 v[47:50], v[34:35], off offset:144
	global_load_dwordx4 v[51:54], v[34:35], off offset:128
	;; [unrolled: 21-line block ×3, first 2 shown]
	s_waitcnt vmcnt(0)
	v_fma_f64 v[32:33], v[51:52], v[67:68], v[32:33]
	v_fma_f64 v[30:31], v[53:54], v[67:68], v[30:31]
	v_fma_f64 v[32:33], -v[53:54], v[69:70], v[32:33]
	v_fma_f64 v[30:31], v[51:52], v[69:70], v[30:31]
	v_fma_f64 v[32:33], v[47:48], v[63:64], v[32:33]
	v_fma_f64 v[30:31], v[49:50], v[63:64], v[30:31]
	v_fma_f64 v[32:33], -v[49:50], v[65:66], v[32:33]
	v_fma_f64 v[30:31], v[47:48], v[65:66], v[30:31]
	;; [unrolled: 4-line block ×4, first 2 shown]
	s_andn2_b64 exec, exec, s[14:15]
	s_cbranch_execnz .LBB19_19
; %bb.20:
	s_or_b64 exec, exec, s[14:15]
.LBB19_21:
	s_or_b64 exec, exec, s[10:11]
.LBB19_22:
	s_or_b64 exec, exec, s[8:9]
	s_cbranch_execz .LBB19_24
	s_branch .LBB19_35
.LBB19_23:
                                        ; implicit-def: $vgpr22_vgpr23
                                        ; implicit-def: $vgpr28_vgpr29
                                        ; implicit-def: $vgpr30_vgpr31
                                        ; implicit-def: $vgpr32_vgpr33
                                        ; implicit-def: $vgpr26_vgpr27
                                        ; implicit-def: $vgpr17_vgpr18
                                        ; implicit-def: $vgpr24_vgpr25
                                        ; implicit-def: $vgpr19_vgpr20
.LBB19_24:
	v_mov_b32_e32 v22, 0
	v_mov_b32_e32 v28, 0
	;; [unrolled: 1-line block ×16, first 2 shown]
	s_and_saveexec_b64 s[2:3], s[0:1]
	s_cbranch_execz .LBB19_34
; %bb.25:
	v_add_u32_e32 v10, v37, v0
	v_subrev_u32_e32 v10, s16, v10
	v_add_u32_e32 v10, 64, v10
	v_max_i32_e32 v10, v10, v36
	v_not_b32_e32 v13, v37
	v_add3_u32 v10, s16, v10, v13
	v_sub_u32_e32 v13, v10, v0
	s_movk_i32 s0, 0xc0
	v_and_b32_e32 v10, 0xc0, v13
	v_mov_b32_e32 v19, 0
	v_mov_b32_e32 v24, 0
	;; [unrolled: 1-line block ×16, first 2 shown]
	v_cmp_ne_u32_e32 vcc, s0, v10
	s_and_saveexec_b64 s[8:9], vcc
	s_cbranch_execz .LBB19_29
; %bb.26:
	v_lshrrev_b32_e32 v10, 6, v13
	v_add_u32_e32 v10, 1, v10
	v_and_b32_e32 v10, 3, v10
	v_mov_b32_e32 v22, 0
	v_mov_b32_e32 v28, 0
	v_mov_b32_e32 v30, 0
	v_mov_b32_e32 v32, 0
	v_mov_b32_e32 v26, 0
	v_mov_b32_e32 v17, 0
	v_mov_b32_e32 v24, 0
	v_mov_b32_e32 v19, 0
	v_sub_u32_e32 v14, 0, v10
	v_mov_b32_e32 v23, 0
	s_mov_b64 s[10:11], 0
	v_mov_b32_e32 v15, s13
	v_mov_b32_e32 v29, 0
	;; [unrolled: 1-line block ×9, first 2 shown]
.LBB19_27:                              ; =>This Inner Loop Header: Depth=1
	v_ashrrev_i32_e32 v10, 31, v9
	v_lshlrev_b64 v[34:35], 2, v[9:10]
	global_load_dwordx4 v[37:40], v[11:12], off offset:48
	global_load_dwordx4 v[41:44], v[11:12], off offset:32
	;; [unrolled: 1-line block ×3, first 2 shown]
	global_load_dwordx4 v[49:52], v[11:12], off
	global_load_dwordx4 v[53:56], v[11:12], off offset:112
	global_load_dwordx4 v[57:60], v[11:12], off offset:96
	v_add_co_u32_e32 v34, vcc, s12, v34
	v_addc_co_u32_e32 v35, vcc, v15, v35, vcc
	global_load_dword v10, v[34:35], off
	v_add_co_u32_e64 v14, s[0:1], 1, v14
	s_or_b64 s[10:11], s[0:1], s[10:11]
	v_add_u32_e32 v9, 64, v9
	s_waitcnt vmcnt(0)
	v_subrev_u32_e32 v10, s16, v10
	v_lshlrev_b32_e32 v34, 2, v10
	v_ashrrev_i32_e32 v35, 31, v34
	v_lshlrev_b64 v[34:35], 4, v[34:35]
	v_add_co_u32_e32 v34, vcc, s6, v34
	v_addc_co_u32_e32 v35, vcc, v16, v35, vcc
	global_load_dwordx4 v[61:64], v[34:35], off
	s_waitcnt vmcnt(0)
	v_fma_f64 v[28:29], v[49:50], v[61:62], v[28:29]
	v_fma_f64 v[22:23], v[51:52], v[61:62], v[22:23]
	;; [unrolled: 1-line block ×4, first 2 shown]
	v_fma_f64 v[65:66], -v[51:52], v[63:64], v[28:29]
	v_fma_f64 v[67:68], v[49:50], v[63:64], v[22:23]
	v_fma_f64 v[22:23], v[45:46], v[61:62], v[24:25]
	;; [unrolled: 1-line block ×6, first 2 shown]
	global_load_dwordx4 v[49:52], v[11:12], off offset:80
	v_fma_f64 v[41:42], v[41:42], v[63:64], v[17:18]
	v_fma_f64 v[47:48], -v[47:48], v[63:64], v[22:23]
	global_load_dwordx4 v[22:25], v[11:12], off offset:64
	v_fma_f64 v[43:44], -v[43:44], v[63:64], v[19:20]
	global_load_dwordx4 v[17:20], v[11:12], off offset:176
	v_fma_f64 v[61:62], -v[39:40], v[63:64], v[26:27]
	v_fma_f64 v[63:64], v[37:38], v[63:64], v[28:29]
	global_load_dwordx4 v[26:29], v[11:12], off offset:160
	global_load_dwordx4 v[30:33], v[34:35], off offset:16
	s_waitcnt vmcnt(0)
	v_fma_f64 v[37:38], v[22:23], v[30:31], v[65:66]
	v_fma_f64 v[39:40], v[24:25], v[30:31], v[67:68]
	;; [unrolled: 1-line block ×4, first 2 shown]
	v_fma_f64 v[65:66], -v[24:25], v[32:33], v[37:38]
	v_fma_f64 v[67:68], v[22:23], v[32:33], v[39:40]
	v_fma_f64 v[37:38], v[49:50], v[30:31], v[47:48]
	;; [unrolled: 1-line block ×5, first 2 shown]
	global_load_dwordx4 v[22:25], v[11:12], off offset:144
	v_fma_f64 v[59:60], -v[59:60], v[32:33], v[43:44]
	v_fma_f64 v[57:58], v[57:58], v[32:33], v[41:42]
	global_load_dwordx4 v[41:44], v[11:12], off offset:224
	v_fma_f64 v[51:52], -v[51:52], v[32:33], v[37:38]
	v_fma_f64 v[49:50], v[49:50], v[32:33], v[39:40]
	;; [unrolled: 3-line block ×3, first 2 shown]
	global_load_dwordx4 v[30:33], v[11:12], off offset:208
	global_load_dwordx4 v[45:48], v[34:35], off offset:32
	s_waitcnt vmcnt(0)
	v_fma_f64 v[53:54], v[37:38], v[45:46], v[65:66]
	v_fma_f64 v[55:56], v[39:40], v[45:46], v[67:68]
	v_fma_f64 v[51:52], v[22:23], v[45:46], v[51:52]
	v_fma_f64 v[49:50], v[24:25], v[45:46], v[49:50]
	v_fma_f64 v[65:66], -v[39:40], v[47:48], v[53:54]
	v_fma_f64 v[67:68], v[37:38], v[47:48], v[55:56]
	v_fma_f64 v[53:54], v[26:27], v[45:46], v[59:60]
	;; [unrolled: 1-line block ×3, first 2 shown]
	global_load_dwordx4 v[37:40], v[11:12], off offset:192
	v_fma_f64 v[24:25], -v[24:25], v[47:48], v[51:52]
	v_fma_f64 v[22:23], v[22:23], v[47:48], v[49:50]
	global_load_dwordx4 v[49:52], v[11:12], off offset:240
	v_add_co_u32_e32 v11, vcc, 0x4000, v11
	v_fma_f64 v[28:29], -v[28:29], v[47:48], v[53:54]
	v_fma_f64 v[26:27], v[26:27], v[47:48], v[55:56]
	global_load_dwordx4 v[53:56], v[34:35], off offset:48
	v_fma_f64 v[34:35], v[17:18], v[45:46], v[61:62]
	v_fma_f64 v[45:46], v[19:20], v[45:46], v[63:64]
	v_addc_co_u32_e32 v12, vcc, 0, v12, vcc
	v_fma_f64 v[19:20], -v[19:20], v[47:48], v[34:35]
	v_fma_f64 v[17:18], v[17:18], v[47:48], v[45:46]
	s_waitcnt vmcnt(0)
	v_fma_f64 v[34:35], v[37:38], v[53:54], v[65:66]
	v_fma_f64 v[45:46], v[39:40], v[53:54], v[67:68]
	;; [unrolled: 1-line block ×8, first 2 shown]
	v_fma_f64 v[28:29], -v[39:40], v[55:56], v[34:35]
	v_fma_f64 v[22:23], v[37:38], v[55:56], v[45:46]
	v_fma_f64 v[24:25], -v[32:33], v[55:56], v[24:25]
	v_fma_f64 v[19:20], v[30:31], v[55:56], v[47:48]
	;; [unrolled: 2-line block ×4, first 2 shown]
	s_andn2_b64 exec, exec, s[10:11]
	s_cbranch_execnz .LBB19_27
; %bb.28:
	s_or_b64 exec, exec, s[10:11]
.LBB19_29:
	s_or_b64 exec, exec, s[8:9]
	s_movk_i32 s0, 0xbf
	v_cmp_lt_u32_e32 vcc, s0, v13
	s_and_saveexec_b64 s[8:9], vcc
	s_cbranch_execz .LBB19_33
; %bb.30:
	s_mov_b64 s[10:11], 0
	v_mov_b32_e32 v34, s13
	v_mov_b32_e32 v35, s7
	s_movk_i32 s7, 0x4000
	s_mov_b32 s13, 0x8000
	s_mov_b32 s14, 0xc000
.LBB19_31:                              ; =>This Inner Loop Header: Depth=1
	v_ashrrev_i32_e32 v10, 31, v9
	v_lshlrev_b64 v[13:14], 2, v[9:10]
	v_add_u32_e32 v9, 0x100, v9
	v_add_co_u32_e32 v13, vcc, s12, v13
	v_addc_co_u32_e32 v14, vcc, v34, v14, vcc
	global_load_dword v10, v[13:14], off
	global_load_dwordx4 v[37:40], v[11:12], off offset:48
	global_load_dwordx4 v[41:44], v[11:12], off offset:32
	;; [unrolled: 1-line block ×3, first 2 shown]
	global_load_dwordx4 v[49:52], v[11:12], off
	v_cmp_ge_i32_e64 s[0:1], v9, v36
	s_or_b64 s[10:11], s[0:1], s[10:11]
	s_waitcnt vmcnt(4)
	v_subrev_u32_e32 v10, s16, v10
	v_lshlrev_b32_e32 v15, 2, v10
	v_ashrrev_i32_e32 v16, 31, v15
	v_lshlrev_b64 v[15:16], 4, v[15:16]
	v_add_co_u32_e32 v15, vcc, s6, v15
	v_addc_co_u32_e32 v16, vcc, v35, v16, vcc
	global_load_dwordx4 v[53:56], v[15:16], off offset:48
	global_load_dwordx4 v[57:60], v[15:16], off offset:32
	;; [unrolled: 1-line block ×3, first 2 shown]
	global_load_dwordx4 v[65:68], v[15:16], off
	s_waitcnt vmcnt(0)
	v_fma_f64 v[15:16], v[49:50], v[65:66], v[28:29]
	v_fma_f64 v[69:70], -v[51:52], v[67:68], v[15:16]
	v_fma_f64 v[15:16], v[51:52], v[65:66], v[22:23]
	v_fma_f64 v[49:50], v[49:50], v[67:68], v[15:16]
	v_fma_f64 v[15:16], v[45:46], v[65:66], v[24:25]
	v_fma_f64 v[51:52], -v[47:48], v[67:68], v[15:16]
	v_fma_f64 v[15:16], v[47:48], v[65:66], v[19:20]
	v_fma_f64 v[19:20], v[45:46], v[67:68], v[15:16]
	;; [unrolled: 4-line block ×4, first 2 shown]
	global_load_dwordx4 v[15:18], v[11:12], off offset:112
	global_load_dwordx4 v[22:25], v[11:12], off offset:96
	;; [unrolled: 1-line block ×4, first 2 shown]
	s_waitcnt vmcnt(1)
	v_fma_f64 v[19:20], v[28:29], v[61:62], v[19:20]
	s_waitcnt vmcnt(0)
	v_fma_f64 v[39:40], v[30:31], v[61:62], v[69:70]
	v_fma_f64 v[19:20], v[26:27], v[63:64], v[19:20]
	v_fma_f64 v[39:40], -v[32:33], v[63:64], v[39:40]
	v_fma_f64 v[32:33], v[32:33], v[61:62], v[49:50]
	v_fma_f64 v[47:48], v[30:31], v[63:64], v[32:33]
	;; [unrolled: 1-line block ×4, first 2 shown]
	v_fma_f64 v[49:50], -v[28:29], v[63:64], v[30:31]
	v_fma_f64 v[45:46], -v[24:25], v[63:64], v[26:27]
	v_fma_f64 v[24:25], v[24:25], v[61:62], v[41:42]
	v_fma_f64 v[41:42], v[22:23], v[63:64], v[24:25]
	;; [unrolled: 1-line block ×3, first 2 shown]
	v_fma_f64 v[43:44], -v[17:18], v[63:64], v[22:23]
	v_fma_f64 v[17:18], v[17:18], v[61:62], v[37:38]
	v_fma_f64 v[37:38], v[15:16], v[63:64], v[17:18]
	global_load_dwordx4 v[15:18], v[11:12], off offset:176
	global_load_dwordx4 v[22:25], v[11:12], off offset:160
	;; [unrolled: 1-line block ×4, first 2 shown]
	s_waitcnt vmcnt(1)
	v_fma_f64 v[19:20], v[28:29], v[57:58], v[19:20]
	s_waitcnt vmcnt(0)
	v_fma_f64 v[39:40], v[30:31], v[57:58], v[39:40]
	v_fma_f64 v[19:20], v[26:27], v[59:60], v[19:20]
	v_fma_f64 v[39:40], -v[32:33], v[59:60], v[39:40]
	v_fma_f64 v[32:33], v[32:33], v[57:58], v[47:48]
	v_fma_f64 v[47:48], v[30:31], v[59:60], v[32:33]
	;; [unrolled: 1-line block ×4, first 2 shown]
	v_fma_f64 v[49:50], -v[28:29], v[59:60], v[30:31]
	v_fma_f64 v[45:46], -v[24:25], v[59:60], v[26:27]
	v_fma_f64 v[24:25], v[24:25], v[57:58], v[41:42]
	v_fma_f64 v[41:42], v[22:23], v[59:60], v[24:25]
	;; [unrolled: 1-line block ×3, first 2 shown]
	v_fma_f64 v[43:44], -v[17:18], v[59:60], v[22:23]
	v_fma_f64 v[17:18], v[17:18], v[57:58], v[37:38]
	v_fma_f64 v[37:38], v[15:16], v[59:60], v[17:18]
	global_load_dwordx4 v[15:18], v[11:12], off offset:240
	global_load_dwordx4 v[22:25], v[11:12], off offset:224
	;; [unrolled: 1-line block ×4, first 2 shown]
	global_load_dword v10, v[13:14], off offset:256
	s_waitcnt vmcnt(2)
	v_fma_f64 v[19:20], v[28:29], v[53:54], v[19:20]
	s_waitcnt vmcnt(1)
	v_fma_f64 v[39:40], v[30:31], v[53:54], v[39:40]
	s_waitcnt vmcnt(0)
	v_subrev_u32_e32 v10, s16, v10
	v_fma_f64 v[19:20], v[26:27], v[55:56], v[19:20]
	v_fma_f64 v[57:58], -v[32:33], v[55:56], v[39:40]
	v_fma_f64 v[32:33], v[32:33], v[53:54], v[47:48]
	v_fma_f64 v[59:60], v[30:31], v[55:56], v[32:33]
	;; [unrolled: 1-line block ×4, first 2 shown]
	v_fma_f64 v[61:62], -v[28:29], v[55:56], v[30:31]
	v_fma_f64 v[63:64], -v[24:25], v[55:56], v[26:27]
	v_fma_f64 v[24:25], v[24:25], v[53:54], v[41:42]
	v_fma_f64 v[65:66], v[22:23], v[55:56], v[24:25]
	;; [unrolled: 1-line block ×3, first 2 shown]
	v_fma_f64 v[67:68], -v[17:18], v[55:56], v[22:23]
	v_fma_f64 v[17:18], v[17:18], v[53:54], v[37:38]
	v_lshlrev_b32_e32 v37, 2, v10
	v_ashrrev_i32_e32 v38, 31, v37
	v_lshlrev_b64 v[37:38], 4, v[37:38]
	v_fma_f64 v[53:54], v[15:16], v[55:56], v[17:18]
	v_add_co_u32_e32 v55, vcc, s7, v11
	v_addc_co_u32_e32 v56, vcc, 0, v12, vcc
	v_add_co_u32_e32 v69, vcc, s6, v37
	v_addc_co_u32_e32 v70, vcc, v35, v38, vcc
	global_load_dwordx4 v[15:18], v[55:56], off
	global_load_dwordx4 v[22:25], v[55:56], off offset:48
	global_load_dwordx4 v[26:29], v[55:56], off offset:32
	;; [unrolled: 1-line block ×6, first 2 shown]
	global_load_dwordx4 v[49:52], v[69:70], off
	s_waitcnt vmcnt(0)
	v_fma_f64 v[57:58], v[15:16], v[49:50], v[57:58]
	v_fma_f64 v[57:58], -v[17:18], v[51:52], v[57:58]
	v_fma_f64 v[17:18], v[17:18], v[49:50], v[59:60]
	v_fma_f64 v[59:60], v[15:16], v[51:52], v[17:18]
	v_fma_f64 v[15:16], v[30:31], v[49:50], v[61:62]
	v_fma_f64 v[61:62], -v[32:33], v[51:52], v[15:16]
	v_fma_f64 v[15:16], v[32:33], v[49:50], v[19:20]
	v_fma_f64 v[19:20], v[30:31], v[51:52], v[15:16]
	;; [unrolled: 4-line block ×4, first 2 shown]
	global_load_dwordx4 v[15:18], v[55:56], off offset:112
	global_load_dwordx4 v[22:25], v[55:56], off offset:96
	;; [unrolled: 1-line block ×4, first 2 shown]
	s_waitcnt vmcnt(1)
	v_fma_f64 v[19:20], v[28:29], v[45:46], v[19:20]
	s_waitcnt vmcnt(0)
	v_fma_f64 v[51:52], v[30:31], v[45:46], v[57:58]
	v_fma_f64 v[19:20], v[26:27], v[47:48], v[19:20]
	v_fma_f64 v[51:52], -v[32:33], v[47:48], v[51:52]
	v_fma_f64 v[32:33], v[32:33], v[45:46], v[59:60]
	v_fma_f64 v[53:54], v[30:31], v[47:48], v[32:33]
	;; [unrolled: 1-line block ×4, first 2 shown]
	v_fma_f64 v[57:58], -v[28:29], v[47:48], v[30:31]
	v_fma_f64 v[59:60], -v[24:25], v[47:48], v[26:27]
	v_fma_f64 v[24:25], v[24:25], v[45:46], v[65:66]
	v_fma_f64 v[61:62], v[22:23], v[47:48], v[24:25]
	v_fma_f64 v[22:23], v[15:16], v[45:46], v[67:68]
	v_add_co_u32_e32 v67, vcc, s13, v11
	v_addc_co_u32_e32 v68, vcc, 0, v12, vcc
	v_fma_f64 v[63:64], -v[17:18], v[47:48], v[22:23]
	v_fma_f64 v[17:18], v[17:18], v[45:46], v[49:50]
	v_fma_f64 v[45:46], v[15:16], v[47:48], v[17:18]
	global_load_dwordx4 v[15:18], v[55:56], off offset:176
	global_load_dwordx4 v[22:25], v[55:56], off offset:160
	;; [unrolled: 1-line block ×4, first 2 shown]
	s_waitcnt vmcnt(1)
	v_fma_f64 v[19:20], v[28:29], v[41:42], v[19:20]
	s_waitcnt vmcnt(0)
	v_fma_f64 v[47:48], v[30:31], v[41:42], v[51:52]
	v_fma_f64 v[19:20], v[26:27], v[43:44], v[19:20]
	v_fma_f64 v[47:48], -v[32:33], v[43:44], v[47:48]
	v_fma_f64 v[32:33], v[32:33], v[41:42], v[53:54]
	v_fma_f64 v[49:50], v[30:31], v[43:44], v[32:33]
	;; [unrolled: 1-line block ×4, first 2 shown]
	v_fma_f64 v[51:52], -v[28:29], v[43:44], v[30:31]
	v_fma_f64 v[53:54], -v[24:25], v[43:44], v[26:27]
	v_fma_f64 v[24:25], v[24:25], v[41:42], v[61:62]
	v_fma_f64 v[57:58], v[22:23], v[43:44], v[24:25]
	;; [unrolled: 1-line block ×3, first 2 shown]
	v_fma_f64 v[59:60], -v[17:18], v[43:44], v[22:23]
	v_fma_f64 v[17:18], v[17:18], v[41:42], v[45:46]
	v_fma_f64 v[41:42], v[15:16], v[43:44], v[17:18]
	global_load_dwordx4 v[15:18], v[55:56], off offset:240
	global_load_dwordx4 v[22:25], v[55:56], off offset:224
	;; [unrolled: 1-line block ×4, first 2 shown]
	global_load_dword v10, v[13:14], off offset:512
	s_waitcnt vmcnt(2)
	v_fma_f64 v[19:20], v[28:29], v[37:38], v[19:20]
	s_waitcnt vmcnt(1)
	v_fma_f64 v[43:44], v[30:31], v[37:38], v[47:48]
	s_waitcnt vmcnt(0)
	v_subrev_u32_e32 v10, s16, v10
	v_fma_f64 v[19:20], v[26:27], v[39:40], v[19:20]
	v_fma_f64 v[55:56], -v[32:33], v[39:40], v[43:44]
	v_fma_f64 v[32:33], v[32:33], v[37:38], v[49:50]
	v_fma_f64 v[61:62], v[30:31], v[39:40], v[32:33]
	;; [unrolled: 1-line block ×4, first 2 shown]
	v_fma_f64 v[63:64], -v[28:29], v[39:40], v[30:31]
	v_fma_f64 v[53:54], -v[24:25], v[39:40], v[26:27]
	v_fma_f64 v[24:25], v[24:25], v[37:38], v[57:58]
	v_fma_f64 v[57:58], v[22:23], v[39:40], v[24:25]
	;; [unrolled: 1-line block ×3, first 2 shown]
	v_fma_f64 v[59:60], -v[17:18], v[39:40], v[22:23]
	v_fma_f64 v[17:18], v[17:18], v[37:38], v[41:42]
	v_lshlrev_b32_e32 v37, 2, v10
	v_ashrrev_i32_e32 v38, 31, v37
	v_lshlrev_b64 v[37:38], 4, v[37:38]
	v_add_co_u32_e32 v69, vcc, s6, v37
	v_addc_co_u32_e32 v70, vcc, v35, v38, vcc
	v_fma_f64 v[65:66], v[15:16], v[39:40], v[17:18]
	global_load_dwordx4 v[15:18], v[67:68], off
	global_load_dwordx4 v[22:25], v[67:68], off offset:48
	global_load_dwordx4 v[26:29], v[67:68], off offset:32
	;; [unrolled: 1-line block ×6, first 2 shown]
	global_load_dwordx4 v[49:52], v[69:70], off
	s_waitcnt vmcnt(0)
	v_fma_f64 v[55:56], v[15:16], v[49:50], v[55:56]
	v_fma_f64 v[55:56], -v[17:18], v[51:52], v[55:56]
	v_fma_f64 v[17:18], v[17:18], v[49:50], v[61:62]
	v_fma_f64 v[61:62], v[15:16], v[51:52], v[17:18]
	v_fma_f64 v[15:16], v[30:31], v[49:50], v[63:64]
	v_fma_f64 v[63:64], -v[32:33], v[51:52], v[15:16]
	v_fma_f64 v[15:16], v[32:33], v[49:50], v[19:20]
	v_fma_f64 v[19:20], v[30:31], v[51:52], v[15:16]
	;; [unrolled: 4-line block ×4, first 2 shown]
	global_load_dwordx4 v[15:18], v[67:68], off offset:112
	global_load_dwordx4 v[22:25], v[67:68], off offset:96
	global_load_dwordx4 v[26:29], v[67:68], off offset:80
	global_load_dwordx4 v[30:33], v[67:68], off offset:64
	s_waitcnt vmcnt(1)
	v_fma_f64 v[19:20], v[28:29], v[45:46], v[19:20]
	s_waitcnt vmcnt(0)
	v_fma_f64 v[51:52], v[30:31], v[45:46], v[55:56]
	v_fma_f64 v[19:20], v[26:27], v[47:48], v[19:20]
	v_fma_f64 v[51:52], -v[32:33], v[47:48], v[51:52]
	v_fma_f64 v[32:33], v[32:33], v[45:46], v[61:62]
	v_fma_f64 v[55:56], v[30:31], v[47:48], v[32:33]
	;; [unrolled: 1-line block ×4, first 2 shown]
	v_fma_f64 v[61:62], -v[28:29], v[47:48], v[30:31]
	v_fma_f64 v[53:54], -v[24:25], v[47:48], v[26:27]
	v_fma_f64 v[24:25], v[24:25], v[45:46], v[57:58]
	v_fma_f64 v[57:58], v[22:23], v[47:48], v[24:25]
	;; [unrolled: 1-line block ×3, first 2 shown]
	v_fma_f64 v[59:60], -v[17:18], v[47:48], v[22:23]
	v_fma_f64 v[17:18], v[17:18], v[45:46], v[49:50]
	v_fma_f64 v[45:46], v[15:16], v[47:48], v[17:18]
	global_load_dwordx4 v[15:18], v[67:68], off offset:176
	global_load_dwordx4 v[22:25], v[67:68], off offset:160
	global_load_dwordx4 v[26:29], v[67:68], off offset:144
	global_load_dwordx4 v[30:33], v[67:68], off offset:128
	s_waitcnt vmcnt(1)
	v_fma_f64 v[19:20], v[28:29], v[41:42], v[19:20]
	s_waitcnt vmcnt(0)
	v_fma_f64 v[47:48], v[30:31], v[41:42], v[51:52]
	v_fma_f64 v[47:48], -v[32:33], v[43:44], v[47:48]
	v_fma_f64 v[32:33], v[32:33], v[41:42], v[55:56]
	v_fma_f64 v[55:56], v[26:27], v[43:44], v[19:20]
	;; [unrolled: 1-line block ×5, first 2 shown]
	v_fma_f64 v[53:54], -v[24:25], v[43:44], v[19:20]
	v_fma_f64 v[19:20], v[24:25], v[41:42], v[57:58]
	v_fma_f64 v[51:52], -v[28:29], v[43:44], v[30:31]
	v_fma_f64 v[57:58], v[22:23], v[43:44], v[19:20]
	v_fma_f64 v[19:20], v[15:16], v[41:42], v[59:60]
	v_fma_f64 v[59:60], -v[17:18], v[43:44], v[19:20]
	v_fma_f64 v[17:18], v[17:18], v[41:42], v[45:46]
	v_fma_f64 v[41:42], v[15:16], v[43:44], v[17:18]
	global_load_dwordx4 v[30:33], v[67:68], off offset:240
	global_load_dwordx4 v[26:29], v[67:68], off offset:224
	;; [unrolled: 1-line block ×4, first 2 shown]
	global_load_dword v10, v[13:14], off offset:768
	v_add_co_u32_e32 v13, vcc, s14, v11
	v_addc_co_u32_e32 v14, vcc, 0, v12, vcc
	s_waitcnt vmcnt(1)
	v_fma_f64 v[15:16], v[17:18], v[37:38], v[47:48]
	s_waitcnt vmcnt(0)
	v_subrev_u32_e32 v10, s16, v10
	v_fma_f64 v[15:16], -v[19:20], v[39:40], v[15:16]
	v_fma_f64 v[19:20], v[19:20], v[37:38], v[49:50]
	v_fma_f64 v[17:18], v[17:18], v[39:40], v[19:20]
	v_fma_f64 v[19:20], v[22:23], v[37:38], v[51:52]
	v_fma_f64 v[19:20], -v[24:25], v[39:40], v[19:20]
	v_fma_f64 v[24:25], v[24:25], v[37:38], v[55:56]
	v_fma_f64 v[22:23], v[22:23], v[39:40], v[24:25]
	v_fma_f64 v[24:25], v[26:27], v[37:38], v[53:54]
	;; [unrolled: 4-line block ×3, first 2 shown]
	v_fma_f64 v[28:29], -v[32:33], v[39:40], v[28:29]
	v_fma_f64 v[32:33], v[32:33], v[37:38], v[41:42]
	v_fma_f64 v[30:31], v[30:31], v[39:40], v[32:33]
	v_lshlrev_b32_e32 v32, 2, v10
	v_ashrrev_i32_e32 v33, 31, v32
	v_lshlrev_b64 v[32:33], 4, v[32:33]
	global_load_dwordx4 v[37:40], v[13:14], off
	global_load_dwordx4 v[41:44], v[13:14], off offset:48
	global_load_dwordx4 v[45:48], v[13:14], off offset:32
	;; [unrolled: 1-line block ×3, first 2 shown]
	v_add_co_u32_e32 v32, vcc, s6, v32
	v_addc_co_u32_e32 v33, vcc, v35, v33, vcc
	global_load_dwordx4 v[53:56], v[32:33], off offset:48
	global_load_dwordx4 v[57:60], v[32:33], off offset:32
	global_load_dwordx4 v[61:64], v[32:33], off offset:16
	global_load_dwordx4 v[65:68], v[32:33], off
	v_add_co_u32_e32 v11, vcc, 0x10000, v11
	v_addc_co_u32_e32 v12, vcc, 0, v12, vcc
	s_waitcnt vmcnt(0)
	v_fma_f64 v[15:16], v[37:38], v[65:66], v[15:16]
	v_fma_f64 v[69:70], -v[39:40], v[67:68], v[15:16]
	v_fma_f64 v[15:16], v[39:40], v[65:66], v[17:18]
	v_fma_f64 v[37:38], v[37:38], v[67:68], v[15:16]
	v_fma_f64 v[15:16], v[49:50], v[65:66], v[19:20]
	v_fma_f64 v[19:20], -v[51:52], v[67:68], v[15:16]
	v_fma_f64 v[15:16], v[51:52], v[65:66], v[22:23]
	v_fma_f64 v[39:40], v[49:50], v[67:68], v[15:16]
	;; [unrolled: 4-line block ×4, first 2 shown]
	global_load_dwordx4 v[15:18], v[13:14], off offset:112
	global_load_dwordx4 v[22:25], v[13:14], off offset:96
	;; [unrolled: 1-line block ×4, first 2 shown]
	s_waitcnt vmcnt(1)
	v_fma_f64 v[19:20], v[26:27], v[61:62], v[19:20]
	s_waitcnt vmcnt(0)
	v_fma_f64 v[43:44], v[30:31], v[61:62], v[69:70]
	v_fma_f64 v[19:20], -v[28:29], v[63:64], v[19:20]
	v_fma_f64 v[28:29], v[28:29], v[61:62], v[39:40]
	v_fma_f64 v[43:44], -v[32:33], v[63:64], v[43:44]
	v_fma_f64 v[32:33], v[32:33], v[61:62], v[37:38]
	v_fma_f64 v[39:40], v[26:27], v[63:64], v[28:29]
	;; [unrolled: 1-line block ×4, first 2 shown]
	v_fma_f64 v[49:50], -v[24:25], v[63:64], v[26:27]
	v_fma_f64 v[24:25], v[24:25], v[61:62], v[45:46]
	v_fma_f64 v[45:46], v[22:23], v[63:64], v[24:25]
	;; [unrolled: 1-line block ×3, first 2 shown]
	v_fma_f64 v[47:48], -v[17:18], v[63:64], v[22:23]
	v_fma_f64 v[17:18], v[17:18], v[61:62], v[41:42]
	v_fma_f64 v[41:42], v[15:16], v[63:64], v[17:18]
	global_load_dwordx4 v[15:18], v[13:14], off offset:176
	global_load_dwordx4 v[22:25], v[13:14], off offset:160
	;; [unrolled: 1-line block ×4, first 2 shown]
	s_waitcnt vmcnt(1)
	v_fma_f64 v[19:20], v[26:27], v[57:58], v[19:20]
	s_waitcnt vmcnt(0)
	v_fma_f64 v[43:44], v[30:31], v[57:58], v[43:44]
	v_fma_f64 v[19:20], -v[28:29], v[59:60], v[19:20]
	v_fma_f64 v[28:29], v[28:29], v[57:58], v[39:40]
	v_fma_f64 v[43:44], -v[32:33], v[59:60], v[43:44]
	v_fma_f64 v[32:33], v[32:33], v[57:58], v[37:38]
	v_fma_f64 v[26:27], v[26:27], v[59:60], v[28:29]
	;; [unrolled: 1-line block ×4, first 2 shown]
	v_fma_f64 v[49:50], -v[24:25], v[59:60], v[28:29]
	v_fma_f64 v[24:25], v[24:25], v[57:58], v[45:46]
	v_fma_f64 v[45:46], v[22:23], v[59:60], v[24:25]
	;; [unrolled: 1-line block ×3, first 2 shown]
	v_fma_f64 v[47:48], -v[17:18], v[59:60], v[22:23]
	v_fma_f64 v[17:18], v[17:18], v[57:58], v[41:42]
	v_fma_f64 v[41:42], v[15:16], v[59:60], v[17:18]
	global_load_dwordx4 v[37:40], v[13:14], off offset:240
	global_load_dwordx4 v[15:18], v[13:14], off offset:224
	;; [unrolled: 1-line block ×4, first 2 shown]
	s_waitcnt vmcnt(0)
	v_fma_f64 v[13:14], v[22:23], v[53:54], v[43:44]
	v_fma_f64 v[28:29], -v[24:25], v[55:56], v[13:14]
	v_fma_f64 v[13:14], v[24:25], v[53:54], v[51:52]
	v_fma_f64 v[22:23], v[22:23], v[55:56], v[13:14]
	v_fma_f64 v[13:14], v[30:31], v[53:54], v[19:20]
	v_fma_f64 v[24:25], -v[32:33], v[55:56], v[13:14]
	v_fma_f64 v[13:14], v[32:33], v[53:54], v[26:27]
	v_fma_f64 v[19:20], v[30:31], v[55:56], v[13:14]
	;; [unrolled: 4-line block ×4, first 2 shown]
	s_andn2_b64 exec, exec, s[10:11]
	s_cbranch_execnz .LBB19_31
; %bb.32:
	s_or_b64 exec, exec, s[10:11]
.LBB19_33:
	s_or_b64 exec, exec, s[8:9]
.LBB19_34:
	s_or_b64 exec, exec, s[2:3]
.LBB19_35:
	v_mov_b32_dpp v9, v28 row_shr:1 row_mask:0xf bank_mask:0xf
	v_mov_b32_dpp v10, v29 row_shr:1 row_mask:0xf bank_mask:0xf
	v_add_f64 v[9:10], v[28:29], v[9:10]
	v_mov_b32_dpp v11, v22 row_shr:1 row_mask:0xf bank_mask:0xf
	v_mov_b32_dpp v12, v23 row_shr:1 row_mask:0xf bank_mask:0xf
	v_add_f64 v[11:12], v[22:23], v[11:12]
	v_mov_b32_dpp v15, v19 row_shr:1 row_mask:0xf bank_mask:0xf
	v_mov_b32_dpp v16, v20 row_shr:1 row_mask:0xf bank_mask:0xf
	v_add_f64 v[15:16], v[19:20], v[15:16]
	v_mov_b32_dpp v36, v17 row_shr:1 row_mask:0xf bank_mask:0xf
	v_mov_b32_dpp v13, v9 row_shr:2 row_mask:0xf bank_mask:0xf
	v_mov_b32_dpp v14, v10 row_shr:2 row_mask:0xf bank_mask:0xf
	v_add_f64 v[9:10], v[9:10], v[13:14]
	v_mov_b32_dpp v13, v11 row_shr:2 row_mask:0xf bank_mask:0xf
	v_mov_b32_dpp v14, v12 row_shr:2 row_mask:0xf bank_mask:0xf
	v_add_f64 v[11:12], v[11:12], v[13:14]
	v_mov_b32_dpp v13, v24 row_shr:1 row_mask:0xf bank_mask:0xf
	v_mov_b32_dpp v14, v25 row_shr:1 row_mask:0xf bank_mask:0xf
	v_add_f64 v[13:14], v[24:25], v[13:14]
	v_mov_b32_dpp v37, v18 row_shr:1 row_mask:0xf bank_mask:0xf
	;; [unrolled: 10-line block ×3, first 2 shown]
	v_mov_b32_dpp v20, v16 row_shr:2 row_mask:0xf bank_mask:0xf
	v_add_f64 v[15:16], v[15:16], v[19:20]
	v_mov_b32_dpp v22, v9 row_shr:8 row_mask:0xf bank_mask:0xc
	v_mov_b32_dpp v23, v10 row_shr:8 row_mask:0xf bank_mask:0xc
	v_add_f64 v[9:10], v[9:10], v[22:23]
	v_mov_b32_dpp v22, v11 row_shr:8 row_mask:0xf bank_mask:0xc
	;; [unrolled: 3-line block ×5, first 2 shown]
	v_mov_b32_dpp v23, v27 row_shr:1 row_mask:0xf bank_mask:0xf
	v_add_f64 v[22:23], v[26:27], v[22:23]
	v_mov_b32_dpp v19, v9 row_bcast:15 row_mask:0xa bank_mask:0xf
	v_mov_b32_dpp v24, v13 row_shr:8 row_mask:0xf bank_mask:0xc
	v_mov_b32_dpp v25, v14 row_shr:8 row_mask:0xf bank_mask:0xc
	v_add_f64 v[13:14], v[13:14], v[24:25]
	v_mov_b32_dpp v24, v15 row_shr:8 row_mask:0xf bank_mask:0xc
	v_mov_b32_dpp v25, v16 row_shr:8 row_mask:0xf bank_mask:0xc
	v_add_f64 v[15:16], v[15:16], v[24:25]
	;; [unrolled: 3-line block ×3, first 2 shown]
	v_mov_b32_dpp v20, v10 row_bcast:15 row_mask:0xa bank_mask:0xf
	v_add_f64 v[9:10], v[9:10], v[19:20]
	v_mov_b32_dpp v19, v11 row_bcast:15 row_mask:0xa bank_mask:0xf
	v_mov_b32_dpp v20, v12 row_bcast:15 row_mask:0xa bank_mask:0xf
	v_add_f64 v[11:12], v[11:12], v[19:20]
	v_mov_b32_dpp v19, v13 row_bcast:15 row_mask:0xa bank_mask:0xf
	;; [unrolled: 3-line block ×3, first 2 shown]
	v_mov_b32_dpp v20, v16 row_bcast:15 row_mask:0xa bank_mask:0xf
	v_add_f64 v[15:16], v[15:16], v[19:20]
	v_mov_b32_dpp v19, v22 row_shr:4 row_mask:0xf bank_mask:0xe
	v_mov_b32_dpp v20, v23 row_shr:4 row_mask:0xf bank_mask:0xe
	v_add_f64 v[28:29], v[22:23], v[19:20]
	v_add_f64 v[17:18], v[17:18], v[36:37]
	v_mov_b32_dpp v36, v30 row_shr:1 row_mask:0xf bank_mask:0xf
	v_mov_b32_dpp v37, v31 row_shr:1 row_mask:0xf bank_mask:0xf
	v_add_f64 v[30:31], v[30:31], v[36:37]
	v_mov_b32_dpp v36, v32 row_shr:1 row_mask:0xf bank_mask:0xf
	v_mov_b32_dpp v37, v33 row_shr:1 row_mask:0xf bank_mask:0xf
	v_add_f64 v[32:33], v[32:33], v[36:37]
	v_mov_b32_dpp v34, v28 row_shr:8 row_mask:0xf bank_mask:0xc
	v_mov_b32_dpp v35, v29 row_shr:8 row_mask:0xf bank_mask:0xc
	v_add_f64 v[28:29], v[28:29], v[34:35]
	v_mov_b32_dpp v34, v17 row_shr:2 row_mask:0xf bank_mask:0xf
	v_mov_b32_dpp v35, v18 row_shr:2 row_mask:0xf bank_mask:0xf
	v_add_f64 v[17:18], v[17:18], v[34:35]
	v_mov_b32_dpp v34, v30 row_shr:2 row_mask:0xf bank_mask:0xf
	v_mov_b32_dpp v35, v31 row_shr:2 row_mask:0xf bank_mask:0xf
	v_add_f64 v[30:31], v[30:31], v[34:35]
	v_mov_b32_dpp v34, v32 row_shr:2 row_mask:0xf bank_mask:0xf
	v_mov_b32_dpp v35, v33 row_shr:2 row_mask:0xf bank_mask:0xf
	v_add_f64 v[32:33], v[32:33], v[34:35]
	v_mov_b32_dpp v34, v28 row_bcast:15 row_mask:0xa bank_mask:0xf
	v_mov_b32_dpp v35, v17 row_shr:4 row_mask:0xf bank_mask:0xe
	v_mov_b32_dpp v36, v18 row_shr:4 row_mask:0xf bank_mask:0xe
	v_add_f64 v[17:18], v[17:18], v[35:36]
	v_mov_b32_dpp v35, v30 row_shr:4 row_mask:0xf bank_mask:0xe
	v_mov_b32_dpp v36, v31 row_shr:4 row_mask:0xf bank_mask:0xe
	v_add_f64 v[30:31], v[30:31], v[35:36]
	;; [unrolled: 3-line block ×3, first 2 shown]
	v_mov_b32_dpp v35, v29 row_bcast:15 row_mask:0xa bank_mask:0xf
	v_mov_b32_dpp v36, v17 row_shr:8 row_mask:0xf bank_mask:0xc
	v_mov_b32_dpp v37, v18 row_shr:8 row_mask:0xf bank_mask:0xc
	v_add_f64 v[36:37], v[17:18], v[36:37]
	v_mov_b32_dpp v17, v30 row_shr:8 row_mask:0xf bank_mask:0xc
	v_mov_b32_dpp v18, v31 row_shr:8 row_mask:0xf bank_mask:0xc
	v_add_f64 v[30:31], v[30:31], v[17:18]
	;; [unrolled: 3-line block ×3, first 2 shown]
	v_add_f64 v[17:18], v[28:29], v[34:35]
	v_mov_b32_dpp v28, v36 row_bcast:15 row_mask:0xa bank_mask:0xf
	v_mov_b32_dpp v29, v37 row_bcast:15 row_mask:0xa bank_mask:0xf
	v_add_f64 v[28:29], v[36:37], v[28:29]
	v_mov_b32_dpp v34, v30 row_bcast:15 row_mask:0xa bank_mask:0xf
	v_mov_b32_dpp v35, v31 row_bcast:15 row_mask:0xa bank_mask:0xf
	;; [unrolled: 3-line block ×4, first 2 shown]
	v_mov_b32_dpp v24, v11 row_bcast:31 row_mask:0xc bank_mask:0xf
	v_mov_b32_dpp v25, v12 row_bcast:31 row_mask:0xc bank_mask:0xf
	;; [unrolled: 1-line block ×14, first 2 shown]
	v_cmp_eq_u32_e32 vcc, 63, v0
	s_and_b64 exec, exec, vcc
	s_cbranch_execz .LBB19_8
; %bb.36:
	v_add_f64 v[11:12], v[11:12], v[24:25]
	v_add_f64 v[22:23], v[13:14], v[22:23]
	;; [unrolled: 1-line block ×8, first 2 shown]
	v_mul_f64 v[19:20], v[11:12], -v[7:8]
	v_mul_f64 v[11:12], v[5:6], v[11:12]
	v_mul_f64 v[28:29], v[13:14], -v[7:8]
	v_mul_f64 v[30:31], v[5:6], v[13:14]
	;; [unrolled: 2-line block ×4, first 2 shown]
	v_cmp_eq_f64_e32 vcc, 0, v[1:2]
	v_cmp_eq_f64_e64 s[0:1], 0, v[3:4]
	v_fma_f64 v[17:18], v[5:6], v[9:10], v[19:20]
	v_fma_f64 v[19:20], v[7:8], v[9:10], v[11:12]
	;; [unrolled: 1-line block ×8, first 2 shown]
	s_load_dwordx2 s[2:3], s[4:5], 0x60
	s_and_b64 s[0:1], vcc, s[0:1]
	v_lshlrev_b32_e32 v21, 2, v21
	s_and_saveexec_b64 s[4:5], s[0:1]
	s_xor_b64 s[0:1], exec, s[4:5]
	s_cbranch_execz .LBB19_38
; %bb.37:
	v_ashrrev_i32_e32 v22, 31, v21
	v_lshlrev_b64 v[0:1], 4, v[21:22]
	s_waitcnt lgkmcnt(0)
	v_mov_b32_e32 v2, s3
	v_add_co_u32_e32 v0, vcc, s2, v0
	v_addc_co_u32_e32 v1, vcc, v2, v1, vcc
	global_store_dwordx4 v[0:1], v[17:20], off
	global_store_dwordx4 v[0:1], v[13:16], off offset:16
	global_store_dwordx4 v[0:1], v[9:12], off offset:32
	;; [unrolled: 1-line block ×3, first 2 shown]
                                        ; implicit-def: $vgpr3_vgpr4
                                        ; implicit-def: $vgpr17_vgpr18
                                        ; implicit-def: $vgpr21
                                        ; implicit-def: $vgpr13_vgpr14
                                        ; implicit-def: $vgpr9_vgpr10
                                        ; implicit-def: $vgpr5_vgpr6
.LBB19_38:
	s_andn2_saveexec_b64 s[0:1], s[0:1]
	s_cbranch_execz .LBB19_8
; %bb.39:
	v_ashrrev_i32_e32 v22, 31, v21
	v_lshlrev_b64 v[21:22], 4, v[21:22]
	s_waitcnt lgkmcnt(0)
	v_mov_b32_e32 v0, s3
	v_add_co_u32_e32 v37, vcc, s2, v21
	v_addc_co_u32_e32 v38, vcc, v0, v22, vcc
	global_load_dwordx4 v[21:24], v[37:38], off
	global_load_dwordx4 v[25:28], v[37:38], off offset:16
	global_load_dwordx4 v[29:32], v[37:38], off offset:32
	;; [unrolled: 1-line block ×3, first 2 shown]
	s_waitcnt vmcnt(3)
	v_fma_f64 v[17:18], v[1:2], v[21:22], v[17:18]
	v_fma_f64 v[19:20], v[3:4], v[21:22], v[19:20]
	s_waitcnt vmcnt(2)
	v_fma_f64 v[13:14], v[1:2], v[25:26], v[13:14]
	v_fma_f64 v[15:16], v[3:4], v[25:26], v[15:16]
	;; [unrolled: 3-line block ×4, first 2 shown]
	v_fma_f64 v[5:6], -v[3:4], v[23:24], v[17:18]
	v_fma_f64 v[7:8], v[1:2], v[23:24], v[19:20]
	v_fma_f64 v[9:10], -v[3:4], v[27:28], v[13:14]
	v_fma_f64 v[11:12], v[1:2], v[27:28], v[15:16]
	;; [unrolled: 2-line block ×4, first 2 shown]
	global_store_dwordx4 v[37:38], v[5:8], off
	global_store_dwordx4 v[37:38], v[9:12], off offset:16
	global_store_dwordx4 v[37:38], v[13:16], off offset:32
	;; [unrolled: 1-line block ×3, first 2 shown]
	s_endpgm
	.section	.rodata,"a",@progbits
	.p2align	6, 0x0
	.amdhsa_kernel _ZN9rocsparseL18bsrxmvn_4x4_kernelILj128ELj64E21rocsparse_complex_numIdEiiS2_S2_S2_EEvT3_20rocsparse_direction_NS_24const_host_device_scalarIT1_EES3_PKS3_PKT2_SC_S9_PKT4_PKT5_S7_PT6_21rocsparse_index_base_b
		.amdhsa_group_segment_fixed_size 0
		.amdhsa_private_segment_fixed_size 0
		.amdhsa_kernarg_size 112
		.amdhsa_user_sgpr_count 6
		.amdhsa_user_sgpr_private_segment_buffer 1
		.amdhsa_user_sgpr_dispatch_ptr 0
		.amdhsa_user_sgpr_queue_ptr 0
		.amdhsa_user_sgpr_kernarg_segment_ptr 1
		.amdhsa_user_sgpr_dispatch_id 0
		.amdhsa_user_sgpr_flat_scratch_init 0
		.amdhsa_user_sgpr_private_segment_size 0
		.amdhsa_uses_dynamic_stack 0
		.amdhsa_system_sgpr_private_segment_wavefront_offset 0
		.amdhsa_system_sgpr_workgroup_id_x 1
		.amdhsa_system_sgpr_workgroup_id_y 0
		.amdhsa_system_sgpr_workgroup_id_z 0
		.amdhsa_system_sgpr_workgroup_info 0
		.amdhsa_system_vgpr_workitem_id 0
		.amdhsa_next_free_vgpr 83
		.amdhsa_next_free_sgpr 20
		.amdhsa_reserve_vcc 1
		.amdhsa_reserve_flat_scratch 0
		.amdhsa_float_round_mode_32 0
		.amdhsa_float_round_mode_16_64 0
		.amdhsa_float_denorm_mode_32 3
		.amdhsa_float_denorm_mode_16_64 3
		.amdhsa_dx10_clamp 1
		.amdhsa_ieee_mode 1
		.amdhsa_fp16_overflow 0
		.amdhsa_exception_fp_ieee_invalid_op 0
		.amdhsa_exception_fp_denorm_src 0
		.amdhsa_exception_fp_ieee_div_zero 0
		.amdhsa_exception_fp_ieee_overflow 0
		.amdhsa_exception_fp_ieee_underflow 0
		.amdhsa_exception_fp_ieee_inexact 0
		.amdhsa_exception_int_div_zero 0
	.end_amdhsa_kernel
	.section	.text._ZN9rocsparseL18bsrxmvn_4x4_kernelILj128ELj64E21rocsparse_complex_numIdEiiS2_S2_S2_EEvT3_20rocsparse_direction_NS_24const_host_device_scalarIT1_EES3_PKS3_PKT2_SC_S9_PKT4_PKT5_S7_PT6_21rocsparse_index_base_b,"axG",@progbits,_ZN9rocsparseL18bsrxmvn_4x4_kernelILj128ELj64E21rocsparse_complex_numIdEiiS2_S2_S2_EEvT3_20rocsparse_direction_NS_24const_host_device_scalarIT1_EES3_PKS3_PKT2_SC_S9_PKT4_PKT5_S7_PT6_21rocsparse_index_base_b,comdat
.Lfunc_end19:
	.size	_ZN9rocsparseL18bsrxmvn_4x4_kernelILj128ELj64E21rocsparse_complex_numIdEiiS2_S2_S2_EEvT3_20rocsparse_direction_NS_24const_host_device_scalarIT1_EES3_PKS3_PKT2_SC_S9_PKT4_PKT5_S7_PT6_21rocsparse_index_base_b, .Lfunc_end19-_ZN9rocsparseL18bsrxmvn_4x4_kernelILj128ELj64E21rocsparse_complex_numIdEiiS2_S2_S2_EEvT3_20rocsparse_direction_NS_24const_host_device_scalarIT1_EES3_PKS3_PKT2_SC_S9_PKT4_PKT5_S7_PT6_21rocsparse_index_base_b
                                        ; -- End function
	.set _ZN9rocsparseL18bsrxmvn_4x4_kernelILj128ELj64E21rocsparse_complex_numIdEiiS2_S2_S2_EEvT3_20rocsparse_direction_NS_24const_host_device_scalarIT1_EES3_PKS3_PKT2_SC_S9_PKT4_PKT5_S7_PT6_21rocsparse_index_base_b.num_vgpr, 83
	.set _ZN9rocsparseL18bsrxmvn_4x4_kernelILj128ELj64E21rocsparse_complex_numIdEiiS2_S2_S2_EEvT3_20rocsparse_direction_NS_24const_host_device_scalarIT1_EES3_PKS3_PKT2_SC_S9_PKT4_PKT5_S7_PT6_21rocsparse_index_base_b.num_agpr, 0
	.set _ZN9rocsparseL18bsrxmvn_4x4_kernelILj128ELj64E21rocsparse_complex_numIdEiiS2_S2_S2_EEvT3_20rocsparse_direction_NS_24const_host_device_scalarIT1_EES3_PKS3_PKT2_SC_S9_PKT4_PKT5_S7_PT6_21rocsparse_index_base_b.numbered_sgpr, 20
	.set _ZN9rocsparseL18bsrxmvn_4x4_kernelILj128ELj64E21rocsparse_complex_numIdEiiS2_S2_S2_EEvT3_20rocsparse_direction_NS_24const_host_device_scalarIT1_EES3_PKS3_PKT2_SC_S9_PKT4_PKT5_S7_PT6_21rocsparse_index_base_b.num_named_barrier, 0
	.set _ZN9rocsparseL18bsrxmvn_4x4_kernelILj128ELj64E21rocsparse_complex_numIdEiiS2_S2_S2_EEvT3_20rocsparse_direction_NS_24const_host_device_scalarIT1_EES3_PKS3_PKT2_SC_S9_PKT4_PKT5_S7_PT6_21rocsparse_index_base_b.private_seg_size, 0
	.set _ZN9rocsparseL18bsrxmvn_4x4_kernelILj128ELj64E21rocsparse_complex_numIdEiiS2_S2_S2_EEvT3_20rocsparse_direction_NS_24const_host_device_scalarIT1_EES3_PKS3_PKT2_SC_S9_PKT4_PKT5_S7_PT6_21rocsparse_index_base_b.uses_vcc, 1
	.set _ZN9rocsparseL18bsrxmvn_4x4_kernelILj128ELj64E21rocsparse_complex_numIdEiiS2_S2_S2_EEvT3_20rocsparse_direction_NS_24const_host_device_scalarIT1_EES3_PKS3_PKT2_SC_S9_PKT4_PKT5_S7_PT6_21rocsparse_index_base_b.uses_flat_scratch, 0
	.set _ZN9rocsparseL18bsrxmvn_4x4_kernelILj128ELj64E21rocsparse_complex_numIdEiiS2_S2_S2_EEvT3_20rocsparse_direction_NS_24const_host_device_scalarIT1_EES3_PKS3_PKT2_SC_S9_PKT4_PKT5_S7_PT6_21rocsparse_index_base_b.has_dyn_sized_stack, 0
	.set _ZN9rocsparseL18bsrxmvn_4x4_kernelILj128ELj64E21rocsparse_complex_numIdEiiS2_S2_S2_EEvT3_20rocsparse_direction_NS_24const_host_device_scalarIT1_EES3_PKS3_PKT2_SC_S9_PKT4_PKT5_S7_PT6_21rocsparse_index_base_b.has_recursion, 0
	.set _ZN9rocsparseL18bsrxmvn_4x4_kernelILj128ELj64E21rocsparse_complex_numIdEiiS2_S2_S2_EEvT3_20rocsparse_direction_NS_24const_host_device_scalarIT1_EES3_PKS3_PKT2_SC_S9_PKT4_PKT5_S7_PT6_21rocsparse_index_base_b.has_indirect_call, 0
	.section	.AMDGPU.csdata,"",@progbits
; Kernel info:
; codeLenInByte = 10520
; TotalNumSgprs: 24
; NumVgprs: 83
; ScratchSize: 0
; MemoryBound: 1
; FloatMode: 240
; IeeeMode: 1
; LDSByteSize: 0 bytes/workgroup (compile time only)
; SGPRBlocks: 2
; VGPRBlocks: 20
; NumSGPRsForWavesPerEU: 24
; NumVGPRsForWavesPerEU: 83
; Occupancy: 3
; WaveLimiterHint : 1
; COMPUTE_PGM_RSRC2:SCRATCH_EN: 0
; COMPUTE_PGM_RSRC2:USER_SGPR: 6
; COMPUTE_PGM_RSRC2:TRAP_HANDLER: 0
; COMPUTE_PGM_RSRC2:TGID_X_EN: 1
; COMPUTE_PGM_RSRC2:TGID_Y_EN: 0
; COMPUTE_PGM_RSRC2:TGID_Z_EN: 0
; COMPUTE_PGM_RSRC2:TIDIG_COMP_CNT: 0
	.section	.text._ZN9rocsparseL18bsrxmvn_4x4_kernelILj128ELj4EflifffEEvT3_20rocsparse_direction_NS_24const_host_device_scalarIT1_EES1_PKS1_PKT2_SA_S7_PKT4_PKT5_S5_PT6_21rocsparse_index_base_b,"axG",@progbits,_ZN9rocsparseL18bsrxmvn_4x4_kernelILj128ELj4EflifffEEvT3_20rocsparse_direction_NS_24const_host_device_scalarIT1_EES1_PKS1_PKT2_SA_S7_PKT4_PKT5_S5_PT6_21rocsparse_index_base_b,comdat
	.globl	_ZN9rocsparseL18bsrxmvn_4x4_kernelILj128ELj4EflifffEEvT3_20rocsparse_direction_NS_24const_host_device_scalarIT1_EES1_PKS1_PKT2_SA_S7_PKT4_PKT5_S5_PT6_21rocsparse_index_base_b ; -- Begin function _ZN9rocsparseL18bsrxmvn_4x4_kernelILj128ELj4EflifffEEvT3_20rocsparse_direction_NS_24const_host_device_scalarIT1_EES1_PKS1_PKT2_SA_S7_PKT4_PKT5_S5_PT6_21rocsparse_index_base_b
	.p2align	8
	.type	_ZN9rocsparseL18bsrxmvn_4x4_kernelILj128ELj4EflifffEEvT3_20rocsparse_direction_NS_24const_host_device_scalarIT1_EES1_PKS1_PKT2_SA_S7_PKT4_PKT5_S5_PT6_21rocsparse_index_base_b,@function
_ZN9rocsparseL18bsrxmvn_4x4_kernelILj128ELj4EflifffEEvT3_20rocsparse_direction_NS_24const_host_device_scalarIT1_EES1_PKS1_PKT2_SA_S7_PKT4_PKT5_S5_PT6_21rocsparse_index_base_b: ; @_ZN9rocsparseL18bsrxmvn_4x4_kernelILj128ELj4EflifffEEvT3_20rocsparse_direction_NS_24const_host_device_scalarIT1_EES1_PKS1_PKT2_SA_S7_PKT4_PKT5_S5_PT6_21rocsparse_index_base_b
; %bb.0:
	s_load_dwordx2 s[20:21], s[4:5], 0x58
	s_load_dwordx2 s[18:19], s[4:5], 0x8
	;; [unrolled: 1-line block ×3, first 2 shown]
	s_waitcnt lgkmcnt(0)
	s_bitcmp1_b32 s21, 0
	s_cselect_b64 s[2:3], -1, 0
	s_xor_b64 s[0:1], s[2:3], -1
	s_and_b64 vcc, exec, s[2:3]
	s_cbranch_vccnz .LBB20_2
; %bb.1:
	s_load_dword s18, s[18:19], 0x0
.LBB20_2:
	s_andn2_b64 vcc, exec, s[0:1]
	s_cbranch_vccnz .LBB20_4
; %bb.3:
	s_load_dword s16, s[16:17], 0x0
.LBB20_4:
	s_waitcnt lgkmcnt(0)
	v_cmp_neq_f32_e64 s[0:1], s18, 0
	v_cmp_neq_f32_e64 s[2:3], s16, 1.0
	s_or_b64 s[0:1], s[0:1], s[2:3]
	s_andn2_b64 vcc, exec, s[0:1]
	s_cbranch_vccnz .LBB20_10
; %bb.5:
	s_load_dwordx2 s[8:9], s[4:5], 0x18
	s_load_dwordx2 s[0:1], s[4:5], 0x0
	v_lshrrev_b32_e32 v1, 2, v0
	v_lshl_or_b32 v4, s6, 5, v1
	s_mov_b64 s[2:3], 0
	s_waitcnt lgkmcnt(0)
	s_cmp_lg_u64 s[8:9], 0
	s_cbranch_scc0 .LBB20_11
; %bb.6:
	s_load_dword s6, s[4:5], 0x10
                                        ; implicit-def: $vgpr1
	s_waitcnt lgkmcnt(0)
	v_cmp_gt_i32_e32 vcc, s6, v4
	s_and_saveexec_b64 s[6:7], vcc
	s_xor_b64 s[6:7], exec, s[6:7]
	s_cbranch_execz .LBB20_8
; %bb.7:
	v_ashrrev_i32_e32 v5, 31, v4
	v_lshlrev_b64 v[1:2], 2, v[4:5]
	v_mov_b32_e32 v3, s9
	v_add_co_u32_e32 v1, vcc, s8, v1
	v_addc_co_u32_e32 v2, vcc, v3, v2, vcc
	global_load_dword v1, v[1:2], off
	s_mov_b64 s[2:3], exec
	s_waitcnt vmcnt(0)
	v_subrev_u32_e32 v1, s20, v1
.LBB20_8:
	s_or_b64 exec, exec, s[6:7]
	s_branch .LBB20_12
.LBB20_9:
	v_cmp_gt_i32_e32 vcc, s0, v4
	s_andn2_b64 s[2:3], s[2:3], exec
	s_and_b64 s[6:7], vcc, exec
	s_or_b64 s[2:3], s[2:3], s[6:7]
	s_and_saveexec_b64 s[6:7], s[2:3]
	s_cbranch_execnz .LBB20_13
.LBB20_10:
	s_endpgm
.LBB20_11:
                                        ; implicit-def: $vgpr1
	s_cbranch_execnz .LBB20_9
.LBB20_12:
	v_mov_b32_e32 v4, v1
	s_and_saveexec_b64 s[6:7], s[2:3]
	s_cbranch_execz .LBB20_10
.LBB20_13:
	s_load_dwordx8 s[8:15], s[4:5], 0x20
	v_ashrrev_i32_e32 v5, 31, v4
	v_lshlrev_b64 v[1:2], 3, v[4:5]
	v_and_b32_e32 v21, 3, v0
	s_load_dwordx2 s[6:7], s[4:5], 0x40
	s_waitcnt lgkmcnt(0)
	v_mov_b32_e32 v3, s9
	v_add_co_u32_e32 v5, vcc, s8, v1
	v_addc_co_u32_e32 v6, vcc, v3, v2, vcc
	v_add_co_u32_e32 v3, vcc, 8, v5
	global_load_dwordx2 v[9:10], v[5:6], off
	v_addc_co_u32_e32 v5, vcc, 0, v6, vcc
	v_mov_b32_e32 v6, s11
	v_add_co_u32_e32 v1, vcc, s10, v1
	s_cmp_eq_u64 s[10:11], 0
	v_addc_co_u32_e32 v2, vcc, v6, v2, vcc
	s_cselect_b64 vcc, -1, 0
	v_cndmask_b32_e32 v2, v2, v5, vcc
	v_cndmask_b32_e32 v1, v1, v3, vcc
	global_load_dwordx2 v[2:3], v[1:2], off
	v_mov_b32_e32 v8, s15
	s_cmp_eq_u32 s1, 1
	v_mov_b32_e32 v7, 0
	s_waitcnt vmcnt(1)
	v_subrev_co_u32_e32 v0, vcc, s20, v9
	v_subbrev_co_u32_e32 v1, vcc, 0, v10, vcc
	v_add_co_u32_e32 v0, vcc, v0, v21
	v_addc_co_u32_e32 v1, vcc, 0, v1, vcc
	v_lshlrev_b64 v[5:6], 6, v[0:1]
	s_waitcnt vmcnt(0)
	v_subrev_co_u32_e32 v2, vcc, s20, v2
	v_subbrev_co_u32_e32 v3, vcc, 0, v3, vcc
	v_cmp_lt_i64_e64 s[0:1], v[0:1], v[2:3]
	v_add_co_u32_e32 v5, vcc, s14, v5
	v_addc_co_u32_e32 v6, vcc, v8, v6, vcc
	s_cbranch_scc1 .LBB20_25
; %bb.14:
	v_mov_b32_e32 v22, 0
	v_mov_b32_e32 v23, 0
	;; [unrolled: 1-line block ×3, first 2 shown]
	s_and_saveexec_b64 s[8:9], s[0:1]
	s_cbranch_execz .LBB20_24
; %bb.15:
	v_or_b32_e32 v7, 4, v21
	v_subrev_co_u32_e32 v7, vcc, s20, v7
	v_subb_co_u32_e64 v8, s[2:3], 0, 0, vcc
	v_add_co_u32_e32 v7, vcc, v7, v9
	v_addc_co_u32_e32 v8, vcc, v8, v10, vcc
	v_cmp_gt_i64_e32 vcc, v[7:8], v[2:3]
	v_not_b32_e32 v12, v9
	v_cndmask_b32_e32 v8, v3, v8, vcc
	v_cndmask_b32_e32 v7, v2, v7, vcc
	v_sub_co_u32_e32 v13, vcc, s20, v21
	v_not_b32_e32 v11, v10
	v_subb_co_u32_e64 v14, s[2:3], 0, 0, vcc
	v_add_co_u32_e32 v12, vcc, v13, v12
	v_addc_co_u32_e32 v11, vcc, v14, v11, vcc
	v_add_co_u32_e32 v15, vcc, v12, v7
	v_addc_co_u32_e32 v16, vcc, v11, v8, vcc
	v_and_b32_e32 v7, 12, v15
	v_mov_b32_e32 v8, 0
	v_cmp_ne_u64_e32 vcc, 12, v[7:8]
	v_mov_b32_e32 v12, v1
	v_mov_b32_e32 v14, v6
	;; [unrolled: 1-line block ×7, first 2 shown]
	s_and_saveexec_b64 s[10:11], vcc
	s_cbranch_execz .LBB20_19
; %bb.16:
	v_lshlrev_b64 v[11:12], 2, v[0:1]
	v_lshrrev_b32_e32 v7, 2, v15
	v_add_u32_e32 v7, 1, v7
	v_mov_b32_e32 v13, s13
	v_add_co_u32_e32 v17, vcc, s12, v11
	v_and_b32_e32 v8, 3, v7
	v_addc_co_u32_e32 v18, vcc, v13, v12, vcc
	v_sub_co_u32_e32 v19, vcc, 0, v8
	v_mov_b32_e32 v14, v6
	v_mov_b32_e32 v12, v1
	;; [unrolled: 1-line block ×3, first 2 shown]
	s_mov_b64 s[14:15], 0
	v_subb_co_u32_e64 v20, s[2:3], 0, 0, vcc
	s_movk_i32 s17, 0x100
	v_mov_b32_e32 v24, s7
	v_mov_b32_e32 v13, v5
	;; [unrolled: 1-line block ×6, first 2 shown]
.LBB20_17:                              ; =>This Inner Loop Header: Depth=1
	global_load_dword v41, v[17:18], off
	global_load_dwordx4 v[25:28], v[13:14], off
	global_load_dwordx4 v[29:32], v[13:14], off offset:16
	global_load_dwordx4 v[33:36], v[13:14], off offset:32
	;; [unrolled: 1-line block ×3, first 2 shown]
	v_add_co_u32_e64 v11, s[2:3], 4, v11
	v_addc_co_u32_e64 v12, s[2:3], 0, v12, s[2:3]
	v_add_co_u32_e64 v17, s[2:3], 16, v17
	v_addc_co_u32_e64 v18, s[2:3], 0, v18, s[2:3]
	;; [unrolled: 2-line block ×3, first 2 shown]
	v_cmp_eq_u64_e64 s[2:3], 0, v[19:20]
	s_or_b64 s[14:15], s[2:3], s[14:15]
	s_waitcnt vmcnt(4)
	v_subrev_u32_e32 v41, s20, v41
	v_lshlrev_b32_e32 v41, 2, v41
	v_ashrrev_i32_e32 v42, 31, v41
	v_lshlrev_b64 v[41:42], 2, v[41:42]
	v_add_co_u32_e32 v41, vcc, s6, v41
	v_addc_co_u32_e32 v42, vcc, v24, v42, vcc
	global_load_dwordx4 v[41:44], v[41:42], off
	v_add_co_u32_e32 v13, vcc, s17, v13
	v_addc_co_u32_e32 v14, vcc, 0, v14, vcc
	s_waitcnt vmcnt(0)
	v_fmac_f32_e32 v8, v25, v41
	v_fmac_f32_e32 v23, v29, v41
	;; [unrolled: 1-line block ×16, first 2 shown]
	s_andn2_b64 exec, exec, s[14:15]
	s_cbranch_execnz .LBB20_17
; %bb.18:
	s_or_b64 exec, exec, s[14:15]
.LBB20_19:
	s_or_b64 exec, exec, s[10:11]
	v_cmp_lt_u64_e32 vcc, 11, v[15:16]
	s_and_saveexec_b64 s[10:11], vcc
	s_cbranch_execz .LBB20_23
; %bb.20:
	v_lshlrev_b64 v[15:16], 2, v[11:12]
	v_mov_b32_e32 v17, s13
	v_add_co_u32_e32 v15, vcc, s12, v15
	v_addc_co_u32_e32 v16, vcc, v17, v16, vcc
	v_add_co_u32_e32 v15, vcc, 32, v15
	v_addc_co_u32_e32 v16, vcc, 0, v16, vcc
	s_mov_b64 s[14:15], 0
	v_mov_b32_e32 v17, s7
	s_movk_i32 s17, 0x400
.LBB20_21:                              ; =>This Inner Loop Header: Depth=1
	global_load_dword v18, v[15:16], off offset:-32
	global_load_dword v19, v[15:16], off offset:-16
	global_load_dwordx4 v[24:27], v[13:14], off offset:16
	global_load_dwordx4 v[28:31], v[13:14], off
	global_load_dwordx4 v[32:35], v[13:14], off offset:32
	global_load_dwordx4 v[36:39], v[13:14], off offset:48
	;; [unrolled: 1-line block ×3, first 2 shown]
	global_load_dword v20, v[15:16], off
	global_load_dword v54, v[15:16], off offset:16
	v_add_co_u32_e64 v11, s[2:3], 16, v11
	v_addc_co_u32_e64 v12, s[2:3], 0, v12, s[2:3]
	v_add_co_u32_e64 v15, s[2:3], 64, v15
	v_addc_co_u32_e64 v16, s[2:3], 0, v16, s[2:3]
	v_cmp_ge_i64_e64 s[2:3], v[11:12], v[2:3]
	s_or_b64 s[14:15], s[2:3], s[14:15]
	s_waitcnt vmcnt(8)
	v_subrev_u32_e32 v18, s20, v18
	s_waitcnt vmcnt(7)
	v_subrev_u32_e32 v19, s20, v19
	v_lshlrev_b32_e32 v18, 2, v18
	v_lshlrev_b32_e32 v44, 2, v19
	v_ashrrev_i32_e32 v19, 31, v18
	v_lshlrev_b64 v[18:19], 2, v[18:19]
	v_ashrrev_i32_e32 v45, 31, v44
	v_lshlrev_b64 v[44:45], 2, v[44:45]
	v_add_co_u32_e32 v18, vcc, s6, v18
	v_addc_co_u32_e32 v19, vcc, v17, v19, vcc
	v_add_co_u32_e32 v52, vcc, s6, v44
	v_addc_co_u32_e32 v53, vcc, v17, v45, vcc
	global_load_dwordx4 v[44:47], v[18:19], off
	global_load_dwordx4 v[48:51], v[52:53], off
	s_waitcnt vmcnt(3)
	v_subrev_u32_e32 v18, s20, v20
	s_waitcnt vmcnt(2)
	v_subrev_u32_e32 v19, s20, v54
	v_lshlrev_b32_e32 v18, 2, v18
	s_waitcnt vmcnt(1)
	v_fmac_f32_e32 v22, v32, v44
	v_fmac_f32_e32 v22, v33, v45
	;; [unrolled: 1-line block ×6, first 2 shown]
	global_load_dwordx4 v[32:35], v[13:14], off offset:304
	v_fmac_f32_e32 v8, v29, v45
	v_fmac_f32_e32 v23, v25, v45
	;; [unrolled: 1-line block ×5, first 2 shown]
	global_load_dwordx4 v[28:31], v[13:14], off offset:272
	v_fmac_f32_e32 v23, v27, v47
	global_load_dwordx4 v[24:27], v[13:14], off offset:288
	v_fmac_f32_e32 v7, v36, v44
	v_fmac_f32_e32 v7, v37, v45
	;; [unrolled: 1-line block ×4, first 2 shown]
	s_waitcnt vmcnt(3)
	v_fmac_f32_e32 v8, v40, v48
	v_fmac_f32_e32 v8, v41, v49
	;; [unrolled: 1-line block ×3, first 2 shown]
	global_load_dwordx4 v[36:39], v[13:14], off offset:528
	global_load_dwordx4 v[44:47], v[13:14], off offset:512
	v_fmac_f32_e32 v8, v43, v51
	global_load_dwordx4 v[40:43], v[13:14], off offset:544
	s_waitcnt vmcnt(5)
	v_fmac_f32_e32 v7, v32, v48
	v_lshlrev_b32_e32 v32, 2, v19
	v_ashrrev_i32_e32 v19, 31, v18
	v_lshlrev_b64 v[18:19], 2, v[18:19]
	v_fmac_f32_e32 v7, v33, v49
	v_ashrrev_i32_e32 v33, 31, v32
	s_waitcnt vmcnt(4)
	v_fmac_f32_e32 v23, v28, v48
	v_lshlrev_b64 v[32:33], 2, v[32:33]
	s_waitcnt vmcnt(3)
	v_fmac_f32_e32 v22, v24, v48
	v_add_co_u32_e32 v18, vcc, s6, v18
	v_fmac_f32_e32 v23, v29, v49
	v_fmac_f32_e32 v22, v25, v49
	v_addc_co_u32_e32 v19, vcc, v17, v19, vcc
	v_fmac_f32_e32 v23, v30, v50
	v_fmac_f32_e32 v22, v26, v50
	;; [unrolled: 1-line block ×3, first 2 shown]
	v_add_co_u32_e32 v52, vcc, s6, v32
	v_fmac_f32_e32 v23, v31, v51
	global_load_dwordx4 v[28:31], v[13:14], off offset:560
	v_fmac_f32_e32 v22, v27, v51
	global_load_dwordx4 v[24:27], v[13:14], off offset:784
	v_fmac_f32_e32 v7, v35, v51
	v_addc_co_u32_e32 v53, vcc, v17, v33, vcc
	global_load_dwordx4 v[32:35], v[18:19], off
	global_load_dwordx4 v[48:51], v[52:53], off
	s_waitcnt vmcnt(1)
	v_fmac_f32_e32 v8, v44, v32
	v_fmac_f32_e32 v23, v36, v32
	;; [unrolled: 1-line block ×10, first 2 shown]
	global_load_dwordx4 v[44:47], v[13:14], off offset:768
	v_fmac_f32_e32 v23, v39, v35
	global_load_dwordx4 v[36:39], v[13:14], off offset:800
	v_fmac_f32_e32 v22, v43, v35
	global_load_dwordx4 v[40:43], v[13:14], off offset:816
	v_fmac_f32_e32 v7, v28, v32
	v_fmac_f32_e32 v7, v29, v33
	v_fmac_f32_e32 v7, v30, v34
	;; [unrolled: 1-line block ×3, first 2 shown]
	s_waitcnt vmcnt(3)
	v_fmac_f32_e32 v23, v24, v48
	v_fmac_f32_e32 v23, v25, v49
	v_add_co_u32_e32 v13, vcc, s17, v13
	v_fmac_f32_e32 v23, v26, v50
	v_addc_co_u32_e32 v14, vcc, 0, v14, vcc
	v_fmac_f32_e32 v23, v27, v51
	s_waitcnt vmcnt(2)
	v_fmac_f32_e32 v8, v44, v48
	v_fmac_f32_e32 v8, v45, v49
	s_waitcnt vmcnt(1)
	v_fmac_f32_e32 v22, v36, v48
	;; [unrolled: 3-line block ×3, first 2 shown]
	v_fmac_f32_e32 v7, v41, v49
	v_fmac_f32_e32 v8, v46, v50
	;; [unrolled: 1-line block ×7, first 2 shown]
	s_andn2_b64 exec, exec, s[14:15]
	s_cbranch_execnz .LBB20_21
; %bb.22:
	s_or_b64 exec, exec, s[14:15]
.LBB20_23:
	s_or_b64 exec, exec, s[10:11]
.LBB20_24:
	s_or_b64 exec, exec, s[8:9]
	s_cbranch_execz .LBB20_26
	s_branch .LBB20_37
.LBB20_25:
                                        ; implicit-def: $vgpr7
                                        ; implicit-def: $vgpr22
                                        ; implicit-def: $vgpr23
                                        ; implicit-def: $vgpr8
.LBB20_26:
	v_mov_b32_e32 v7, 0
	v_mov_b32_e32 v22, 0
	;; [unrolled: 1-line block ×4, first 2 shown]
	s_and_saveexec_b64 s[2:3], s[0:1]
	s_cbranch_execz .LBB20_36
; %bb.27:
	v_or_b32_e32 v7, 4, v21
	v_subrev_co_u32_e32 v7, vcc, s20, v7
	v_subb_co_u32_e64 v8, s[0:1], 0, 0, vcc
	v_add_co_u32_e32 v7, vcc, v7, v9
	v_addc_co_u32_e32 v8, vcc, v8, v10, vcc
	v_cmp_gt_i64_e32 vcc, v[7:8], v[2:3]
	v_not_b32_e32 v9, v9
	v_cndmask_b32_e32 v8, v3, v8, vcc
	v_cndmask_b32_e32 v7, v2, v7, vcc
	v_sub_co_u32_e32 v11, vcc, s20, v21
	v_not_b32_e32 v10, v10
	v_subb_co_u32_e64 v12, s[0:1], 0, 0, vcc
	v_add_co_u32_e32 v9, vcc, v11, v9
	v_addc_co_u32_e32 v10, vcc, v12, v10, vcc
	v_add_co_u32_e32 v9, vcc, v9, v7
	v_addc_co_u32_e32 v10, vcc, v10, v8, vcc
	v_and_b32_e32 v7, 12, v9
	v_mov_b32_e32 v8, 0
	v_cmp_ne_u64_e32 vcc, 12, v[7:8]
	v_mov_b32_e32 v23, v8
	v_mov_b32_e32 v22, v8
	;; [unrolled: 1-line block ×3, first 2 shown]
	s_and_saveexec_b64 s[8:9], vcc
	s_cbranch_execz .LBB20_31
; %bb.28:
	v_lshlrev_b64 v[11:12], 2, v[0:1]
	v_lshrrev_b32_e32 v7, 2, v9
	v_add_u32_e32 v7, 1, v7
	v_mov_b32_e32 v13, s13
	v_add_co_u32_e32 v11, vcc, s12, v11
	v_and_b32_e32 v8, 3, v7
	v_addc_co_u32_e32 v12, vcc, v13, v12, vcc
	v_sub_co_u32_e32 v13, vcc, 0, v8
	v_mov_b32_e32 v7, 0
	s_mov_b64 s[10:11], 0
	v_subb_co_u32_e64 v14, s[0:1], 0, 0, vcc
	s_movk_i32 s14, 0x100
	v_mov_b32_e32 v15, s7
	v_mov_b32_e32 v22, 0
	;; [unrolled: 1-line block ×4, first 2 shown]
.LBB20_29:                              ; =>This Inner Loop Header: Depth=1
	global_load_dword v20, v[11:12], off
	global_load_dwordx4 v[16:19], v[5:6], off offset:32
	global_load_dwordx4 v[24:27], v[5:6], off offset:16
	global_load_dwordx4 v[28:31], v[5:6], off
	v_add_co_u32_e64 v0, s[0:1], 4, v0
	v_addc_co_u32_e64 v1, s[0:1], 0, v1, s[0:1]
	v_add_co_u32_e64 v11, s[0:1], 16, v11
	v_addc_co_u32_e64 v12, s[0:1], 0, v12, s[0:1]
	;; [unrolled: 2-line block ×3, first 2 shown]
	v_cmp_eq_u64_e64 s[0:1], 0, v[13:14]
	s_or_b64 s[10:11], s[0:1], s[10:11]
	s_waitcnt vmcnt(3)
	v_subrev_u32_e32 v20, s20, v20
	v_lshlrev_b32_e32 v32, 2, v20
	v_ashrrev_i32_e32 v33, 31, v32
	v_lshlrev_b64 v[32:33], 2, v[32:33]
	v_add_co_u32_e32 v40, vcc, s6, v32
	v_addc_co_u32_e32 v41, vcc, v15, v33, vcc
	global_load_dwordx4 v[32:35], v[40:41], off
	global_load_dwordx4 v[36:39], v[5:6], off offset:48
	v_add_co_u32_e32 v5, vcc, s14, v5
	v_addc_co_u32_e32 v6, vcc, 0, v6, vcc
	s_waitcnt vmcnt(1)
	v_fmac_f32_e32 v8, v28, v32
	v_fmac_f32_e32 v23, v29, v32
	v_fmac_f32_e32 v22, v30, v32
	v_fmac_f32_e32 v7, v31, v32
	v_fmac_f32_e32 v8, v24, v33
	v_fmac_f32_e32 v23, v25, v33
	v_fmac_f32_e32 v22, v26, v33
	v_fmac_f32_e32 v7, v27, v33
	v_fmac_f32_e32 v8, v16, v34
	v_fmac_f32_e32 v23, v17, v34
	v_fmac_f32_e32 v22, v18, v34
	v_fmac_f32_e32 v7, v19, v34
	s_waitcnt vmcnt(0)
	v_fmac_f32_e32 v8, v36, v35
	v_fmac_f32_e32 v23, v37, v35
	;; [unrolled: 1-line block ×4, first 2 shown]
	s_andn2_b64 exec, exec, s[10:11]
	s_cbranch_execnz .LBB20_29
; %bb.30:
	s_or_b64 exec, exec, s[10:11]
.LBB20_31:
	s_or_b64 exec, exec, s[8:9]
	v_cmp_lt_u64_e32 vcc, 11, v[9:10]
	s_and_saveexec_b64 s[8:9], vcc
	s_cbranch_execz .LBB20_35
; %bb.32:
	v_lshlrev_b64 v[9:10], 2, v[0:1]
	v_mov_b32_e32 v11, s13
	v_add_co_u32_e32 v9, vcc, s12, v9
	v_addc_co_u32_e32 v10, vcc, v11, v10, vcc
	v_add_co_u32_e32 v9, vcc, 32, v9
	v_addc_co_u32_e32 v10, vcc, 0, v10, vcc
	s_mov_b64 s[10:11], 0
	v_mov_b32_e32 v11, s7
	s_movk_i32 s7, 0x400
.LBB20_33:                              ; =>This Inner Loop Header: Depth=1
	global_load_dword v20, v[9:10], off offset:-32
	global_load_dword v36, v[9:10], off offset:-16
	global_load_dwordx4 v[12:15], v[5:6], off offset:16
	global_load_dwordx4 v[16:19], v[5:6], off
	global_load_dword v48, v[9:10], off
	global_load_dword v49, v[9:10], off offset:16
	global_load_dwordx4 v[24:27], v[5:6], off offset:32
	global_load_dwordx4 v[28:31], v[5:6], off offset:48
	;; [unrolled: 1-line block ×3, first 2 shown]
	v_add_co_u32_e64 v0, s[0:1], 16, v0
	v_addc_co_u32_e64 v1, s[0:1], 0, v1, s[0:1]
	v_add_co_u32_e64 v9, s[0:1], 64, v9
	v_addc_co_u32_e64 v10, s[0:1], 0, v10, s[0:1]
	v_cmp_ge_i64_e64 s[0:1], v[0:1], v[2:3]
	s_or_b64 s[10:11], s[0:1], s[10:11]
	s_waitcnt vmcnt(8)
	v_subrev_u32_e32 v20, s20, v20
	s_waitcnt vmcnt(7)
	v_subrev_u32_e32 v37, s20, v36
	v_lshlrev_b32_e32 v36, 2, v20
	v_lshlrev_b32_e32 v38, 2, v37
	v_ashrrev_i32_e32 v37, 31, v36
	v_lshlrev_b64 v[36:37], 2, v[36:37]
	v_ashrrev_i32_e32 v39, 31, v38
	v_lshlrev_b64 v[38:39], 2, v[38:39]
	v_add_co_u32_e32 v44, vcc, s6, v36
	v_addc_co_u32_e32 v45, vcc, v11, v37, vcc
	v_add_co_u32_e32 v46, vcc, s6, v38
	v_addc_co_u32_e32 v47, vcc, v11, v39, vcc
	global_load_dwordx4 v[36:39], v[44:45], off
	global_load_dwordx4 v[40:43], v[46:47], off
	s_waitcnt vmcnt(6)
	v_subrev_u32_e32 v20, s20, v48
	s_waitcnt vmcnt(1)
	v_fmac_f32_e32 v8, v16, v36
	v_fmac_f32_e32 v23, v17, v36
	v_fmac_f32_e32 v22, v18, v36
	v_fmac_f32_e32 v7, v19, v36
	global_load_dwordx4 v[16:19], v[5:6], off offset:272
	v_fmac_f32_e32 v8, v12, v37
	v_fmac_f32_e32 v23, v13, v37
	v_fmac_f32_e32 v22, v14, v37
	v_fmac_f32_e32 v7, v15, v37
	global_load_dwordx4 v[12:15], v[5:6], off offset:288
	;; [unrolled: 5-line block ×3, first 2 shown]
	v_fmac_f32_e32 v8, v28, v39
	v_fmac_f32_e32 v23, v29, v39
	s_waitcnt vmcnt(3)
	v_fmac_f32_e32 v8, v32, v40
	v_fmac_f32_e32 v22, v30, v39
	;; [unrolled: 1-line block ×6, first 2 shown]
	v_subrev_u32_e32 v40, s20, v49
	global_load_dwordx4 v[28:31], v[5:6], off offset:544
	global_load_dwordx4 v[36:39], v[5:6], off offset:528
	;; [unrolled: 1-line block ×3, first 2 shown]
	s_waitcnt vmcnt(5)
	v_fmac_f32_e32 v8, v16, v41
	v_fmac_f32_e32 v23, v17, v41
	;; [unrolled: 1-line block ×4, first 2 shown]
	global_load_dwordx4 v[16:19], v[5:6], off offset:560
	s_waitcnt vmcnt(5)
	v_fmac_f32_e32 v8, v12, v42
	v_fmac_f32_e32 v23, v13, v42
	;; [unrolled: 1-line block ×4, first 2 shown]
	global_load_dwordx4 v[12:15], v[5:6], off offset:768
	s_waitcnt vmcnt(5)
	v_fmac_f32_e32 v8, v24, v43
	v_lshlrev_b32_e32 v24, 2, v20
	v_fmac_f32_e32 v23, v25, v43
	v_ashrrev_i32_e32 v25, 31, v24
	v_fmac_f32_e32 v22, v26, v43
	v_lshlrev_b32_e32 v26, 2, v40
	v_lshlrev_b64 v[24:25], 2, v[24:25]
	v_fmac_f32_e32 v7, v27, v43
	v_ashrrev_i32_e32 v27, 31, v26
	v_lshlrev_b64 v[26:27], 2, v[26:27]
	v_add_co_u32_e32 v44, vcc, s6, v24
	v_addc_co_u32_e32 v45, vcc, v11, v25, vcc
	v_add_co_u32_e32 v46, vcc, s6, v26
	v_addc_co_u32_e32 v47, vcc, v11, v27, vcc
	global_load_dwordx4 v[24:27], v[44:45], off
	global_load_dwordx4 v[40:43], v[46:47], off
	s_waitcnt vmcnt(1)
	v_fmac_f32_e32 v8, v32, v24
	v_fmac_f32_e32 v23, v33, v24
	v_fmac_f32_e32 v22, v34, v24
	v_fmac_f32_e32 v7, v35, v24
	global_load_dwordx4 v[32:35], v[5:6], off offset:784
	v_fmac_f32_e32 v8, v36, v25
	v_fmac_f32_e32 v23, v37, v25
	v_fmac_f32_e32 v22, v38, v25
	v_fmac_f32_e32 v7, v39, v25
	global_load_dwordx4 v[36:39], v[5:6], off offset:800
	;; [unrolled: 5-line block ×3, first 2 shown]
	v_fmac_f32_e32 v8, v16, v27
	v_fmac_f32_e32 v23, v17, v27
	;; [unrolled: 1-line block ×4, first 2 shown]
	s_waitcnt vmcnt(3)
	v_fmac_f32_e32 v8, v12, v40
	v_fmac_f32_e32 v23, v13, v40
	;; [unrolled: 1-line block ×4, first 2 shown]
	v_add_co_u32_e32 v5, vcc, s7, v5
	v_addc_co_u32_e32 v6, vcc, 0, v6, vcc
	s_waitcnt vmcnt(2)
	v_fmac_f32_e32 v8, v32, v41
	v_fmac_f32_e32 v23, v33, v41
	v_fmac_f32_e32 v22, v34, v41
	v_fmac_f32_e32 v7, v35, v41
	s_waitcnt vmcnt(1)
	v_fmac_f32_e32 v8, v36, v42
	v_fmac_f32_e32 v23, v37, v42
	v_fmac_f32_e32 v22, v38, v42
	v_fmac_f32_e32 v7, v39, v42
	;; [unrolled: 5-line block ×3, first 2 shown]
	s_andn2_b64 exec, exec, s[10:11]
	s_cbranch_execnz .LBB20_33
; %bb.34:
	s_or_b64 exec, exec, s[10:11]
.LBB20_35:
	s_or_b64 exec, exec, s[8:9]
.LBB20_36:
	s_or_b64 exec, exec, s[2:3]
.LBB20_37:
	v_mov_b32_dpp v0, v8 row_shr:1 row_mask:0xf bank_mask:0xf
	v_add_f32_e32 v0, v8, v0
	v_mov_b32_dpp v2, v23 row_shr:1 row_mask:0xf bank_mask:0xf
	v_mov_b32_dpp v5, v22 row_shr:1 row_mask:0xf bank_mask:0xf
	v_mov_b32_dpp v8, v7 row_shr:1 row_mask:0xf bank_mask:0xf
	v_add_f32_e32 v2, v23, v2
	v_add_f32_e32 v5, v22, v5
	;; [unrolled: 1-line block ×3, first 2 shown]
	v_mov_b32_dpp v1, v0 row_shr:2 row_mask:0xf bank_mask:0xf
	v_mov_b32_dpp v3, v2 row_shr:2 row_mask:0xf bank_mask:0xf
	;; [unrolled: 1-line block ×4, first 2 shown]
	v_cmp_eq_u32_e32 vcc, 3, v21
	s_and_b64 exec, exec, vcc
	s_cbranch_execz .LBB20_10
; %bb.38:
	s_load_dwordx2 s[0:1], s[4:5], 0x50
	v_add_f32_e32 v0, v0, v1
	v_add_f32_e32 v1, v2, v3
	;; [unrolled: 1-line block ×4, first 2 shown]
	v_cmp_eq_f32_e64 s[2:3], s16, 0
	s_and_b64 vcc, exec, s[2:3]
	v_mul_f32_e32 v0, s18, v0
	v_mul_f32_e32 v1, s18, v1
	;; [unrolled: 1-line block ×4, first 2 shown]
	v_lshlrev_b32_e32 v4, 2, v4
	s_cbranch_vccz .LBB20_40
; %bb.39:
	v_ashrrev_i32_e32 v5, 31, v4
	v_lshlrev_b64 v[5:6], 2, v[4:5]
	s_waitcnt lgkmcnt(0)
	v_mov_b32_e32 v7, s1
	v_add_co_u32_e32 v5, vcc, s0, v5
	v_addc_co_u32_e32 v6, vcc, v7, v6, vcc
	global_store_dwordx4 v[5:6], v[0:3], off
	s_cbranch_execnz .LBB20_10
	s_branch .LBB20_41
.LBB20_40:
.LBB20_41:
	v_ashrrev_i32_e32 v5, 31, v4
	v_lshlrev_b64 v[4:5], 2, v[4:5]
	s_waitcnt lgkmcnt(0)
	v_mov_b32_e32 v6, s1
	v_add_co_u32_e32 v8, vcc, s0, v4
	v_addc_co_u32_e32 v9, vcc, v6, v5, vcc
	global_load_dwordx4 v[4:7], v[8:9], off
	s_waitcnt vmcnt(0)
	v_fmac_f32_e32 v0, s16, v4
	v_fmac_f32_e32 v1, s16, v5
	;; [unrolled: 1-line block ×4, first 2 shown]
	global_store_dwordx4 v[8:9], v[0:3], off
	s_endpgm
	.section	.rodata,"a",@progbits
	.p2align	6, 0x0
	.amdhsa_kernel _ZN9rocsparseL18bsrxmvn_4x4_kernelILj128ELj4EflifffEEvT3_20rocsparse_direction_NS_24const_host_device_scalarIT1_EES1_PKS1_PKT2_SA_S7_PKT4_PKT5_S5_PT6_21rocsparse_index_base_b
		.amdhsa_group_segment_fixed_size 0
		.amdhsa_private_segment_fixed_size 0
		.amdhsa_kernarg_size 96
		.amdhsa_user_sgpr_count 6
		.amdhsa_user_sgpr_private_segment_buffer 1
		.amdhsa_user_sgpr_dispatch_ptr 0
		.amdhsa_user_sgpr_queue_ptr 0
		.amdhsa_user_sgpr_kernarg_segment_ptr 1
		.amdhsa_user_sgpr_dispatch_id 0
		.amdhsa_user_sgpr_flat_scratch_init 0
		.amdhsa_user_sgpr_private_segment_size 0
		.amdhsa_uses_dynamic_stack 0
		.amdhsa_system_sgpr_private_segment_wavefront_offset 0
		.amdhsa_system_sgpr_workgroup_id_x 1
		.amdhsa_system_sgpr_workgroup_id_y 0
		.amdhsa_system_sgpr_workgroup_id_z 0
		.amdhsa_system_sgpr_workgroup_info 0
		.amdhsa_system_vgpr_workitem_id 0
		.amdhsa_next_free_vgpr 55
		.amdhsa_next_free_sgpr 22
		.amdhsa_reserve_vcc 1
		.amdhsa_reserve_flat_scratch 0
		.amdhsa_float_round_mode_32 0
		.amdhsa_float_round_mode_16_64 0
		.amdhsa_float_denorm_mode_32 3
		.amdhsa_float_denorm_mode_16_64 3
		.amdhsa_dx10_clamp 1
		.amdhsa_ieee_mode 1
		.amdhsa_fp16_overflow 0
		.amdhsa_exception_fp_ieee_invalid_op 0
		.amdhsa_exception_fp_denorm_src 0
		.amdhsa_exception_fp_ieee_div_zero 0
		.amdhsa_exception_fp_ieee_overflow 0
		.amdhsa_exception_fp_ieee_underflow 0
		.amdhsa_exception_fp_ieee_inexact 0
		.amdhsa_exception_int_div_zero 0
	.end_amdhsa_kernel
	.section	.text._ZN9rocsparseL18bsrxmvn_4x4_kernelILj128ELj4EflifffEEvT3_20rocsparse_direction_NS_24const_host_device_scalarIT1_EES1_PKS1_PKT2_SA_S7_PKT4_PKT5_S5_PT6_21rocsparse_index_base_b,"axG",@progbits,_ZN9rocsparseL18bsrxmvn_4x4_kernelILj128ELj4EflifffEEvT3_20rocsparse_direction_NS_24const_host_device_scalarIT1_EES1_PKS1_PKT2_SA_S7_PKT4_PKT5_S5_PT6_21rocsparse_index_base_b,comdat
.Lfunc_end20:
	.size	_ZN9rocsparseL18bsrxmvn_4x4_kernelILj128ELj4EflifffEEvT3_20rocsparse_direction_NS_24const_host_device_scalarIT1_EES1_PKS1_PKT2_SA_S7_PKT4_PKT5_S5_PT6_21rocsparse_index_base_b, .Lfunc_end20-_ZN9rocsparseL18bsrxmvn_4x4_kernelILj128ELj4EflifffEEvT3_20rocsparse_direction_NS_24const_host_device_scalarIT1_EES1_PKS1_PKT2_SA_S7_PKT4_PKT5_S5_PT6_21rocsparse_index_base_b
                                        ; -- End function
	.set _ZN9rocsparseL18bsrxmvn_4x4_kernelILj128ELj4EflifffEEvT3_20rocsparse_direction_NS_24const_host_device_scalarIT1_EES1_PKS1_PKT2_SA_S7_PKT4_PKT5_S5_PT6_21rocsparse_index_base_b.num_vgpr, 55
	.set _ZN9rocsparseL18bsrxmvn_4x4_kernelILj128ELj4EflifffEEvT3_20rocsparse_direction_NS_24const_host_device_scalarIT1_EES1_PKS1_PKT2_SA_S7_PKT4_PKT5_S5_PT6_21rocsparse_index_base_b.num_agpr, 0
	.set _ZN9rocsparseL18bsrxmvn_4x4_kernelILj128ELj4EflifffEEvT3_20rocsparse_direction_NS_24const_host_device_scalarIT1_EES1_PKS1_PKT2_SA_S7_PKT4_PKT5_S5_PT6_21rocsparse_index_base_b.numbered_sgpr, 22
	.set _ZN9rocsparseL18bsrxmvn_4x4_kernelILj128ELj4EflifffEEvT3_20rocsparse_direction_NS_24const_host_device_scalarIT1_EES1_PKS1_PKT2_SA_S7_PKT4_PKT5_S5_PT6_21rocsparse_index_base_b.num_named_barrier, 0
	.set _ZN9rocsparseL18bsrxmvn_4x4_kernelILj128ELj4EflifffEEvT3_20rocsparse_direction_NS_24const_host_device_scalarIT1_EES1_PKS1_PKT2_SA_S7_PKT4_PKT5_S5_PT6_21rocsparse_index_base_b.private_seg_size, 0
	.set _ZN9rocsparseL18bsrxmvn_4x4_kernelILj128ELj4EflifffEEvT3_20rocsparse_direction_NS_24const_host_device_scalarIT1_EES1_PKS1_PKT2_SA_S7_PKT4_PKT5_S5_PT6_21rocsparse_index_base_b.uses_vcc, 1
	.set _ZN9rocsparseL18bsrxmvn_4x4_kernelILj128ELj4EflifffEEvT3_20rocsparse_direction_NS_24const_host_device_scalarIT1_EES1_PKS1_PKT2_SA_S7_PKT4_PKT5_S5_PT6_21rocsparse_index_base_b.uses_flat_scratch, 0
	.set _ZN9rocsparseL18bsrxmvn_4x4_kernelILj128ELj4EflifffEEvT3_20rocsparse_direction_NS_24const_host_device_scalarIT1_EES1_PKS1_PKT2_SA_S7_PKT4_PKT5_S5_PT6_21rocsparse_index_base_b.has_dyn_sized_stack, 0
	.set _ZN9rocsparseL18bsrxmvn_4x4_kernelILj128ELj4EflifffEEvT3_20rocsparse_direction_NS_24const_host_device_scalarIT1_EES1_PKS1_PKT2_SA_S7_PKT4_PKT5_S5_PT6_21rocsparse_index_base_b.has_recursion, 0
	.set _ZN9rocsparseL18bsrxmvn_4x4_kernelILj128ELj4EflifffEEvT3_20rocsparse_direction_NS_24const_host_device_scalarIT1_EES1_PKS1_PKT2_SA_S7_PKT4_PKT5_S5_PT6_21rocsparse_index_base_b.has_indirect_call, 0
	.section	.AMDGPU.csdata,"",@progbits
; Kernel info:
; codeLenInByte = 3088
; TotalNumSgprs: 26
; NumVgprs: 55
; ScratchSize: 0
; MemoryBound: 0
; FloatMode: 240
; IeeeMode: 1
; LDSByteSize: 0 bytes/workgroup (compile time only)
; SGPRBlocks: 3
; VGPRBlocks: 13
; NumSGPRsForWavesPerEU: 26
; NumVGPRsForWavesPerEU: 55
; Occupancy: 4
; WaveLimiterHint : 1
; COMPUTE_PGM_RSRC2:SCRATCH_EN: 0
; COMPUTE_PGM_RSRC2:USER_SGPR: 6
; COMPUTE_PGM_RSRC2:TRAP_HANDLER: 0
; COMPUTE_PGM_RSRC2:TGID_X_EN: 1
; COMPUTE_PGM_RSRC2:TGID_Y_EN: 0
; COMPUTE_PGM_RSRC2:TGID_Z_EN: 0
; COMPUTE_PGM_RSRC2:TIDIG_COMP_CNT: 0
	.section	.text._ZN9rocsparseL18bsrxmvn_4x4_kernelILj128ELj8EflifffEEvT3_20rocsparse_direction_NS_24const_host_device_scalarIT1_EES1_PKS1_PKT2_SA_S7_PKT4_PKT5_S5_PT6_21rocsparse_index_base_b,"axG",@progbits,_ZN9rocsparseL18bsrxmvn_4x4_kernelILj128ELj8EflifffEEvT3_20rocsparse_direction_NS_24const_host_device_scalarIT1_EES1_PKS1_PKT2_SA_S7_PKT4_PKT5_S5_PT6_21rocsparse_index_base_b,comdat
	.globl	_ZN9rocsparseL18bsrxmvn_4x4_kernelILj128ELj8EflifffEEvT3_20rocsparse_direction_NS_24const_host_device_scalarIT1_EES1_PKS1_PKT2_SA_S7_PKT4_PKT5_S5_PT6_21rocsparse_index_base_b ; -- Begin function _ZN9rocsparseL18bsrxmvn_4x4_kernelILj128ELj8EflifffEEvT3_20rocsparse_direction_NS_24const_host_device_scalarIT1_EES1_PKS1_PKT2_SA_S7_PKT4_PKT5_S5_PT6_21rocsparse_index_base_b
	.p2align	8
	.type	_ZN9rocsparseL18bsrxmvn_4x4_kernelILj128ELj8EflifffEEvT3_20rocsparse_direction_NS_24const_host_device_scalarIT1_EES1_PKS1_PKT2_SA_S7_PKT4_PKT5_S5_PT6_21rocsparse_index_base_b,@function
_ZN9rocsparseL18bsrxmvn_4x4_kernelILj128ELj8EflifffEEvT3_20rocsparse_direction_NS_24const_host_device_scalarIT1_EES1_PKS1_PKT2_SA_S7_PKT4_PKT5_S5_PT6_21rocsparse_index_base_b: ; @_ZN9rocsparseL18bsrxmvn_4x4_kernelILj128ELj8EflifffEEvT3_20rocsparse_direction_NS_24const_host_device_scalarIT1_EES1_PKS1_PKT2_SA_S7_PKT4_PKT5_S5_PT6_21rocsparse_index_base_b
; %bb.0:
	s_load_dwordx2 s[20:21], s[4:5], 0x58
	s_load_dwordx2 s[18:19], s[4:5], 0x8
	;; [unrolled: 1-line block ×3, first 2 shown]
	s_waitcnt lgkmcnt(0)
	s_bitcmp1_b32 s21, 0
	s_cselect_b64 s[2:3], -1, 0
	s_xor_b64 s[0:1], s[2:3], -1
	s_and_b64 vcc, exec, s[2:3]
	s_cbranch_vccnz .LBB21_2
; %bb.1:
	s_load_dword s18, s[18:19], 0x0
.LBB21_2:
	s_andn2_b64 vcc, exec, s[0:1]
	s_cbranch_vccnz .LBB21_4
; %bb.3:
	s_load_dword s16, s[16:17], 0x0
.LBB21_4:
	s_waitcnt lgkmcnt(0)
	v_cmp_neq_f32_e64 s[0:1], s18, 0
	v_cmp_neq_f32_e64 s[2:3], s16, 1.0
	s_or_b64 s[0:1], s[0:1], s[2:3]
	s_andn2_b64 vcc, exec, s[0:1]
	s_cbranch_vccnz .LBB21_10
; %bb.5:
	s_load_dwordx2 s[8:9], s[4:5], 0x18
	s_load_dwordx2 s[0:1], s[4:5], 0x0
	v_lshrrev_b32_e32 v1, 3, v0
	v_lshl_or_b32 v4, s6, 4, v1
	s_mov_b64 s[2:3], 0
	s_waitcnt lgkmcnt(0)
	s_cmp_lg_u64 s[8:9], 0
	s_cbranch_scc0 .LBB21_11
; %bb.6:
	s_load_dword s6, s[4:5], 0x10
                                        ; implicit-def: $vgpr1
	s_waitcnt lgkmcnt(0)
	v_cmp_gt_i32_e32 vcc, s6, v4
	s_and_saveexec_b64 s[6:7], vcc
	s_xor_b64 s[6:7], exec, s[6:7]
	s_cbranch_execz .LBB21_8
; %bb.7:
	v_ashrrev_i32_e32 v5, 31, v4
	v_lshlrev_b64 v[1:2], 2, v[4:5]
	v_mov_b32_e32 v3, s9
	v_add_co_u32_e32 v1, vcc, s8, v1
	v_addc_co_u32_e32 v2, vcc, v3, v2, vcc
	global_load_dword v1, v[1:2], off
	s_mov_b64 s[2:3], exec
	s_waitcnt vmcnt(0)
	v_subrev_u32_e32 v1, s20, v1
.LBB21_8:
	s_or_b64 exec, exec, s[6:7]
	s_branch .LBB21_12
.LBB21_9:
	v_cmp_gt_i32_e32 vcc, s0, v4
	s_andn2_b64 s[2:3], s[2:3], exec
	s_and_b64 s[6:7], vcc, exec
	s_or_b64 s[2:3], s[2:3], s[6:7]
	s_and_saveexec_b64 s[6:7], s[2:3]
	s_cbranch_execnz .LBB21_13
.LBB21_10:
	s_endpgm
.LBB21_11:
                                        ; implicit-def: $vgpr1
	s_cbranch_execnz .LBB21_9
.LBB21_12:
	v_mov_b32_e32 v4, v1
	s_and_saveexec_b64 s[6:7], s[2:3]
	s_cbranch_execz .LBB21_10
.LBB21_13:
	s_load_dwordx8 s[8:15], s[4:5], 0x20
	v_ashrrev_i32_e32 v5, 31, v4
	v_lshlrev_b64 v[1:2], 3, v[4:5]
	v_and_b32_e32 v21, 7, v0
	s_load_dwordx2 s[6:7], s[4:5], 0x40
	s_waitcnt lgkmcnt(0)
	v_mov_b32_e32 v3, s9
	v_add_co_u32_e32 v5, vcc, s8, v1
	v_addc_co_u32_e32 v6, vcc, v3, v2, vcc
	v_add_co_u32_e32 v3, vcc, 8, v5
	global_load_dwordx2 v[9:10], v[5:6], off
	v_addc_co_u32_e32 v5, vcc, 0, v6, vcc
	v_mov_b32_e32 v6, s11
	v_add_co_u32_e32 v1, vcc, s10, v1
	s_cmp_eq_u64 s[10:11], 0
	v_addc_co_u32_e32 v2, vcc, v6, v2, vcc
	s_cselect_b64 vcc, -1, 0
	v_cndmask_b32_e32 v2, v2, v5, vcc
	v_cndmask_b32_e32 v1, v1, v3, vcc
	global_load_dwordx2 v[2:3], v[1:2], off
	v_mov_b32_e32 v8, s15
	s_cmp_eq_u32 s1, 1
	v_mov_b32_e32 v7, 0
	s_waitcnt vmcnt(1)
	v_subrev_co_u32_e32 v0, vcc, s20, v9
	v_subbrev_co_u32_e32 v1, vcc, 0, v10, vcc
	v_add_co_u32_e32 v0, vcc, v0, v21
	v_addc_co_u32_e32 v1, vcc, 0, v1, vcc
	v_lshlrev_b64 v[5:6], 6, v[0:1]
	s_waitcnt vmcnt(0)
	v_subrev_co_u32_e32 v2, vcc, s20, v2
	v_subbrev_co_u32_e32 v3, vcc, 0, v3, vcc
	v_cmp_lt_i64_e64 s[0:1], v[0:1], v[2:3]
	v_add_co_u32_e32 v5, vcc, s14, v5
	v_addc_co_u32_e32 v6, vcc, v8, v6, vcc
	s_cbranch_scc1 .LBB21_25
; %bb.14:
	v_mov_b32_e32 v22, 0
	v_mov_b32_e32 v23, 0
	v_mov_b32_e32 v8, 0
	s_and_saveexec_b64 s[8:9], s[0:1]
	s_cbranch_execz .LBB21_24
; %bb.15:
	v_or_b32_e32 v7, 8, v21
	v_subrev_co_u32_e32 v7, vcc, s20, v7
	v_subb_co_u32_e64 v8, s[2:3], 0, 0, vcc
	v_add_co_u32_e32 v7, vcc, v7, v9
	v_addc_co_u32_e32 v8, vcc, v8, v10, vcc
	v_cmp_gt_i64_e32 vcc, v[7:8], v[2:3]
	v_not_b32_e32 v12, v9
	v_cndmask_b32_e32 v8, v3, v8, vcc
	v_cndmask_b32_e32 v7, v2, v7, vcc
	v_sub_co_u32_e32 v13, vcc, s20, v21
	v_not_b32_e32 v11, v10
	v_subb_co_u32_e64 v14, s[2:3], 0, 0, vcc
	v_add_co_u32_e32 v12, vcc, v13, v12
	v_addc_co_u32_e32 v11, vcc, v14, v11, vcc
	v_add_co_u32_e32 v15, vcc, v12, v7
	v_addc_co_u32_e32 v16, vcc, v11, v8, vcc
	v_and_b32_e32 v7, 24, v15
	v_mov_b32_e32 v8, 0
	v_cmp_ne_u64_e32 vcc, 24, v[7:8]
	v_mov_b32_e32 v12, v1
	v_mov_b32_e32 v14, v6
	;; [unrolled: 1-line block ×7, first 2 shown]
	s_and_saveexec_b64 s[10:11], vcc
	s_cbranch_execz .LBB21_19
; %bb.16:
	v_lshlrev_b64 v[11:12], 2, v[0:1]
	v_lshrrev_b32_e32 v7, 3, v15
	v_add_u32_e32 v7, 1, v7
	v_mov_b32_e32 v13, s13
	v_add_co_u32_e32 v17, vcc, s12, v11
	v_and_b32_e32 v8, 3, v7
	v_addc_co_u32_e32 v18, vcc, v13, v12, vcc
	v_sub_co_u32_e32 v19, vcc, 0, v8
	v_mov_b32_e32 v14, v6
	v_mov_b32_e32 v12, v1
	;; [unrolled: 1-line block ×3, first 2 shown]
	s_mov_b64 s[14:15], 0
	v_subb_co_u32_e64 v20, s[2:3], 0, 0, vcc
	s_movk_i32 s17, 0x200
	v_mov_b32_e32 v24, s7
	v_mov_b32_e32 v13, v5
	;; [unrolled: 1-line block ×6, first 2 shown]
.LBB21_17:                              ; =>This Inner Loop Header: Depth=1
	global_load_dword v41, v[17:18], off
	global_load_dwordx4 v[25:28], v[13:14], off
	global_load_dwordx4 v[29:32], v[13:14], off offset:16
	global_load_dwordx4 v[33:36], v[13:14], off offset:32
	;; [unrolled: 1-line block ×3, first 2 shown]
	v_add_co_u32_e64 v11, s[2:3], 8, v11
	v_addc_co_u32_e64 v12, s[2:3], 0, v12, s[2:3]
	v_add_co_u32_e64 v17, s[2:3], 32, v17
	v_addc_co_u32_e64 v18, s[2:3], 0, v18, s[2:3]
	;; [unrolled: 2-line block ×3, first 2 shown]
	v_cmp_eq_u64_e64 s[2:3], 0, v[19:20]
	s_or_b64 s[14:15], s[2:3], s[14:15]
	s_waitcnt vmcnt(4)
	v_subrev_u32_e32 v41, s20, v41
	v_lshlrev_b32_e32 v41, 2, v41
	v_ashrrev_i32_e32 v42, 31, v41
	v_lshlrev_b64 v[41:42], 2, v[41:42]
	v_add_co_u32_e32 v41, vcc, s6, v41
	v_addc_co_u32_e32 v42, vcc, v24, v42, vcc
	global_load_dwordx4 v[41:44], v[41:42], off
	v_add_co_u32_e32 v13, vcc, s17, v13
	v_addc_co_u32_e32 v14, vcc, 0, v14, vcc
	s_waitcnt vmcnt(0)
	v_fmac_f32_e32 v8, v25, v41
	v_fmac_f32_e32 v23, v29, v41
	;; [unrolled: 1-line block ×16, first 2 shown]
	s_andn2_b64 exec, exec, s[14:15]
	s_cbranch_execnz .LBB21_17
; %bb.18:
	s_or_b64 exec, exec, s[14:15]
.LBB21_19:
	s_or_b64 exec, exec, s[10:11]
	v_cmp_lt_u64_e32 vcc, 23, v[15:16]
	s_and_saveexec_b64 s[10:11], vcc
	s_cbranch_execz .LBB21_23
; %bb.20:
	v_lshlrev_b64 v[15:16], 2, v[11:12]
	v_mov_b32_e32 v17, s13
	v_add_co_u32_e32 v15, vcc, s12, v15
	v_addc_co_u32_e32 v16, vcc, v17, v16, vcc
	v_add_co_u32_e32 v15, vcc, 64, v15
	v_addc_co_u32_e32 v16, vcc, 0, v16, vcc
	s_mov_b64 s[14:15], 0
	v_mov_b32_e32 v17, s7
	s_movk_i32 s17, 0x800
.LBB21_21:                              ; =>This Inner Loop Header: Depth=1
	global_load_dword v18, v[15:16], off offset:-64
	global_load_dword v19, v[15:16], off offset:-32
	global_load_dwordx4 v[24:27], v[13:14], off offset:16
	global_load_dwordx4 v[28:31], v[13:14], off
	global_load_dwordx4 v[32:35], v[13:14], off offset:32
	global_load_dwordx4 v[36:39], v[13:14], off offset:48
	;; [unrolled: 1-line block ×3, first 2 shown]
	global_load_dword v20, v[15:16], off
	global_load_dword v54, v[15:16], off offset:32
	s_waitcnt vmcnt(8)
	v_subrev_u32_e32 v18, s20, v18
	s_waitcnt vmcnt(7)
	v_subrev_u32_e32 v19, s20, v19
	v_lshlrev_b32_e32 v18, 2, v18
	v_lshlrev_b32_e32 v44, 2, v19
	v_ashrrev_i32_e32 v19, 31, v18
	v_lshlrev_b64 v[18:19], 2, v[18:19]
	v_ashrrev_i32_e32 v45, 31, v44
	v_lshlrev_b64 v[44:45], 2, v[44:45]
	v_add_co_u32_e32 v18, vcc, s6, v18
	v_addc_co_u32_e32 v19, vcc, v17, v19, vcc
	v_add_co_u32_e32 v52, vcc, s6, v44
	v_addc_co_u32_e32 v53, vcc, v17, v45, vcc
	global_load_dwordx4 v[44:47], v[18:19], off
	global_load_dwordx4 v[48:51], v[52:53], off
	s_waitcnt vmcnt(3)
	v_subrev_u32_e32 v18, s20, v20
	s_waitcnt vmcnt(2)
	v_subrev_u32_e32 v19, s20, v54
	v_lshlrev_b32_e32 v18, 2, v18
	s_waitcnt vmcnt(1)
	v_fmac_f32_e32 v22, v32, v44
	v_fmac_f32_e32 v22, v33, v45
	;; [unrolled: 1-line block ×6, first 2 shown]
	global_load_dwordx4 v[32:35], v[13:14], off offset:560
	v_fmac_f32_e32 v8, v29, v45
	v_fmac_f32_e32 v23, v25, v45
	v_fmac_f32_e32 v8, v30, v46
	v_fmac_f32_e32 v23, v26, v46
	v_fmac_f32_e32 v8, v31, v47
	global_load_dwordx4 v[28:31], v[13:14], off offset:528
	v_fmac_f32_e32 v23, v27, v47
	global_load_dwordx4 v[24:27], v[13:14], off offset:544
	v_fmac_f32_e32 v7, v36, v44
	v_fmac_f32_e32 v7, v37, v45
	;; [unrolled: 1-line block ×4, first 2 shown]
	s_waitcnt vmcnt(3)
	v_fmac_f32_e32 v8, v40, v48
	v_fmac_f32_e32 v8, v41, v49
	;; [unrolled: 1-line block ×3, first 2 shown]
	global_load_dwordx4 v[36:39], v[13:14], off offset:1040
	global_load_dwordx4 v[44:47], v[13:14], off offset:1024
	v_fmac_f32_e32 v8, v43, v51
	global_load_dwordx4 v[40:43], v[13:14], off offset:1056
	s_waitcnt vmcnt(5)
	v_fmac_f32_e32 v7, v32, v48
	v_lshlrev_b32_e32 v32, 2, v19
	v_ashrrev_i32_e32 v19, 31, v18
	v_lshlrev_b64 v[18:19], 2, v[18:19]
	v_fmac_f32_e32 v7, v33, v49
	v_ashrrev_i32_e32 v33, 31, v32
	s_waitcnt vmcnt(4)
	v_fmac_f32_e32 v23, v28, v48
	v_lshlrev_b64 v[32:33], 2, v[32:33]
	s_waitcnt vmcnt(3)
	v_fmac_f32_e32 v22, v24, v48
	v_add_co_u32_e32 v18, vcc, s6, v18
	v_fmac_f32_e32 v23, v29, v49
	v_fmac_f32_e32 v22, v25, v49
	v_addc_co_u32_e32 v19, vcc, v17, v19, vcc
	v_fmac_f32_e32 v23, v30, v50
	v_fmac_f32_e32 v22, v26, v50
	;; [unrolled: 1-line block ×3, first 2 shown]
	v_add_co_u32_e32 v52, vcc, s6, v32
	v_fmac_f32_e32 v23, v31, v51
	global_load_dwordx4 v[28:31], v[13:14], off offset:1072
	v_fmac_f32_e32 v22, v27, v51
	global_load_dwordx4 v[24:27], v[13:14], off offset:1552
	v_fmac_f32_e32 v7, v35, v51
	v_addc_co_u32_e32 v53, vcc, v17, v33, vcc
	global_load_dwordx4 v[32:35], v[18:19], off
	global_load_dwordx4 v[48:51], v[52:53], off
	s_waitcnt vmcnt(1)
	v_fmac_f32_e32 v8, v44, v32
	v_fmac_f32_e32 v23, v36, v32
	;; [unrolled: 1-line block ×10, first 2 shown]
	global_load_dwordx4 v[44:47], v[13:14], off offset:1536
	v_fmac_f32_e32 v23, v39, v35
	global_load_dwordx4 v[36:39], v[13:14], off offset:1568
	v_fmac_f32_e32 v22, v43, v35
	;; [unrolled: 2-line block ×3, first 2 shown]
	v_fmac_f32_e32 v7, v29, v33
	v_add_co_u32_e32 v13, vcc, s17, v13
	v_fmac_f32_e32 v7, v30, v34
	s_mov_b64 s[2:3], vcc
	v_add_co_u32_e32 v11, vcc, 32, v11
	v_fmac_f32_e32 v7, v31, v35
	v_addc_co_u32_e32 v12, vcc, 0, v12, vcc
	v_addc_co_u32_e64 v14, s[2:3], 0, v14, s[2:3]
	s_waitcnt vmcnt(3)
	v_fmac_f32_e32 v23, v24, v48
	v_cmp_ge_i64_e64 s[2:3], v[11:12], v[2:3]
	v_fmac_f32_e32 v23, v25, v49
	v_add_co_u32_e32 v15, vcc, 0x80, v15
	v_fmac_f32_e32 v23, v26, v50
	v_addc_co_u32_e32 v16, vcc, 0, v16, vcc
	s_or_b64 s[14:15], s[2:3], s[14:15]
	v_fmac_f32_e32 v23, v27, v51
	s_waitcnt vmcnt(2)
	v_fmac_f32_e32 v8, v44, v48
	v_fmac_f32_e32 v8, v45, v49
	s_waitcnt vmcnt(1)
	v_fmac_f32_e32 v22, v36, v48
	;; [unrolled: 3-line block ×3, first 2 shown]
	v_fmac_f32_e32 v7, v41, v49
	v_fmac_f32_e32 v8, v46, v50
	;; [unrolled: 1-line block ×7, first 2 shown]
	s_andn2_b64 exec, exec, s[14:15]
	s_cbranch_execnz .LBB21_21
; %bb.22:
	s_or_b64 exec, exec, s[14:15]
.LBB21_23:
	s_or_b64 exec, exec, s[10:11]
.LBB21_24:
	s_or_b64 exec, exec, s[8:9]
	s_cbranch_execz .LBB21_26
	s_branch .LBB21_37
.LBB21_25:
                                        ; implicit-def: $vgpr7
                                        ; implicit-def: $vgpr22
                                        ; implicit-def: $vgpr23
                                        ; implicit-def: $vgpr8
.LBB21_26:
	v_mov_b32_e32 v7, 0
	v_mov_b32_e32 v22, 0
	;; [unrolled: 1-line block ×4, first 2 shown]
	s_and_saveexec_b64 s[2:3], s[0:1]
	s_cbranch_execz .LBB21_36
; %bb.27:
	v_or_b32_e32 v7, 8, v21
	v_subrev_co_u32_e32 v7, vcc, s20, v7
	v_subb_co_u32_e64 v8, s[0:1], 0, 0, vcc
	v_add_co_u32_e32 v7, vcc, v7, v9
	v_addc_co_u32_e32 v8, vcc, v8, v10, vcc
	v_cmp_gt_i64_e32 vcc, v[7:8], v[2:3]
	v_not_b32_e32 v9, v9
	v_cndmask_b32_e32 v8, v3, v8, vcc
	v_cndmask_b32_e32 v7, v2, v7, vcc
	v_sub_co_u32_e32 v11, vcc, s20, v21
	v_not_b32_e32 v10, v10
	v_subb_co_u32_e64 v12, s[0:1], 0, 0, vcc
	v_add_co_u32_e32 v9, vcc, v11, v9
	v_addc_co_u32_e32 v10, vcc, v12, v10, vcc
	v_add_co_u32_e32 v9, vcc, v9, v7
	v_addc_co_u32_e32 v10, vcc, v10, v8, vcc
	v_and_b32_e32 v7, 24, v9
	v_mov_b32_e32 v8, 0
	v_cmp_ne_u64_e32 vcc, 24, v[7:8]
	v_mov_b32_e32 v23, v8
	v_mov_b32_e32 v22, v8
	;; [unrolled: 1-line block ×3, first 2 shown]
	s_and_saveexec_b64 s[8:9], vcc
	s_cbranch_execz .LBB21_31
; %bb.28:
	v_lshlrev_b64 v[11:12], 2, v[0:1]
	v_lshrrev_b32_e32 v7, 3, v9
	v_add_u32_e32 v7, 1, v7
	v_mov_b32_e32 v13, s13
	v_add_co_u32_e32 v11, vcc, s12, v11
	v_and_b32_e32 v8, 3, v7
	v_addc_co_u32_e32 v12, vcc, v13, v12, vcc
	v_sub_co_u32_e32 v13, vcc, 0, v8
	v_mov_b32_e32 v7, 0
	s_mov_b64 s[10:11], 0
	v_subb_co_u32_e64 v14, s[0:1], 0, 0, vcc
	s_movk_i32 s14, 0x200
	v_mov_b32_e32 v15, s7
	v_mov_b32_e32 v22, 0
	;; [unrolled: 1-line block ×4, first 2 shown]
.LBB21_29:                              ; =>This Inner Loop Header: Depth=1
	global_load_dword v20, v[11:12], off
	global_load_dwordx4 v[16:19], v[5:6], off offset:32
	global_load_dwordx4 v[24:27], v[5:6], off offset:16
	global_load_dwordx4 v[28:31], v[5:6], off
	v_add_co_u32_e64 v0, s[0:1], 8, v0
	v_addc_co_u32_e64 v1, s[0:1], 0, v1, s[0:1]
	v_add_co_u32_e64 v11, s[0:1], 32, v11
	v_addc_co_u32_e64 v12, s[0:1], 0, v12, s[0:1]
	;; [unrolled: 2-line block ×3, first 2 shown]
	v_cmp_eq_u64_e64 s[0:1], 0, v[13:14]
	s_or_b64 s[10:11], s[0:1], s[10:11]
	s_waitcnt vmcnt(3)
	v_subrev_u32_e32 v20, s20, v20
	v_lshlrev_b32_e32 v32, 2, v20
	v_ashrrev_i32_e32 v33, 31, v32
	v_lshlrev_b64 v[32:33], 2, v[32:33]
	v_add_co_u32_e32 v40, vcc, s6, v32
	v_addc_co_u32_e32 v41, vcc, v15, v33, vcc
	global_load_dwordx4 v[32:35], v[40:41], off
	global_load_dwordx4 v[36:39], v[5:6], off offset:48
	v_add_co_u32_e32 v5, vcc, s14, v5
	v_addc_co_u32_e32 v6, vcc, 0, v6, vcc
	s_waitcnt vmcnt(1)
	v_fmac_f32_e32 v8, v28, v32
	v_fmac_f32_e32 v23, v29, v32
	;; [unrolled: 1-line block ×12, first 2 shown]
	s_waitcnt vmcnt(0)
	v_fmac_f32_e32 v8, v36, v35
	v_fmac_f32_e32 v23, v37, v35
	;; [unrolled: 1-line block ×4, first 2 shown]
	s_andn2_b64 exec, exec, s[10:11]
	s_cbranch_execnz .LBB21_29
; %bb.30:
	s_or_b64 exec, exec, s[10:11]
.LBB21_31:
	s_or_b64 exec, exec, s[8:9]
	v_cmp_lt_u64_e32 vcc, 23, v[9:10]
	s_and_saveexec_b64 s[8:9], vcc
	s_cbranch_execz .LBB21_35
; %bb.32:
	v_lshlrev_b64 v[9:10], 2, v[0:1]
	v_mov_b32_e32 v11, s13
	v_add_co_u32_e32 v9, vcc, s12, v9
	v_addc_co_u32_e32 v10, vcc, v11, v10, vcc
	v_add_co_u32_e32 v9, vcc, 64, v9
	v_addc_co_u32_e32 v10, vcc, 0, v10, vcc
	s_mov_b64 s[10:11], 0
	v_mov_b32_e32 v11, s7
	s_movk_i32 s7, 0x800
.LBB21_33:                              ; =>This Inner Loop Header: Depth=1
	global_load_dword v20, v[9:10], off offset:-64
	global_load_dword v36, v[9:10], off offset:-32
	global_load_dwordx4 v[12:15], v[5:6], off offset:16
	global_load_dwordx4 v[16:19], v[5:6], off
	global_load_dword v48, v[9:10], off
	global_load_dword v49, v[9:10], off offset:32
	global_load_dwordx4 v[24:27], v[5:6], off offset:32
	global_load_dwordx4 v[28:31], v[5:6], off offset:48
	;; [unrolled: 1-line block ×3, first 2 shown]
	v_add_co_u32_e64 v0, s[0:1], 32, v0
	v_addc_co_u32_e64 v1, s[0:1], 0, v1, s[0:1]
	v_cmp_ge_i64_e64 s[0:1], v[0:1], v[2:3]
	s_or_b64 s[10:11], s[0:1], s[10:11]
	s_waitcnt vmcnt(8)
	v_subrev_u32_e32 v20, s20, v20
	s_waitcnt vmcnt(7)
	v_subrev_u32_e32 v37, s20, v36
	v_lshlrev_b32_e32 v36, 2, v20
	v_lshlrev_b32_e32 v38, 2, v37
	v_ashrrev_i32_e32 v37, 31, v36
	v_lshlrev_b64 v[36:37], 2, v[36:37]
	v_ashrrev_i32_e32 v39, 31, v38
	v_lshlrev_b64 v[38:39], 2, v[38:39]
	v_add_co_u32_e32 v44, vcc, s6, v36
	v_addc_co_u32_e32 v45, vcc, v11, v37, vcc
	v_add_co_u32_e32 v46, vcc, s6, v38
	v_addc_co_u32_e32 v47, vcc, v11, v39, vcc
	global_load_dwordx4 v[36:39], v[44:45], off
	global_load_dwordx4 v[40:43], v[46:47], off
	s_waitcnt vmcnt(6)
	v_subrev_u32_e32 v20, s20, v48
	s_waitcnt vmcnt(1)
	v_fmac_f32_e32 v8, v16, v36
	v_fmac_f32_e32 v23, v17, v36
	v_fmac_f32_e32 v22, v18, v36
	v_fmac_f32_e32 v7, v19, v36
	global_load_dwordx4 v[16:19], v[5:6], off offset:528
	v_fmac_f32_e32 v8, v12, v37
	v_fmac_f32_e32 v23, v13, v37
	v_fmac_f32_e32 v22, v14, v37
	v_fmac_f32_e32 v7, v15, v37
	global_load_dwordx4 v[12:15], v[5:6], off offset:544
	;; [unrolled: 5-line block ×3, first 2 shown]
	v_fmac_f32_e32 v8, v28, v39
	v_fmac_f32_e32 v23, v29, v39
	s_waitcnt vmcnt(3)
	v_fmac_f32_e32 v8, v32, v40
	v_fmac_f32_e32 v22, v30, v39
	;; [unrolled: 1-line block ×6, first 2 shown]
	v_subrev_u32_e32 v40, s20, v49
	global_load_dwordx4 v[28:31], v[5:6], off offset:1056
	global_load_dwordx4 v[36:39], v[5:6], off offset:1040
	;; [unrolled: 1-line block ×3, first 2 shown]
	s_waitcnt vmcnt(5)
	v_fmac_f32_e32 v8, v16, v41
	v_fmac_f32_e32 v23, v17, v41
	;; [unrolled: 1-line block ×4, first 2 shown]
	global_load_dwordx4 v[16:19], v[5:6], off offset:1072
	s_waitcnt vmcnt(5)
	v_fmac_f32_e32 v8, v12, v42
	v_fmac_f32_e32 v23, v13, v42
	v_fmac_f32_e32 v22, v14, v42
	v_fmac_f32_e32 v7, v15, v42
	global_load_dwordx4 v[12:15], v[5:6], off offset:1536
	s_waitcnt vmcnt(5)
	v_fmac_f32_e32 v8, v24, v43
	v_lshlrev_b32_e32 v24, 2, v20
	v_fmac_f32_e32 v23, v25, v43
	v_ashrrev_i32_e32 v25, 31, v24
	v_fmac_f32_e32 v22, v26, v43
	v_lshlrev_b32_e32 v26, 2, v40
	v_lshlrev_b64 v[24:25], 2, v[24:25]
	v_fmac_f32_e32 v7, v27, v43
	v_ashrrev_i32_e32 v27, 31, v26
	v_lshlrev_b64 v[26:27], 2, v[26:27]
	v_add_co_u32_e32 v44, vcc, s6, v24
	v_addc_co_u32_e32 v45, vcc, v11, v25, vcc
	v_add_co_u32_e32 v46, vcc, s6, v26
	v_addc_co_u32_e32 v47, vcc, v11, v27, vcc
	global_load_dwordx4 v[24:27], v[44:45], off
	global_load_dwordx4 v[40:43], v[46:47], off
	s_waitcnt vmcnt(1)
	v_fmac_f32_e32 v8, v32, v24
	v_fmac_f32_e32 v23, v33, v24
	v_fmac_f32_e32 v22, v34, v24
	v_fmac_f32_e32 v7, v35, v24
	global_load_dwordx4 v[32:35], v[5:6], off offset:1552
	v_fmac_f32_e32 v8, v36, v25
	v_fmac_f32_e32 v23, v37, v25
	v_fmac_f32_e32 v22, v38, v25
	v_fmac_f32_e32 v7, v39, v25
	global_load_dwordx4 v[36:39], v[5:6], off offset:1568
	;; [unrolled: 5-line block ×3, first 2 shown]
	v_fmac_f32_e32 v8, v16, v27
	v_fmac_f32_e32 v23, v17, v27
	;; [unrolled: 1-line block ×4, first 2 shown]
	v_add_co_u32_e32 v5, vcc, s7, v5
	s_waitcnt vmcnt(3)
	v_fmac_f32_e32 v8, v12, v40
	v_fmac_f32_e32 v23, v13, v40
	;; [unrolled: 1-line block ×4, first 2 shown]
	v_addc_co_u32_e32 v6, vcc, 0, v6, vcc
	v_add_co_u32_e32 v9, vcc, 0x80, v9
	v_addc_co_u32_e32 v10, vcc, 0, v10, vcc
	s_waitcnt vmcnt(2)
	v_fmac_f32_e32 v8, v32, v41
	v_fmac_f32_e32 v23, v33, v41
	v_fmac_f32_e32 v22, v34, v41
	v_fmac_f32_e32 v7, v35, v41
	s_waitcnt vmcnt(1)
	v_fmac_f32_e32 v8, v36, v42
	v_fmac_f32_e32 v23, v37, v42
	v_fmac_f32_e32 v22, v38, v42
	v_fmac_f32_e32 v7, v39, v42
	;; [unrolled: 5-line block ×3, first 2 shown]
	s_andn2_b64 exec, exec, s[10:11]
	s_cbranch_execnz .LBB21_33
; %bb.34:
	s_or_b64 exec, exec, s[10:11]
.LBB21_35:
	s_or_b64 exec, exec, s[8:9]
.LBB21_36:
	s_or_b64 exec, exec, s[2:3]
.LBB21_37:
	v_mov_b32_dpp v0, v8 row_shr:1 row_mask:0xf bank_mask:0xf
	v_add_f32_e32 v0, v8, v0
	v_mov_b32_dpp v2, v23 row_shr:1 row_mask:0xf bank_mask:0xf
	v_mov_b32_dpp v5, v22 row_shr:1 row_mask:0xf bank_mask:0xf
	;; [unrolled: 1-line block ×3, first 2 shown]
	v_add_f32_e32 v2, v23, v2
	v_add_f32_e32 v5, v22, v5
	;; [unrolled: 1-line block ×3, first 2 shown]
	v_mov_b32_dpp v1, v0 row_shr:2 row_mask:0xf bank_mask:0xf
	v_mov_b32_dpp v3, v2 row_shr:2 row_mask:0xf bank_mask:0xf
	;; [unrolled: 1-line block ×4, first 2 shown]
	v_add_f32_e32 v0, v0, v1
	v_add_f32_e32 v2, v2, v3
	v_add_f32_e32 v5, v5, v6
	v_add_f32_e32 v7, v7, v8
	v_mov_b32_dpp v1, v0 row_shr:4 row_mask:0xf bank_mask:0xe
	v_mov_b32_dpp v3, v2 row_shr:4 row_mask:0xf bank_mask:0xe
	;; [unrolled: 1-line block ×4, first 2 shown]
	v_cmp_eq_u32_e32 vcc, 7, v21
	s_and_b64 exec, exec, vcc
	s_cbranch_execz .LBB21_10
; %bb.38:
	s_load_dwordx2 s[0:1], s[4:5], 0x50
	v_add_f32_e32 v0, v0, v1
	v_add_f32_e32 v1, v2, v3
	;; [unrolled: 1-line block ×4, first 2 shown]
	v_cmp_eq_f32_e64 s[2:3], s16, 0
	s_and_b64 vcc, exec, s[2:3]
	v_mul_f32_e32 v0, s18, v0
	v_mul_f32_e32 v1, s18, v1
	;; [unrolled: 1-line block ×4, first 2 shown]
	v_lshlrev_b32_e32 v4, 2, v4
	s_cbranch_vccz .LBB21_40
; %bb.39:
	v_ashrrev_i32_e32 v5, 31, v4
	v_lshlrev_b64 v[5:6], 2, v[4:5]
	s_waitcnt lgkmcnt(0)
	v_mov_b32_e32 v7, s1
	v_add_co_u32_e32 v5, vcc, s0, v5
	v_addc_co_u32_e32 v6, vcc, v7, v6, vcc
	global_store_dwordx4 v[5:6], v[0:3], off
	s_cbranch_execnz .LBB21_10
	s_branch .LBB21_41
.LBB21_40:
.LBB21_41:
	v_ashrrev_i32_e32 v5, 31, v4
	v_lshlrev_b64 v[4:5], 2, v[4:5]
	s_waitcnt lgkmcnt(0)
	v_mov_b32_e32 v6, s1
	v_add_co_u32_e32 v8, vcc, s0, v4
	v_addc_co_u32_e32 v9, vcc, v6, v5, vcc
	global_load_dwordx4 v[4:7], v[8:9], off
	s_waitcnt vmcnt(0)
	v_fmac_f32_e32 v0, s16, v4
	v_fmac_f32_e32 v1, s16, v5
	v_fmac_f32_e32 v2, s16, v6
	v_fmac_f32_e32 v3, s16, v7
	global_store_dwordx4 v[8:9], v[0:3], off
	s_endpgm
	.section	.rodata,"a",@progbits
	.p2align	6, 0x0
	.amdhsa_kernel _ZN9rocsparseL18bsrxmvn_4x4_kernelILj128ELj8EflifffEEvT3_20rocsparse_direction_NS_24const_host_device_scalarIT1_EES1_PKS1_PKT2_SA_S7_PKT4_PKT5_S5_PT6_21rocsparse_index_base_b
		.amdhsa_group_segment_fixed_size 0
		.amdhsa_private_segment_fixed_size 0
		.amdhsa_kernarg_size 96
		.amdhsa_user_sgpr_count 6
		.amdhsa_user_sgpr_private_segment_buffer 1
		.amdhsa_user_sgpr_dispatch_ptr 0
		.amdhsa_user_sgpr_queue_ptr 0
		.amdhsa_user_sgpr_kernarg_segment_ptr 1
		.amdhsa_user_sgpr_dispatch_id 0
		.amdhsa_user_sgpr_flat_scratch_init 0
		.amdhsa_user_sgpr_private_segment_size 0
		.amdhsa_uses_dynamic_stack 0
		.amdhsa_system_sgpr_private_segment_wavefront_offset 0
		.amdhsa_system_sgpr_workgroup_id_x 1
		.amdhsa_system_sgpr_workgroup_id_y 0
		.amdhsa_system_sgpr_workgroup_id_z 0
		.amdhsa_system_sgpr_workgroup_info 0
		.amdhsa_system_vgpr_workitem_id 0
		.amdhsa_next_free_vgpr 55
		.amdhsa_next_free_sgpr 22
		.amdhsa_reserve_vcc 1
		.amdhsa_reserve_flat_scratch 0
		.amdhsa_float_round_mode_32 0
		.amdhsa_float_round_mode_16_64 0
		.amdhsa_float_denorm_mode_32 3
		.amdhsa_float_denorm_mode_16_64 3
		.amdhsa_dx10_clamp 1
		.amdhsa_ieee_mode 1
		.amdhsa_fp16_overflow 0
		.amdhsa_exception_fp_ieee_invalid_op 0
		.amdhsa_exception_fp_denorm_src 0
		.amdhsa_exception_fp_ieee_div_zero 0
		.amdhsa_exception_fp_ieee_overflow 0
		.amdhsa_exception_fp_ieee_underflow 0
		.amdhsa_exception_fp_ieee_inexact 0
		.amdhsa_exception_int_div_zero 0
	.end_amdhsa_kernel
	.section	.text._ZN9rocsparseL18bsrxmvn_4x4_kernelILj128ELj8EflifffEEvT3_20rocsparse_direction_NS_24const_host_device_scalarIT1_EES1_PKS1_PKT2_SA_S7_PKT4_PKT5_S5_PT6_21rocsparse_index_base_b,"axG",@progbits,_ZN9rocsparseL18bsrxmvn_4x4_kernelILj128ELj8EflifffEEvT3_20rocsparse_direction_NS_24const_host_device_scalarIT1_EES1_PKS1_PKT2_SA_S7_PKT4_PKT5_S5_PT6_21rocsparse_index_base_b,comdat
.Lfunc_end21:
	.size	_ZN9rocsparseL18bsrxmvn_4x4_kernelILj128ELj8EflifffEEvT3_20rocsparse_direction_NS_24const_host_device_scalarIT1_EES1_PKS1_PKT2_SA_S7_PKT4_PKT5_S5_PT6_21rocsparse_index_base_b, .Lfunc_end21-_ZN9rocsparseL18bsrxmvn_4x4_kernelILj128ELj8EflifffEEvT3_20rocsparse_direction_NS_24const_host_device_scalarIT1_EES1_PKS1_PKT2_SA_S7_PKT4_PKT5_S5_PT6_21rocsparse_index_base_b
                                        ; -- End function
	.set _ZN9rocsparseL18bsrxmvn_4x4_kernelILj128ELj8EflifffEEvT3_20rocsparse_direction_NS_24const_host_device_scalarIT1_EES1_PKS1_PKT2_SA_S7_PKT4_PKT5_S5_PT6_21rocsparse_index_base_b.num_vgpr, 55
	.set _ZN9rocsparseL18bsrxmvn_4x4_kernelILj128ELj8EflifffEEvT3_20rocsparse_direction_NS_24const_host_device_scalarIT1_EES1_PKS1_PKT2_SA_S7_PKT4_PKT5_S5_PT6_21rocsparse_index_base_b.num_agpr, 0
	.set _ZN9rocsparseL18bsrxmvn_4x4_kernelILj128ELj8EflifffEEvT3_20rocsparse_direction_NS_24const_host_device_scalarIT1_EES1_PKS1_PKT2_SA_S7_PKT4_PKT5_S5_PT6_21rocsparse_index_base_b.numbered_sgpr, 22
	.set _ZN9rocsparseL18bsrxmvn_4x4_kernelILj128ELj8EflifffEEvT3_20rocsparse_direction_NS_24const_host_device_scalarIT1_EES1_PKS1_PKT2_SA_S7_PKT4_PKT5_S5_PT6_21rocsparse_index_base_b.num_named_barrier, 0
	.set _ZN9rocsparseL18bsrxmvn_4x4_kernelILj128ELj8EflifffEEvT3_20rocsparse_direction_NS_24const_host_device_scalarIT1_EES1_PKS1_PKT2_SA_S7_PKT4_PKT5_S5_PT6_21rocsparse_index_base_b.private_seg_size, 0
	.set _ZN9rocsparseL18bsrxmvn_4x4_kernelILj128ELj8EflifffEEvT3_20rocsparse_direction_NS_24const_host_device_scalarIT1_EES1_PKS1_PKT2_SA_S7_PKT4_PKT5_S5_PT6_21rocsparse_index_base_b.uses_vcc, 1
	.set _ZN9rocsparseL18bsrxmvn_4x4_kernelILj128ELj8EflifffEEvT3_20rocsparse_direction_NS_24const_host_device_scalarIT1_EES1_PKS1_PKT2_SA_S7_PKT4_PKT5_S5_PT6_21rocsparse_index_base_b.uses_flat_scratch, 0
	.set _ZN9rocsparseL18bsrxmvn_4x4_kernelILj128ELj8EflifffEEvT3_20rocsparse_direction_NS_24const_host_device_scalarIT1_EES1_PKS1_PKT2_SA_S7_PKT4_PKT5_S5_PT6_21rocsparse_index_base_b.has_dyn_sized_stack, 0
	.set _ZN9rocsparseL18bsrxmvn_4x4_kernelILj128ELj8EflifffEEvT3_20rocsparse_direction_NS_24const_host_device_scalarIT1_EES1_PKS1_PKT2_SA_S7_PKT4_PKT5_S5_PT6_21rocsparse_index_base_b.has_recursion, 0
	.set _ZN9rocsparseL18bsrxmvn_4x4_kernelILj128ELj8EflifffEEvT3_20rocsparse_direction_NS_24const_host_device_scalarIT1_EES1_PKS1_PKT2_SA_S7_PKT4_PKT5_S5_PT6_21rocsparse_index_base_b.has_indirect_call, 0
	.section	.AMDGPU.csdata,"",@progbits
; Kernel info:
; codeLenInByte = 3128
; TotalNumSgprs: 26
; NumVgprs: 55
; ScratchSize: 0
; MemoryBound: 0
; FloatMode: 240
; IeeeMode: 1
; LDSByteSize: 0 bytes/workgroup (compile time only)
; SGPRBlocks: 3
; VGPRBlocks: 13
; NumSGPRsForWavesPerEU: 26
; NumVGPRsForWavesPerEU: 55
; Occupancy: 4
; WaveLimiterHint : 1
; COMPUTE_PGM_RSRC2:SCRATCH_EN: 0
; COMPUTE_PGM_RSRC2:USER_SGPR: 6
; COMPUTE_PGM_RSRC2:TRAP_HANDLER: 0
; COMPUTE_PGM_RSRC2:TGID_X_EN: 1
; COMPUTE_PGM_RSRC2:TGID_Y_EN: 0
; COMPUTE_PGM_RSRC2:TGID_Z_EN: 0
; COMPUTE_PGM_RSRC2:TIDIG_COMP_CNT: 0
	.section	.text._ZN9rocsparseL18bsrxmvn_4x4_kernelILj128ELj16EflifffEEvT3_20rocsparse_direction_NS_24const_host_device_scalarIT1_EES1_PKS1_PKT2_SA_S7_PKT4_PKT5_S5_PT6_21rocsparse_index_base_b,"axG",@progbits,_ZN9rocsparseL18bsrxmvn_4x4_kernelILj128ELj16EflifffEEvT3_20rocsparse_direction_NS_24const_host_device_scalarIT1_EES1_PKS1_PKT2_SA_S7_PKT4_PKT5_S5_PT6_21rocsparse_index_base_b,comdat
	.globl	_ZN9rocsparseL18bsrxmvn_4x4_kernelILj128ELj16EflifffEEvT3_20rocsparse_direction_NS_24const_host_device_scalarIT1_EES1_PKS1_PKT2_SA_S7_PKT4_PKT5_S5_PT6_21rocsparse_index_base_b ; -- Begin function _ZN9rocsparseL18bsrxmvn_4x4_kernelILj128ELj16EflifffEEvT3_20rocsparse_direction_NS_24const_host_device_scalarIT1_EES1_PKS1_PKT2_SA_S7_PKT4_PKT5_S5_PT6_21rocsparse_index_base_b
	.p2align	8
	.type	_ZN9rocsparseL18bsrxmvn_4x4_kernelILj128ELj16EflifffEEvT3_20rocsparse_direction_NS_24const_host_device_scalarIT1_EES1_PKS1_PKT2_SA_S7_PKT4_PKT5_S5_PT6_21rocsparse_index_base_b,@function
_ZN9rocsparseL18bsrxmvn_4x4_kernelILj128ELj16EflifffEEvT3_20rocsparse_direction_NS_24const_host_device_scalarIT1_EES1_PKS1_PKT2_SA_S7_PKT4_PKT5_S5_PT6_21rocsparse_index_base_b: ; @_ZN9rocsparseL18bsrxmvn_4x4_kernelILj128ELj16EflifffEEvT3_20rocsparse_direction_NS_24const_host_device_scalarIT1_EES1_PKS1_PKT2_SA_S7_PKT4_PKT5_S5_PT6_21rocsparse_index_base_b
; %bb.0:
	s_load_dwordx2 s[20:21], s[4:5], 0x58
	s_load_dwordx2 s[18:19], s[4:5], 0x8
	;; [unrolled: 1-line block ×3, first 2 shown]
	s_waitcnt lgkmcnt(0)
	s_bitcmp1_b32 s21, 0
	s_cselect_b64 s[2:3], -1, 0
	s_xor_b64 s[0:1], s[2:3], -1
	s_and_b64 vcc, exec, s[2:3]
	s_cbranch_vccnz .LBB22_2
; %bb.1:
	s_load_dword s18, s[18:19], 0x0
.LBB22_2:
	s_andn2_b64 vcc, exec, s[0:1]
	s_cbranch_vccnz .LBB22_4
; %bb.3:
	s_load_dword s16, s[16:17], 0x0
.LBB22_4:
	s_waitcnt lgkmcnt(0)
	v_cmp_neq_f32_e64 s[0:1], s18, 0
	v_cmp_neq_f32_e64 s[2:3], s16, 1.0
	s_or_b64 s[0:1], s[0:1], s[2:3]
	s_andn2_b64 vcc, exec, s[0:1]
	s_cbranch_vccnz .LBB22_10
; %bb.5:
	s_load_dwordx2 s[8:9], s[4:5], 0x18
	s_load_dwordx2 s[0:1], s[4:5], 0x0
	v_lshrrev_b32_e32 v1, 4, v0
	v_lshl_or_b32 v4, s6, 3, v1
	s_mov_b64 s[2:3], 0
	s_waitcnt lgkmcnt(0)
	s_cmp_lg_u64 s[8:9], 0
	s_cbranch_scc0 .LBB22_11
; %bb.6:
	s_load_dword s6, s[4:5], 0x10
                                        ; implicit-def: $vgpr1
	s_waitcnt lgkmcnt(0)
	v_cmp_gt_i32_e32 vcc, s6, v4
	s_and_saveexec_b64 s[6:7], vcc
	s_xor_b64 s[6:7], exec, s[6:7]
	s_cbranch_execz .LBB22_8
; %bb.7:
	v_ashrrev_i32_e32 v5, 31, v4
	v_lshlrev_b64 v[1:2], 2, v[4:5]
	v_mov_b32_e32 v3, s9
	v_add_co_u32_e32 v1, vcc, s8, v1
	v_addc_co_u32_e32 v2, vcc, v3, v2, vcc
	global_load_dword v1, v[1:2], off
	s_mov_b64 s[2:3], exec
	s_waitcnt vmcnt(0)
	v_subrev_u32_e32 v1, s20, v1
.LBB22_8:
	s_or_b64 exec, exec, s[6:7]
	s_branch .LBB22_12
.LBB22_9:
	v_cmp_gt_i32_e32 vcc, s0, v4
	s_andn2_b64 s[2:3], s[2:3], exec
	s_and_b64 s[6:7], vcc, exec
	s_or_b64 s[2:3], s[2:3], s[6:7]
	s_and_saveexec_b64 s[6:7], s[2:3]
	s_cbranch_execnz .LBB22_13
.LBB22_10:
	s_endpgm
.LBB22_11:
                                        ; implicit-def: $vgpr1
	s_cbranch_execnz .LBB22_9
.LBB22_12:
	v_mov_b32_e32 v4, v1
	s_and_saveexec_b64 s[6:7], s[2:3]
	s_cbranch_execz .LBB22_10
.LBB22_13:
	s_load_dwordx8 s[8:15], s[4:5], 0x20
	v_ashrrev_i32_e32 v5, 31, v4
	v_lshlrev_b64 v[1:2], 3, v[4:5]
	v_and_b32_e32 v21, 15, v0
	s_load_dwordx2 s[6:7], s[4:5], 0x40
	s_waitcnt lgkmcnt(0)
	v_mov_b32_e32 v3, s9
	v_add_co_u32_e32 v5, vcc, s8, v1
	v_addc_co_u32_e32 v6, vcc, v3, v2, vcc
	v_add_co_u32_e32 v3, vcc, 8, v5
	global_load_dwordx2 v[9:10], v[5:6], off
	v_addc_co_u32_e32 v5, vcc, 0, v6, vcc
	v_mov_b32_e32 v6, s11
	v_add_co_u32_e32 v1, vcc, s10, v1
	s_cmp_eq_u64 s[10:11], 0
	v_addc_co_u32_e32 v2, vcc, v6, v2, vcc
	s_cselect_b64 vcc, -1, 0
	v_cndmask_b32_e32 v2, v2, v5, vcc
	v_cndmask_b32_e32 v1, v1, v3, vcc
	global_load_dwordx2 v[2:3], v[1:2], off
	v_mov_b32_e32 v8, s15
	s_cmp_eq_u32 s1, 1
	v_mov_b32_e32 v7, 0
	s_waitcnt vmcnt(1)
	v_subrev_co_u32_e32 v0, vcc, s20, v9
	v_subbrev_co_u32_e32 v1, vcc, 0, v10, vcc
	v_add_co_u32_e32 v0, vcc, v0, v21
	v_addc_co_u32_e32 v1, vcc, 0, v1, vcc
	v_lshlrev_b64 v[5:6], 6, v[0:1]
	s_waitcnt vmcnt(0)
	v_subrev_co_u32_e32 v2, vcc, s20, v2
	v_subbrev_co_u32_e32 v3, vcc, 0, v3, vcc
	v_cmp_lt_i64_e64 s[0:1], v[0:1], v[2:3]
	v_add_co_u32_e32 v5, vcc, s14, v5
	v_addc_co_u32_e32 v6, vcc, v8, v6, vcc
	s_cbranch_scc1 .LBB22_25
; %bb.14:
	v_mov_b32_e32 v22, 0
	v_mov_b32_e32 v23, 0
	;; [unrolled: 1-line block ×3, first 2 shown]
	s_and_saveexec_b64 s[8:9], s[0:1]
	s_cbranch_execz .LBB22_24
; %bb.15:
	v_or_b32_e32 v7, 16, v21
	v_subrev_co_u32_e32 v7, vcc, s20, v7
	v_subb_co_u32_e64 v8, s[2:3], 0, 0, vcc
	v_add_co_u32_e32 v7, vcc, v7, v9
	v_addc_co_u32_e32 v8, vcc, v8, v10, vcc
	v_cmp_gt_i64_e32 vcc, v[7:8], v[2:3]
	v_not_b32_e32 v12, v9
	v_cndmask_b32_e32 v8, v3, v8, vcc
	v_cndmask_b32_e32 v7, v2, v7, vcc
	v_sub_co_u32_e32 v13, vcc, s20, v21
	v_not_b32_e32 v11, v10
	v_subb_co_u32_e64 v14, s[2:3], 0, 0, vcc
	v_add_co_u32_e32 v12, vcc, v13, v12
	v_addc_co_u32_e32 v11, vcc, v14, v11, vcc
	v_add_co_u32_e32 v15, vcc, v12, v7
	v_addc_co_u32_e32 v16, vcc, v11, v8, vcc
	v_and_b32_e32 v7, 48, v15
	v_mov_b32_e32 v8, 0
	v_cmp_ne_u64_e32 vcc, 48, v[7:8]
	v_mov_b32_e32 v12, v1
	v_mov_b32_e32 v14, v6
	;; [unrolled: 1-line block ×7, first 2 shown]
	s_and_saveexec_b64 s[10:11], vcc
	s_cbranch_execz .LBB22_19
; %bb.16:
	v_lshlrev_b64 v[11:12], 2, v[0:1]
	v_lshrrev_b32_e32 v7, 4, v15
	v_add_u32_e32 v7, 1, v7
	v_mov_b32_e32 v13, s13
	v_add_co_u32_e32 v17, vcc, s12, v11
	v_and_b32_e32 v8, 3, v7
	v_addc_co_u32_e32 v18, vcc, v13, v12, vcc
	v_sub_co_u32_e32 v19, vcc, 0, v8
	v_mov_b32_e32 v14, v6
	v_mov_b32_e32 v12, v1
	v_mov_b32_e32 v7, 0
	s_mov_b64 s[14:15], 0
	v_subb_co_u32_e64 v20, s[2:3], 0, 0, vcc
	s_movk_i32 s17, 0x400
	v_mov_b32_e32 v24, s7
	v_mov_b32_e32 v13, v5
	v_mov_b32_e32 v11, v0
	v_mov_b32_e32 v22, 0
	v_mov_b32_e32 v23, 0
	v_mov_b32_e32 v8, 0
.LBB22_17:                              ; =>This Inner Loop Header: Depth=1
	global_load_dword v41, v[17:18], off
	global_load_dwordx4 v[25:28], v[13:14], off
	global_load_dwordx4 v[29:32], v[13:14], off offset:16
	global_load_dwordx4 v[33:36], v[13:14], off offset:32
	;; [unrolled: 1-line block ×3, first 2 shown]
	v_add_co_u32_e64 v11, s[2:3], 16, v11
	v_addc_co_u32_e64 v12, s[2:3], 0, v12, s[2:3]
	v_add_co_u32_e64 v17, s[2:3], 64, v17
	v_addc_co_u32_e64 v18, s[2:3], 0, v18, s[2:3]
	;; [unrolled: 2-line block ×3, first 2 shown]
	v_cmp_eq_u64_e64 s[2:3], 0, v[19:20]
	s_or_b64 s[14:15], s[2:3], s[14:15]
	s_waitcnt vmcnt(4)
	v_subrev_u32_e32 v41, s20, v41
	v_lshlrev_b32_e32 v41, 2, v41
	v_ashrrev_i32_e32 v42, 31, v41
	v_lshlrev_b64 v[41:42], 2, v[41:42]
	v_add_co_u32_e32 v41, vcc, s6, v41
	v_addc_co_u32_e32 v42, vcc, v24, v42, vcc
	global_load_dwordx4 v[41:44], v[41:42], off
	v_add_co_u32_e32 v13, vcc, s17, v13
	v_addc_co_u32_e32 v14, vcc, 0, v14, vcc
	s_waitcnt vmcnt(0)
	v_fmac_f32_e32 v8, v25, v41
	v_fmac_f32_e32 v23, v29, v41
	;; [unrolled: 1-line block ×16, first 2 shown]
	s_andn2_b64 exec, exec, s[14:15]
	s_cbranch_execnz .LBB22_17
; %bb.18:
	s_or_b64 exec, exec, s[14:15]
.LBB22_19:
	s_or_b64 exec, exec, s[10:11]
	v_cmp_lt_u64_e32 vcc, 47, v[15:16]
	s_and_saveexec_b64 s[10:11], vcc
	s_cbranch_execz .LBB22_23
; %bb.20:
	v_lshlrev_b64 v[15:16], 2, v[11:12]
	v_mov_b32_e32 v17, s13
	v_add_co_u32_e32 v15, vcc, s12, v15
	v_addc_co_u32_e32 v16, vcc, v17, v16, vcc
	v_add_co_u32_e32 v15, vcc, 0x80, v15
	v_addc_co_u32_e32 v16, vcc, 0, v16, vcc
	s_mov_b64 s[14:15], 0
	v_mov_b32_e32 v17, s7
	s_movk_i32 s17, 0x1000
.LBB22_21:                              ; =>This Inner Loop Header: Depth=1
	global_load_dword v18, v[15:16], off offset:-128
	global_load_dword v19, v[15:16], off offset:-64
	global_load_dwordx4 v[24:27], v[13:14], off offset:16
	global_load_dwordx4 v[28:31], v[13:14], off
	global_load_dwordx4 v[32:35], v[13:14], off offset:32
	global_load_dwordx4 v[36:39], v[13:14], off offset:48
	;; [unrolled: 1-line block ×3, first 2 shown]
	global_load_dword v20, v[15:16], off
	global_load_dword v54, v[15:16], off offset:64
	s_waitcnt vmcnt(8)
	v_subrev_u32_e32 v18, s20, v18
	s_waitcnt vmcnt(7)
	v_subrev_u32_e32 v19, s20, v19
	v_lshlrev_b32_e32 v18, 2, v18
	v_lshlrev_b32_e32 v44, 2, v19
	v_ashrrev_i32_e32 v19, 31, v18
	v_lshlrev_b64 v[18:19], 2, v[18:19]
	v_ashrrev_i32_e32 v45, 31, v44
	v_lshlrev_b64 v[44:45], 2, v[44:45]
	v_add_co_u32_e32 v18, vcc, s6, v18
	v_addc_co_u32_e32 v19, vcc, v17, v19, vcc
	v_add_co_u32_e32 v52, vcc, s6, v44
	v_addc_co_u32_e32 v53, vcc, v17, v45, vcc
	global_load_dwordx4 v[44:47], v[18:19], off
	global_load_dwordx4 v[48:51], v[52:53], off
	s_waitcnt vmcnt(3)
	v_subrev_u32_e32 v18, s20, v20
	s_waitcnt vmcnt(2)
	v_subrev_u32_e32 v19, s20, v54
	v_lshlrev_b32_e32 v18, 2, v18
	s_waitcnt vmcnt(1)
	v_fmac_f32_e32 v22, v32, v44
	v_fmac_f32_e32 v22, v33, v45
	;; [unrolled: 1-line block ×6, first 2 shown]
	global_load_dwordx4 v[32:35], v[13:14], off offset:1072
	v_fmac_f32_e32 v8, v29, v45
	v_fmac_f32_e32 v23, v25, v45
	;; [unrolled: 1-line block ×5, first 2 shown]
	global_load_dwordx4 v[28:31], v[13:14], off offset:1040
	v_fmac_f32_e32 v23, v27, v47
	global_load_dwordx4 v[24:27], v[13:14], off offset:1056
	v_fmac_f32_e32 v7, v36, v44
	v_fmac_f32_e32 v7, v37, v45
	;; [unrolled: 1-line block ×4, first 2 shown]
	s_waitcnt vmcnt(3)
	v_fmac_f32_e32 v8, v40, v48
	v_fmac_f32_e32 v8, v41, v49
	;; [unrolled: 1-line block ×3, first 2 shown]
	global_load_dwordx4 v[36:39], v[13:14], off offset:2064
	global_load_dwordx4 v[44:47], v[13:14], off offset:2048
	v_fmac_f32_e32 v8, v43, v51
	global_load_dwordx4 v[40:43], v[13:14], off offset:2080
	s_waitcnt vmcnt(5)
	v_fmac_f32_e32 v7, v32, v48
	v_lshlrev_b32_e32 v32, 2, v19
	v_ashrrev_i32_e32 v19, 31, v18
	v_lshlrev_b64 v[18:19], 2, v[18:19]
	v_fmac_f32_e32 v7, v33, v49
	v_ashrrev_i32_e32 v33, 31, v32
	s_waitcnt vmcnt(4)
	v_fmac_f32_e32 v23, v28, v48
	v_lshlrev_b64 v[32:33], 2, v[32:33]
	s_waitcnt vmcnt(3)
	v_fmac_f32_e32 v22, v24, v48
	v_add_co_u32_e32 v18, vcc, s6, v18
	v_fmac_f32_e32 v23, v29, v49
	v_fmac_f32_e32 v22, v25, v49
	v_addc_co_u32_e32 v19, vcc, v17, v19, vcc
	v_fmac_f32_e32 v23, v30, v50
	v_fmac_f32_e32 v22, v26, v50
	;; [unrolled: 1-line block ×3, first 2 shown]
	v_add_co_u32_e32 v52, vcc, s6, v32
	v_fmac_f32_e32 v23, v31, v51
	global_load_dwordx4 v[28:31], v[13:14], off offset:2096
	v_fmac_f32_e32 v22, v27, v51
	global_load_dwordx4 v[24:27], v[13:14], off offset:3088
	v_fmac_f32_e32 v7, v35, v51
	v_addc_co_u32_e32 v53, vcc, v17, v33, vcc
	global_load_dwordx4 v[32:35], v[18:19], off
	global_load_dwordx4 v[48:51], v[52:53], off
	s_waitcnt vmcnt(1)
	v_fmac_f32_e32 v8, v44, v32
	v_fmac_f32_e32 v23, v36, v32
	;; [unrolled: 1-line block ×10, first 2 shown]
	global_load_dwordx4 v[44:47], v[13:14], off offset:3072
	v_fmac_f32_e32 v23, v39, v35
	global_load_dwordx4 v[36:39], v[13:14], off offset:3104
	v_fmac_f32_e32 v22, v43, v35
	;; [unrolled: 2-line block ×3, first 2 shown]
	v_fmac_f32_e32 v7, v29, v33
	v_add_co_u32_e32 v13, vcc, s17, v13
	v_fmac_f32_e32 v7, v30, v34
	s_mov_b64 s[2:3], vcc
	v_add_co_u32_e32 v11, vcc, 64, v11
	v_fmac_f32_e32 v7, v31, v35
	v_addc_co_u32_e32 v12, vcc, 0, v12, vcc
	v_addc_co_u32_e64 v14, s[2:3], 0, v14, s[2:3]
	s_waitcnt vmcnt(3)
	v_fmac_f32_e32 v23, v24, v48
	v_cmp_ge_i64_e64 s[2:3], v[11:12], v[2:3]
	v_fmac_f32_e32 v23, v25, v49
	v_add_co_u32_e32 v15, vcc, 0x100, v15
	v_fmac_f32_e32 v23, v26, v50
	v_addc_co_u32_e32 v16, vcc, 0, v16, vcc
	s_or_b64 s[14:15], s[2:3], s[14:15]
	v_fmac_f32_e32 v23, v27, v51
	s_waitcnt vmcnt(2)
	v_fmac_f32_e32 v8, v44, v48
	v_fmac_f32_e32 v8, v45, v49
	s_waitcnt vmcnt(1)
	v_fmac_f32_e32 v22, v36, v48
	;; [unrolled: 3-line block ×3, first 2 shown]
	v_fmac_f32_e32 v7, v41, v49
	v_fmac_f32_e32 v8, v46, v50
	;; [unrolled: 1-line block ×7, first 2 shown]
	s_andn2_b64 exec, exec, s[14:15]
	s_cbranch_execnz .LBB22_21
; %bb.22:
	s_or_b64 exec, exec, s[14:15]
.LBB22_23:
	s_or_b64 exec, exec, s[10:11]
.LBB22_24:
	s_or_b64 exec, exec, s[8:9]
	s_cbranch_execz .LBB22_26
	s_branch .LBB22_37
.LBB22_25:
                                        ; implicit-def: $vgpr7
                                        ; implicit-def: $vgpr22
                                        ; implicit-def: $vgpr23
                                        ; implicit-def: $vgpr8
.LBB22_26:
	v_mov_b32_e32 v7, 0
	v_mov_b32_e32 v22, 0
	;; [unrolled: 1-line block ×4, first 2 shown]
	s_and_saveexec_b64 s[2:3], s[0:1]
	s_cbranch_execz .LBB22_36
; %bb.27:
	v_or_b32_e32 v7, 16, v21
	v_subrev_co_u32_e32 v7, vcc, s20, v7
	v_subb_co_u32_e64 v8, s[0:1], 0, 0, vcc
	v_add_co_u32_e32 v7, vcc, v7, v9
	v_addc_co_u32_e32 v8, vcc, v8, v10, vcc
	v_cmp_gt_i64_e32 vcc, v[7:8], v[2:3]
	v_not_b32_e32 v9, v9
	v_cndmask_b32_e32 v8, v3, v8, vcc
	v_cndmask_b32_e32 v7, v2, v7, vcc
	v_sub_co_u32_e32 v11, vcc, s20, v21
	v_not_b32_e32 v10, v10
	v_subb_co_u32_e64 v12, s[0:1], 0, 0, vcc
	v_add_co_u32_e32 v9, vcc, v11, v9
	v_addc_co_u32_e32 v10, vcc, v12, v10, vcc
	v_add_co_u32_e32 v9, vcc, v9, v7
	v_addc_co_u32_e32 v10, vcc, v10, v8, vcc
	v_and_b32_e32 v7, 48, v9
	v_mov_b32_e32 v8, 0
	v_cmp_ne_u64_e32 vcc, 48, v[7:8]
	v_mov_b32_e32 v23, v8
	v_mov_b32_e32 v22, v8
	;; [unrolled: 1-line block ×3, first 2 shown]
	s_and_saveexec_b64 s[8:9], vcc
	s_cbranch_execz .LBB22_31
; %bb.28:
	v_lshlrev_b64 v[11:12], 2, v[0:1]
	v_lshrrev_b32_e32 v7, 4, v9
	v_add_u32_e32 v7, 1, v7
	v_mov_b32_e32 v13, s13
	v_add_co_u32_e32 v11, vcc, s12, v11
	v_and_b32_e32 v8, 3, v7
	v_addc_co_u32_e32 v12, vcc, v13, v12, vcc
	v_sub_co_u32_e32 v13, vcc, 0, v8
	v_mov_b32_e32 v7, 0
	s_mov_b64 s[10:11], 0
	v_subb_co_u32_e64 v14, s[0:1], 0, 0, vcc
	s_movk_i32 s14, 0x400
	v_mov_b32_e32 v15, s7
	v_mov_b32_e32 v22, 0
	;; [unrolled: 1-line block ×4, first 2 shown]
.LBB22_29:                              ; =>This Inner Loop Header: Depth=1
	global_load_dword v20, v[11:12], off
	global_load_dwordx4 v[16:19], v[5:6], off offset:32
	global_load_dwordx4 v[24:27], v[5:6], off offset:16
	global_load_dwordx4 v[28:31], v[5:6], off
	v_add_co_u32_e64 v0, s[0:1], 16, v0
	v_addc_co_u32_e64 v1, s[0:1], 0, v1, s[0:1]
	v_add_co_u32_e64 v11, s[0:1], 64, v11
	v_addc_co_u32_e64 v12, s[0:1], 0, v12, s[0:1]
	v_add_co_u32_e64 v13, s[0:1], 1, v13
	v_addc_co_u32_e64 v14, s[0:1], 0, v14, s[0:1]
	v_cmp_eq_u64_e64 s[0:1], 0, v[13:14]
	s_or_b64 s[10:11], s[0:1], s[10:11]
	s_waitcnt vmcnt(3)
	v_subrev_u32_e32 v20, s20, v20
	v_lshlrev_b32_e32 v32, 2, v20
	v_ashrrev_i32_e32 v33, 31, v32
	v_lshlrev_b64 v[32:33], 2, v[32:33]
	v_add_co_u32_e32 v40, vcc, s6, v32
	v_addc_co_u32_e32 v41, vcc, v15, v33, vcc
	global_load_dwordx4 v[32:35], v[40:41], off
	global_load_dwordx4 v[36:39], v[5:6], off offset:48
	v_add_co_u32_e32 v5, vcc, s14, v5
	v_addc_co_u32_e32 v6, vcc, 0, v6, vcc
	s_waitcnt vmcnt(1)
	v_fmac_f32_e32 v8, v28, v32
	v_fmac_f32_e32 v23, v29, v32
	;; [unrolled: 1-line block ×12, first 2 shown]
	s_waitcnt vmcnt(0)
	v_fmac_f32_e32 v8, v36, v35
	v_fmac_f32_e32 v23, v37, v35
	v_fmac_f32_e32 v22, v38, v35
	v_fmac_f32_e32 v7, v39, v35
	s_andn2_b64 exec, exec, s[10:11]
	s_cbranch_execnz .LBB22_29
; %bb.30:
	s_or_b64 exec, exec, s[10:11]
.LBB22_31:
	s_or_b64 exec, exec, s[8:9]
	v_cmp_lt_u64_e32 vcc, 47, v[9:10]
	s_and_saveexec_b64 s[8:9], vcc
	s_cbranch_execz .LBB22_35
; %bb.32:
	v_lshlrev_b64 v[9:10], 2, v[0:1]
	v_mov_b32_e32 v11, s13
	v_add_co_u32_e32 v9, vcc, s12, v9
	v_addc_co_u32_e32 v10, vcc, v11, v10, vcc
	v_add_co_u32_e32 v9, vcc, 0x80, v9
	v_addc_co_u32_e32 v10, vcc, 0, v10, vcc
	s_mov_b64 s[10:11], 0
	v_mov_b32_e32 v11, s7
	s_movk_i32 s7, 0x1000
.LBB22_33:                              ; =>This Inner Loop Header: Depth=1
	global_load_dword v20, v[9:10], off offset:-128
	global_load_dword v36, v[9:10], off offset:-64
	global_load_dwordx4 v[12:15], v[5:6], off offset:16
	global_load_dwordx4 v[16:19], v[5:6], off
	global_load_dword v48, v[9:10], off
	global_load_dword v49, v[9:10], off offset:64
	global_load_dwordx4 v[24:27], v[5:6], off offset:32
	global_load_dwordx4 v[28:31], v[5:6], off offset:48
	;; [unrolled: 1-line block ×3, first 2 shown]
	v_add_co_u32_e64 v0, s[0:1], 64, v0
	v_addc_co_u32_e64 v1, s[0:1], 0, v1, s[0:1]
	v_cmp_ge_i64_e64 s[0:1], v[0:1], v[2:3]
	s_or_b64 s[10:11], s[0:1], s[10:11]
	s_waitcnt vmcnt(8)
	v_subrev_u32_e32 v20, s20, v20
	s_waitcnt vmcnt(7)
	v_subrev_u32_e32 v37, s20, v36
	v_lshlrev_b32_e32 v36, 2, v20
	v_lshlrev_b32_e32 v38, 2, v37
	v_ashrrev_i32_e32 v37, 31, v36
	v_lshlrev_b64 v[36:37], 2, v[36:37]
	v_ashrrev_i32_e32 v39, 31, v38
	v_lshlrev_b64 v[38:39], 2, v[38:39]
	v_add_co_u32_e32 v44, vcc, s6, v36
	v_addc_co_u32_e32 v45, vcc, v11, v37, vcc
	v_add_co_u32_e32 v46, vcc, s6, v38
	v_addc_co_u32_e32 v47, vcc, v11, v39, vcc
	global_load_dwordx4 v[36:39], v[44:45], off
	global_load_dwordx4 v[40:43], v[46:47], off
	s_waitcnt vmcnt(6)
	v_subrev_u32_e32 v20, s20, v48
	s_waitcnt vmcnt(1)
	v_fmac_f32_e32 v8, v16, v36
	v_fmac_f32_e32 v23, v17, v36
	v_fmac_f32_e32 v22, v18, v36
	v_fmac_f32_e32 v7, v19, v36
	global_load_dwordx4 v[16:19], v[5:6], off offset:1040
	v_fmac_f32_e32 v8, v12, v37
	v_fmac_f32_e32 v23, v13, v37
	v_fmac_f32_e32 v22, v14, v37
	v_fmac_f32_e32 v7, v15, v37
	global_load_dwordx4 v[12:15], v[5:6], off offset:1056
	;; [unrolled: 5-line block ×3, first 2 shown]
	v_fmac_f32_e32 v8, v28, v39
	v_fmac_f32_e32 v23, v29, v39
	s_waitcnt vmcnt(3)
	v_fmac_f32_e32 v8, v32, v40
	v_fmac_f32_e32 v22, v30, v39
	;; [unrolled: 1-line block ×6, first 2 shown]
	v_subrev_u32_e32 v40, s20, v49
	global_load_dwordx4 v[28:31], v[5:6], off offset:2080
	global_load_dwordx4 v[36:39], v[5:6], off offset:2064
	global_load_dwordx4 v[32:35], v[5:6], off offset:2048
	s_waitcnt vmcnt(5)
	v_fmac_f32_e32 v8, v16, v41
	v_fmac_f32_e32 v23, v17, v41
	;; [unrolled: 1-line block ×4, first 2 shown]
	global_load_dwordx4 v[16:19], v[5:6], off offset:2096
	s_waitcnt vmcnt(5)
	v_fmac_f32_e32 v8, v12, v42
	v_fmac_f32_e32 v23, v13, v42
	;; [unrolled: 1-line block ×4, first 2 shown]
	global_load_dwordx4 v[12:15], v[5:6], off offset:3072
	s_waitcnt vmcnt(5)
	v_fmac_f32_e32 v8, v24, v43
	v_lshlrev_b32_e32 v24, 2, v20
	v_fmac_f32_e32 v23, v25, v43
	v_ashrrev_i32_e32 v25, 31, v24
	v_fmac_f32_e32 v22, v26, v43
	v_lshlrev_b32_e32 v26, 2, v40
	v_lshlrev_b64 v[24:25], 2, v[24:25]
	v_fmac_f32_e32 v7, v27, v43
	v_ashrrev_i32_e32 v27, 31, v26
	v_lshlrev_b64 v[26:27], 2, v[26:27]
	v_add_co_u32_e32 v44, vcc, s6, v24
	v_addc_co_u32_e32 v45, vcc, v11, v25, vcc
	v_add_co_u32_e32 v46, vcc, s6, v26
	v_addc_co_u32_e32 v47, vcc, v11, v27, vcc
	global_load_dwordx4 v[24:27], v[44:45], off
	global_load_dwordx4 v[40:43], v[46:47], off
	s_waitcnt vmcnt(1)
	v_fmac_f32_e32 v8, v32, v24
	v_fmac_f32_e32 v23, v33, v24
	v_fmac_f32_e32 v22, v34, v24
	v_fmac_f32_e32 v7, v35, v24
	global_load_dwordx4 v[32:35], v[5:6], off offset:3088
	v_fmac_f32_e32 v8, v36, v25
	v_fmac_f32_e32 v23, v37, v25
	v_fmac_f32_e32 v22, v38, v25
	v_fmac_f32_e32 v7, v39, v25
	global_load_dwordx4 v[36:39], v[5:6], off offset:3104
	;; [unrolled: 5-line block ×3, first 2 shown]
	v_fmac_f32_e32 v8, v16, v27
	v_fmac_f32_e32 v23, v17, v27
	;; [unrolled: 1-line block ×4, first 2 shown]
	v_add_co_u32_e32 v5, vcc, s7, v5
	s_waitcnt vmcnt(3)
	v_fmac_f32_e32 v8, v12, v40
	v_fmac_f32_e32 v23, v13, v40
	;; [unrolled: 1-line block ×4, first 2 shown]
	v_addc_co_u32_e32 v6, vcc, 0, v6, vcc
	v_add_co_u32_e32 v9, vcc, 0x100, v9
	v_addc_co_u32_e32 v10, vcc, 0, v10, vcc
	s_waitcnt vmcnt(2)
	v_fmac_f32_e32 v8, v32, v41
	v_fmac_f32_e32 v23, v33, v41
	v_fmac_f32_e32 v22, v34, v41
	v_fmac_f32_e32 v7, v35, v41
	s_waitcnt vmcnt(1)
	v_fmac_f32_e32 v8, v36, v42
	v_fmac_f32_e32 v23, v37, v42
	v_fmac_f32_e32 v22, v38, v42
	v_fmac_f32_e32 v7, v39, v42
	;; [unrolled: 5-line block ×3, first 2 shown]
	s_andn2_b64 exec, exec, s[10:11]
	s_cbranch_execnz .LBB22_33
; %bb.34:
	s_or_b64 exec, exec, s[10:11]
.LBB22_35:
	s_or_b64 exec, exec, s[8:9]
.LBB22_36:
	s_or_b64 exec, exec, s[2:3]
.LBB22_37:
	v_mov_b32_dpp v0, v8 row_shr:1 row_mask:0xf bank_mask:0xf
	v_add_f32_e32 v0, v8, v0
	v_mov_b32_dpp v2, v23 row_shr:1 row_mask:0xf bank_mask:0xf
	v_mov_b32_dpp v5, v22 row_shr:1 row_mask:0xf bank_mask:0xf
	;; [unrolled: 1-line block ×3, first 2 shown]
	v_add_f32_e32 v2, v23, v2
	v_add_f32_e32 v5, v22, v5
	;; [unrolled: 1-line block ×3, first 2 shown]
	v_mov_b32_dpp v1, v0 row_shr:2 row_mask:0xf bank_mask:0xf
	v_mov_b32_dpp v3, v2 row_shr:2 row_mask:0xf bank_mask:0xf
	;; [unrolled: 1-line block ×4, first 2 shown]
	v_add_f32_e32 v0, v0, v1
	v_add_f32_e32 v2, v2, v3
	;; [unrolled: 1-line block ×4, first 2 shown]
	v_mov_b32_dpp v1, v0 row_shr:4 row_mask:0xf bank_mask:0xe
	v_mov_b32_dpp v3, v2 row_shr:4 row_mask:0xf bank_mask:0xe
	;; [unrolled: 1-line block ×4, first 2 shown]
	v_add_f32_e32 v0, v0, v1
	v_add_f32_e32 v2, v2, v3
	;; [unrolled: 1-line block ×4, first 2 shown]
	v_mov_b32_dpp v1, v0 row_shr:8 row_mask:0xf bank_mask:0xc
	v_mov_b32_dpp v3, v2 row_shr:8 row_mask:0xf bank_mask:0xc
	;; [unrolled: 1-line block ×4, first 2 shown]
	v_cmp_eq_u32_e32 vcc, 15, v21
	s_and_b64 exec, exec, vcc
	s_cbranch_execz .LBB22_10
; %bb.38:
	s_load_dwordx2 s[0:1], s[4:5], 0x50
	v_add_f32_e32 v0, v0, v1
	v_add_f32_e32 v1, v2, v3
	;; [unrolled: 1-line block ×4, first 2 shown]
	v_cmp_eq_f32_e64 s[2:3], s16, 0
	s_and_b64 vcc, exec, s[2:3]
	v_mul_f32_e32 v0, s18, v0
	v_mul_f32_e32 v1, s18, v1
	;; [unrolled: 1-line block ×4, first 2 shown]
	v_lshlrev_b32_e32 v4, 2, v4
	s_cbranch_vccz .LBB22_40
; %bb.39:
	v_ashrrev_i32_e32 v5, 31, v4
	v_lshlrev_b64 v[5:6], 2, v[4:5]
	s_waitcnt lgkmcnt(0)
	v_mov_b32_e32 v7, s1
	v_add_co_u32_e32 v5, vcc, s0, v5
	v_addc_co_u32_e32 v6, vcc, v7, v6, vcc
	global_store_dwordx4 v[5:6], v[0:3], off
	s_cbranch_execnz .LBB22_10
	s_branch .LBB22_41
.LBB22_40:
.LBB22_41:
	v_ashrrev_i32_e32 v5, 31, v4
	v_lshlrev_b64 v[4:5], 2, v[4:5]
	s_waitcnt lgkmcnt(0)
	v_mov_b32_e32 v6, s1
	v_add_co_u32_e32 v8, vcc, s0, v4
	v_addc_co_u32_e32 v9, vcc, v6, v5, vcc
	global_load_dwordx4 v[4:7], v[8:9], off
	s_waitcnt vmcnt(0)
	v_fmac_f32_e32 v0, s16, v4
	v_fmac_f32_e32 v1, s16, v5
	;; [unrolled: 1-line block ×4, first 2 shown]
	global_store_dwordx4 v[8:9], v[0:3], off
	s_endpgm
	.section	.rodata,"a",@progbits
	.p2align	6, 0x0
	.amdhsa_kernel _ZN9rocsparseL18bsrxmvn_4x4_kernelILj128ELj16EflifffEEvT3_20rocsparse_direction_NS_24const_host_device_scalarIT1_EES1_PKS1_PKT2_SA_S7_PKT4_PKT5_S5_PT6_21rocsparse_index_base_b
		.amdhsa_group_segment_fixed_size 0
		.amdhsa_private_segment_fixed_size 0
		.amdhsa_kernarg_size 96
		.amdhsa_user_sgpr_count 6
		.amdhsa_user_sgpr_private_segment_buffer 1
		.amdhsa_user_sgpr_dispatch_ptr 0
		.amdhsa_user_sgpr_queue_ptr 0
		.amdhsa_user_sgpr_kernarg_segment_ptr 1
		.amdhsa_user_sgpr_dispatch_id 0
		.amdhsa_user_sgpr_flat_scratch_init 0
		.amdhsa_user_sgpr_private_segment_size 0
		.amdhsa_uses_dynamic_stack 0
		.amdhsa_system_sgpr_private_segment_wavefront_offset 0
		.amdhsa_system_sgpr_workgroup_id_x 1
		.amdhsa_system_sgpr_workgroup_id_y 0
		.amdhsa_system_sgpr_workgroup_id_z 0
		.amdhsa_system_sgpr_workgroup_info 0
		.amdhsa_system_vgpr_workitem_id 0
		.amdhsa_next_free_vgpr 55
		.amdhsa_next_free_sgpr 22
		.amdhsa_reserve_vcc 1
		.amdhsa_reserve_flat_scratch 0
		.amdhsa_float_round_mode_32 0
		.amdhsa_float_round_mode_16_64 0
		.amdhsa_float_denorm_mode_32 3
		.amdhsa_float_denorm_mode_16_64 3
		.amdhsa_dx10_clamp 1
		.amdhsa_ieee_mode 1
		.amdhsa_fp16_overflow 0
		.amdhsa_exception_fp_ieee_invalid_op 0
		.amdhsa_exception_fp_denorm_src 0
		.amdhsa_exception_fp_ieee_div_zero 0
		.amdhsa_exception_fp_ieee_overflow 0
		.amdhsa_exception_fp_ieee_underflow 0
		.amdhsa_exception_fp_ieee_inexact 0
		.amdhsa_exception_int_div_zero 0
	.end_amdhsa_kernel
	.section	.text._ZN9rocsparseL18bsrxmvn_4x4_kernelILj128ELj16EflifffEEvT3_20rocsparse_direction_NS_24const_host_device_scalarIT1_EES1_PKS1_PKT2_SA_S7_PKT4_PKT5_S5_PT6_21rocsparse_index_base_b,"axG",@progbits,_ZN9rocsparseL18bsrxmvn_4x4_kernelILj128ELj16EflifffEEvT3_20rocsparse_direction_NS_24const_host_device_scalarIT1_EES1_PKS1_PKT2_SA_S7_PKT4_PKT5_S5_PT6_21rocsparse_index_base_b,comdat
.Lfunc_end22:
	.size	_ZN9rocsparseL18bsrxmvn_4x4_kernelILj128ELj16EflifffEEvT3_20rocsparse_direction_NS_24const_host_device_scalarIT1_EES1_PKS1_PKT2_SA_S7_PKT4_PKT5_S5_PT6_21rocsparse_index_base_b, .Lfunc_end22-_ZN9rocsparseL18bsrxmvn_4x4_kernelILj128ELj16EflifffEEvT3_20rocsparse_direction_NS_24const_host_device_scalarIT1_EES1_PKS1_PKT2_SA_S7_PKT4_PKT5_S5_PT6_21rocsparse_index_base_b
                                        ; -- End function
	.set _ZN9rocsparseL18bsrxmvn_4x4_kernelILj128ELj16EflifffEEvT3_20rocsparse_direction_NS_24const_host_device_scalarIT1_EES1_PKS1_PKT2_SA_S7_PKT4_PKT5_S5_PT6_21rocsparse_index_base_b.num_vgpr, 55
	.set _ZN9rocsparseL18bsrxmvn_4x4_kernelILj128ELj16EflifffEEvT3_20rocsparse_direction_NS_24const_host_device_scalarIT1_EES1_PKS1_PKT2_SA_S7_PKT4_PKT5_S5_PT6_21rocsparse_index_base_b.num_agpr, 0
	.set _ZN9rocsparseL18bsrxmvn_4x4_kernelILj128ELj16EflifffEEvT3_20rocsparse_direction_NS_24const_host_device_scalarIT1_EES1_PKS1_PKT2_SA_S7_PKT4_PKT5_S5_PT6_21rocsparse_index_base_b.numbered_sgpr, 22
	.set _ZN9rocsparseL18bsrxmvn_4x4_kernelILj128ELj16EflifffEEvT3_20rocsparse_direction_NS_24const_host_device_scalarIT1_EES1_PKS1_PKT2_SA_S7_PKT4_PKT5_S5_PT6_21rocsparse_index_base_b.num_named_barrier, 0
	.set _ZN9rocsparseL18bsrxmvn_4x4_kernelILj128ELj16EflifffEEvT3_20rocsparse_direction_NS_24const_host_device_scalarIT1_EES1_PKS1_PKT2_SA_S7_PKT4_PKT5_S5_PT6_21rocsparse_index_base_b.private_seg_size, 0
	.set _ZN9rocsparseL18bsrxmvn_4x4_kernelILj128ELj16EflifffEEvT3_20rocsparse_direction_NS_24const_host_device_scalarIT1_EES1_PKS1_PKT2_SA_S7_PKT4_PKT5_S5_PT6_21rocsparse_index_base_b.uses_vcc, 1
	.set _ZN9rocsparseL18bsrxmvn_4x4_kernelILj128ELj16EflifffEEvT3_20rocsparse_direction_NS_24const_host_device_scalarIT1_EES1_PKS1_PKT2_SA_S7_PKT4_PKT5_S5_PT6_21rocsparse_index_base_b.uses_flat_scratch, 0
	.set _ZN9rocsparseL18bsrxmvn_4x4_kernelILj128ELj16EflifffEEvT3_20rocsparse_direction_NS_24const_host_device_scalarIT1_EES1_PKS1_PKT2_SA_S7_PKT4_PKT5_S5_PT6_21rocsparse_index_base_b.has_dyn_sized_stack, 0
	.set _ZN9rocsparseL18bsrxmvn_4x4_kernelILj128ELj16EflifffEEvT3_20rocsparse_direction_NS_24const_host_device_scalarIT1_EES1_PKS1_PKT2_SA_S7_PKT4_PKT5_S5_PT6_21rocsparse_index_base_b.has_recursion, 0
	.set _ZN9rocsparseL18bsrxmvn_4x4_kernelILj128ELj16EflifffEEvT3_20rocsparse_direction_NS_24const_host_device_scalarIT1_EES1_PKS1_PKT2_SA_S7_PKT4_PKT5_S5_PT6_21rocsparse_index_base_b.has_indirect_call, 0
	.section	.AMDGPU.csdata,"",@progbits
; Kernel info:
; codeLenInByte = 3184
; TotalNumSgprs: 26
; NumVgprs: 55
; ScratchSize: 0
; MemoryBound: 0
; FloatMode: 240
; IeeeMode: 1
; LDSByteSize: 0 bytes/workgroup (compile time only)
; SGPRBlocks: 3
; VGPRBlocks: 13
; NumSGPRsForWavesPerEU: 26
; NumVGPRsForWavesPerEU: 55
; Occupancy: 4
; WaveLimiterHint : 1
; COMPUTE_PGM_RSRC2:SCRATCH_EN: 0
; COMPUTE_PGM_RSRC2:USER_SGPR: 6
; COMPUTE_PGM_RSRC2:TRAP_HANDLER: 0
; COMPUTE_PGM_RSRC2:TGID_X_EN: 1
; COMPUTE_PGM_RSRC2:TGID_Y_EN: 0
; COMPUTE_PGM_RSRC2:TGID_Z_EN: 0
; COMPUTE_PGM_RSRC2:TIDIG_COMP_CNT: 0
	.section	.text._ZN9rocsparseL18bsrxmvn_4x4_kernelILj128ELj32EflifffEEvT3_20rocsparse_direction_NS_24const_host_device_scalarIT1_EES1_PKS1_PKT2_SA_S7_PKT4_PKT5_S5_PT6_21rocsparse_index_base_b,"axG",@progbits,_ZN9rocsparseL18bsrxmvn_4x4_kernelILj128ELj32EflifffEEvT3_20rocsparse_direction_NS_24const_host_device_scalarIT1_EES1_PKS1_PKT2_SA_S7_PKT4_PKT5_S5_PT6_21rocsparse_index_base_b,comdat
	.globl	_ZN9rocsparseL18bsrxmvn_4x4_kernelILj128ELj32EflifffEEvT3_20rocsparse_direction_NS_24const_host_device_scalarIT1_EES1_PKS1_PKT2_SA_S7_PKT4_PKT5_S5_PT6_21rocsparse_index_base_b ; -- Begin function _ZN9rocsparseL18bsrxmvn_4x4_kernelILj128ELj32EflifffEEvT3_20rocsparse_direction_NS_24const_host_device_scalarIT1_EES1_PKS1_PKT2_SA_S7_PKT4_PKT5_S5_PT6_21rocsparse_index_base_b
	.p2align	8
	.type	_ZN9rocsparseL18bsrxmvn_4x4_kernelILj128ELj32EflifffEEvT3_20rocsparse_direction_NS_24const_host_device_scalarIT1_EES1_PKS1_PKT2_SA_S7_PKT4_PKT5_S5_PT6_21rocsparse_index_base_b,@function
_ZN9rocsparseL18bsrxmvn_4x4_kernelILj128ELj32EflifffEEvT3_20rocsparse_direction_NS_24const_host_device_scalarIT1_EES1_PKS1_PKT2_SA_S7_PKT4_PKT5_S5_PT6_21rocsparse_index_base_b: ; @_ZN9rocsparseL18bsrxmvn_4x4_kernelILj128ELj32EflifffEEvT3_20rocsparse_direction_NS_24const_host_device_scalarIT1_EES1_PKS1_PKT2_SA_S7_PKT4_PKT5_S5_PT6_21rocsparse_index_base_b
; %bb.0:
	s_load_dwordx2 s[20:21], s[4:5], 0x58
	s_load_dwordx2 s[18:19], s[4:5], 0x8
	;; [unrolled: 1-line block ×3, first 2 shown]
	s_waitcnt lgkmcnt(0)
	s_bitcmp1_b32 s21, 0
	s_cselect_b64 s[2:3], -1, 0
	s_xor_b64 s[0:1], s[2:3], -1
	s_and_b64 vcc, exec, s[2:3]
	s_cbranch_vccnz .LBB23_2
; %bb.1:
	s_load_dword s18, s[18:19], 0x0
.LBB23_2:
	s_andn2_b64 vcc, exec, s[0:1]
	s_cbranch_vccnz .LBB23_4
; %bb.3:
	s_load_dword s16, s[16:17], 0x0
.LBB23_4:
	s_waitcnt lgkmcnt(0)
	v_cmp_neq_f32_e64 s[0:1], s18, 0
	v_cmp_neq_f32_e64 s[2:3], s16, 1.0
	s_or_b64 s[0:1], s[0:1], s[2:3]
	s_andn2_b64 vcc, exec, s[0:1]
	s_cbranch_vccnz .LBB23_10
; %bb.5:
	s_load_dwordx2 s[8:9], s[4:5], 0x18
	s_load_dwordx2 s[0:1], s[4:5], 0x0
	v_lshrrev_b32_e32 v1, 5, v0
	v_lshl_or_b32 v4, s6, 2, v1
	s_mov_b64 s[2:3], 0
	s_waitcnt lgkmcnt(0)
	s_cmp_lg_u64 s[8:9], 0
	s_cbranch_scc0 .LBB23_11
; %bb.6:
	s_load_dword s6, s[4:5], 0x10
                                        ; implicit-def: $vgpr1
	s_waitcnt lgkmcnt(0)
	v_cmp_gt_i32_e32 vcc, s6, v4
	s_and_saveexec_b64 s[6:7], vcc
	s_xor_b64 s[6:7], exec, s[6:7]
	s_cbranch_execz .LBB23_8
; %bb.7:
	v_ashrrev_i32_e32 v5, 31, v4
	v_lshlrev_b64 v[1:2], 2, v[4:5]
	v_mov_b32_e32 v3, s9
	v_add_co_u32_e32 v1, vcc, s8, v1
	v_addc_co_u32_e32 v2, vcc, v3, v2, vcc
	global_load_dword v1, v[1:2], off
	s_mov_b64 s[2:3], exec
	s_waitcnt vmcnt(0)
	v_subrev_u32_e32 v1, s20, v1
.LBB23_8:
	s_or_b64 exec, exec, s[6:7]
	s_branch .LBB23_12
.LBB23_9:
	v_cmp_gt_i32_e32 vcc, s0, v4
	s_andn2_b64 s[2:3], s[2:3], exec
	s_and_b64 s[6:7], vcc, exec
	s_or_b64 s[2:3], s[2:3], s[6:7]
	s_and_saveexec_b64 s[6:7], s[2:3]
	s_cbranch_execnz .LBB23_13
.LBB23_10:
	s_endpgm
.LBB23_11:
                                        ; implicit-def: $vgpr1
	s_cbranch_execnz .LBB23_9
.LBB23_12:
	v_mov_b32_e32 v4, v1
	s_and_saveexec_b64 s[6:7], s[2:3]
	s_cbranch_execz .LBB23_10
.LBB23_13:
	s_load_dwordx8 s[8:15], s[4:5], 0x20
	v_ashrrev_i32_e32 v5, 31, v4
	v_lshlrev_b64 v[1:2], 3, v[4:5]
	v_and_b32_e32 v21, 31, v0
	v_mov_b32_e32 v7, 0
	s_waitcnt lgkmcnt(0)
	v_mov_b32_e32 v3, s9
	v_add_co_u32_e32 v5, vcc, s8, v1
	v_addc_co_u32_e32 v6, vcc, v3, v2, vcc
	v_add_co_u32_e32 v3, vcc, 8, v5
	global_load_dwordx2 v[9:10], v[5:6], off
	v_addc_co_u32_e32 v5, vcc, 0, v6, vcc
	v_mov_b32_e32 v6, s11
	v_add_co_u32_e32 v1, vcc, s10, v1
	s_cmp_eq_u64 s[10:11], 0
	v_addc_co_u32_e32 v2, vcc, v6, v2, vcc
	s_cselect_b64 vcc, -1, 0
	v_cndmask_b32_e32 v2, v2, v5, vcc
	v_cndmask_b32_e32 v1, v1, v3, vcc
	global_load_dwordx2 v[2:3], v[1:2], off
	s_load_dwordx2 s[8:9], s[4:5], 0x40
	v_mov_b32_e32 v8, s15
	s_cmp_eq_u32 s1, 1
	s_waitcnt vmcnt(1)
	v_subrev_co_u32_e32 v0, vcc, s20, v9
	v_subbrev_co_u32_e32 v1, vcc, 0, v10, vcc
	v_add_co_u32_e32 v0, vcc, v0, v21
	v_addc_co_u32_e32 v1, vcc, 0, v1, vcc
	v_lshlrev_b64 v[5:6], 6, v[0:1]
	s_waitcnt vmcnt(0)
	v_subrev_co_u32_e32 v2, vcc, s20, v2
	v_subbrev_co_u32_e32 v3, vcc, 0, v3, vcc
	v_cmp_lt_i64_e64 s[0:1], v[0:1], v[2:3]
	v_add_co_u32_e32 v5, vcc, s14, v5
	v_addc_co_u32_e32 v6, vcc, v8, v6, vcc
	s_cbranch_scc1 .LBB23_25
; %bb.14:
	v_mov_b32_e32 v22, 0
	v_mov_b32_e32 v23, 0
	;; [unrolled: 1-line block ×3, first 2 shown]
	s_and_saveexec_b64 s[10:11], s[0:1]
	s_cbranch_execz .LBB23_24
; %bb.15:
	v_or_b32_e32 v7, 32, v21
	v_subrev_co_u32_e32 v7, vcc, s20, v7
	v_subb_co_u32_e64 v8, s[2:3], 0, 0, vcc
	v_add_co_u32_e32 v7, vcc, v7, v9
	v_addc_co_u32_e32 v8, vcc, v8, v10, vcc
	v_cmp_gt_i64_e32 vcc, v[7:8], v[2:3]
	v_not_b32_e32 v12, v9
	v_cndmask_b32_e32 v8, v3, v8, vcc
	v_cndmask_b32_e32 v7, v2, v7, vcc
	v_sub_co_u32_e32 v13, vcc, s20, v21
	v_not_b32_e32 v11, v10
	v_subb_co_u32_e64 v14, s[2:3], 0, 0, vcc
	v_add_co_u32_e32 v12, vcc, v13, v12
	v_addc_co_u32_e32 v11, vcc, v14, v11, vcc
	v_add_co_u32_e32 v15, vcc, v12, v7
	v_addc_co_u32_e32 v16, vcc, v11, v8, vcc
	v_and_b32_e32 v7, 0x60, v15
	v_mov_b32_e32 v8, 0
	s_mov_b64 s[2:3], 0x60
	v_cmp_ne_u64_e32 vcc, s[2:3], v[7:8]
	v_mov_b32_e32 v12, v1
	v_mov_b32_e32 v14, v6
	;; [unrolled: 1-line block ×7, first 2 shown]
	s_and_saveexec_b64 s[6:7], vcc
	s_cbranch_execz .LBB23_19
; %bb.16:
	v_lshlrev_b64 v[11:12], 2, v[0:1]
	v_lshrrev_b32_e32 v7, 5, v15
	v_add_u32_e32 v7, 1, v7
	v_mov_b32_e32 v13, s13
	v_add_co_u32_e32 v17, vcc, s12, v11
	v_and_b32_e32 v8, 3, v7
	v_addc_co_u32_e32 v18, vcc, v13, v12, vcc
	v_sub_co_u32_e32 v19, vcc, 0, v8
	v_mov_b32_e32 v14, v6
	v_mov_b32_e32 v12, v1
	;; [unrolled: 1-line block ×3, first 2 shown]
	s_mov_b64 s[14:15], 0
	v_subb_co_u32_e64 v20, s[2:3], 0, 0, vcc
	s_movk_i32 s17, 0x800
	s_waitcnt lgkmcnt(0)
	v_mov_b32_e32 v24, s9
	v_mov_b32_e32 v13, v5
	;; [unrolled: 1-line block ×6, first 2 shown]
.LBB23_17:                              ; =>This Inner Loop Header: Depth=1
	global_load_dword v41, v[17:18], off
	global_load_dwordx4 v[25:28], v[13:14], off
	global_load_dwordx4 v[29:32], v[13:14], off offset:16
	global_load_dwordx4 v[33:36], v[13:14], off offset:32
	;; [unrolled: 1-line block ×3, first 2 shown]
	v_add_co_u32_e64 v11, s[2:3], 32, v11
	v_addc_co_u32_e64 v12, s[2:3], 0, v12, s[2:3]
	v_add_co_u32_e64 v19, s[2:3], 1, v19
	v_addc_co_u32_e64 v20, s[2:3], 0, v20, s[2:3]
	v_cmp_eq_u64_e64 s[2:3], 0, v[19:20]
	s_or_b64 s[14:15], s[2:3], s[14:15]
	s_waitcnt vmcnt(4)
	v_subrev_u32_e32 v41, s20, v41
	v_lshlrev_b32_e32 v41, 2, v41
	v_ashrrev_i32_e32 v42, 31, v41
	v_lshlrev_b64 v[41:42], 2, v[41:42]
	v_add_co_u32_e32 v41, vcc, s8, v41
	v_addc_co_u32_e32 v42, vcc, v24, v42, vcc
	global_load_dwordx4 v[41:44], v[41:42], off
	v_add_co_u32_e32 v13, vcc, s17, v13
	v_addc_co_u32_e32 v14, vcc, 0, v14, vcc
	v_add_co_u32_e32 v17, vcc, 0x80, v17
	v_addc_co_u32_e32 v18, vcc, 0, v18, vcc
	s_waitcnt vmcnt(0)
	v_fmac_f32_e32 v8, v25, v41
	v_fmac_f32_e32 v23, v29, v41
	;; [unrolled: 1-line block ×16, first 2 shown]
	s_andn2_b64 exec, exec, s[14:15]
	s_cbranch_execnz .LBB23_17
; %bb.18:
	s_or_b64 exec, exec, s[14:15]
.LBB23_19:
	s_or_b64 exec, exec, s[6:7]
	s_mov_b64 s[2:3], 0x5f
	v_cmp_lt_u64_e32 vcc, s[2:3], v[15:16]
	s_and_saveexec_b64 s[14:15], vcc
	s_cbranch_execz .LBB23_23
; %bb.20:
	v_lshlrev_b64 v[15:16], 2, v[11:12]
	v_mov_b32_e32 v17, s13
	v_add_co_u32_e32 v15, vcc, s12, v15
	v_addc_co_u32_e32 v16, vcc, v17, v16, vcc
	v_add_co_u32_e32 v15, vcc, 0x100, v15
	v_addc_co_u32_e32 v16, vcc, 0, v16, vcc
	s_mov_b64 s[22:23], 0
	s_waitcnt lgkmcnt(0)
	v_mov_b32_e32 v17, s9
	s_movk_i32 s17, 0x1000
.LBB23_21:                              ; =>This Inner Loop Header: Depth=1
	global_load_dword v18, v[15:16], off offset:-256
	global_load_dword v19, v[15:16], off offset:-128
	global_load_dwordx4 v[24:27], v[13:14], off offset:16
	global_load_dwordx4 v[28:31], v[13:14], off
	global_load_dwordx4 v[32:35], v[13:14], off offset:32
	global_load_dwordx4 v[36:39], v[13:14], off offset:48
	;; [unrolled: 1-line block ×3, first 2 shown]
	global_load_dword v20, v[15:16], off
	global_load_dword v54, v[15:16], off offset:128
	s_waitcnt vmcnt(8)
	v_subrev_u32_e32 v18, s20, v18
	s_waitcnt vmcnt(7)
	v_subrev_u32_e32 v19, s20, v19
	v_lshlrev_b32_e32 v18, 2, v18
	v_lshlrev_b32_e32 v44, 2, v19
	v_ashrrev_i32_e32 v19, 31, v18
	v_lshlrev_b64 v[18:19], 2, v[18:19]
	v_ashrrev_i32_e32 v45, 31, v44
	v_lshlrev_b64 v[44:45], 2, v[44:45]
	v_add_co_u32_e32 v18, vcc, s8, v18
	v_addc_co_u32_e32 v19, vcc, v17, v19, vcc
	v_add_co_u32_e32 v52, vcc, s8, v44
	v_addc_co_u32_e32 v53, vcc, v17, v45, vcc
	global_load_dwordx4 v[44:47], v[18:19], off
	global_load_dwordx4 v[48:51], v[52:53], off
	s_waitcnt vmcnt(3)
	v_subrev_u32_e32 v20, s20, v20
	v_add_co_u32_e32 v18, vcc, s17, v13
	v_addc_co_u32_e32 v19, vcc, 0, v14, vcc
	s_waitcnt vmcnt(1)
	v_fmac_f32_e32 v8, v28, v44
	v_fmac_f32_e32 v8, v29, v45
	;; [unrolled: 1-line block ×8, first 2 shown]
	global_load_dwordx4 v[28:31], v[13:14], off offset:2064
	v_fmac_f32_e32 v23, v26, v46
	v_fmac_f32_e32 v22, v34, v46
	;; [unrolled: 1-line block ×3, first 2 shown]
	global_load_dwordx4 v[24:27], v[13:14], off offset:2080
	v_fmac_f32_e32 v22, v35, v47
	global_load_dwordx4 v[32:35], v[13:14], off offset:2096
	v_fmac_f32_e32 v7, v36, v44
	v_fmac_f32_e32 v7, v37, v45
	v_subrev_u32_e32 v45, s20, v54
	v_lshlrev_b32_e32 v44, 2, v20
	v_fmac_f32_e32 v7, v38, v46
	v_lshlrev_b32_e32 v46, 2, v45
	v_ashrrev_i32_e32 v45, 31, v44
	v_lshlrev_b64 v[44:45], 2, v[44:45]
	v_fmac_f32_e32 v7, v39, v47
	s_waitcnt vmcnt(3)
	v_fmac_f32_e32 v8, v40, v48
	v_ashrrev_i32_e32 v47, 31, v46
	global_load_dwordx4 v[36:39], v[18:19], off
	v_fmac_f32_e32 v8, v41, v49
	v_lshlrev_b64 v[46:47], 2, v[46:47]
	v_add_co_u32_e32 v52, vcc, s8, v44
	v_fmac_f32_e32 v8, v42, v50
	v_addc_co_u32_e32 v53, vcc, v17, v45, vcc
	v_fmac_f32_e32 v8, v43, v51
	global_load_dwordx4 v[40:43], v[18:19], off offset:16
	v_add_co_u32_e32 v54, vcc, s8, v46
	v_addc_co_u32_e32 v55, vcc, v17, v47, vcc
	v_add_co_u32_e32 v11, vcc, 0x80, v11
	s_mov_b64 s[2:3], vcc
	v_add_co_u32_e32 v15, vcc, 0x200, v15
	s_mov_b64 s[6:7], vcc
	v_addc_co_u32_e64 v12, vcc, 0, v12, s[2:3]
	v_addc_co_u32_e64 v16, s[2:3], 0, v16, s[6:7]
	v_cmp_ge_i64_e64 s[2:3], v[11:12], v[2:3]
	v_add_co_u32_e32 v13, vcc, 0x2000, v13
	v_addc_co_u32_e32 v14, vcc, 0, v14, vcc
	s_or_b64 s[22:23], s[2:3], s[22:23]
	s_waitcnt vmcnt(4)
	v_fmac_f32_e32 v23, v28, v48
	v_fmac_f32_e32 v23, v29, v49
	;; [unrolled: 1-line block ×4, first 2 shown]
	s_waitcnt vmcnt(3)
	v_fmac_f32_e32 v22, v24, v48
	v_fmac_f32_e32 v22, v25, v49
	s_waitcnt vmcnt(2)
	v_fmac_f32_e32 v7, v32, v48
	v_fmac_f32_e32 v7, v33, v49
	global_load_dwordx4 v[28:31], v[18:19], off offset:32
	v_fmac_f32_e32 v22, v26, v50
	v_fmac_f32_e32 v7, v34, v50
	;; [unrolled: 1-line block ×3, first 2 shown]
	global_load_dwordx4 v[24:27], v[18:19], off offset:48
	v_fmac_f32_e32 v7, v35, v51
	global_load_dwordx4 v[32:35], v[18:19], off offset:2064
	global_load_dwordx4 v[44:47], v[52:53], off
	global_load_dwordx4 v[48:51], v[54:55], off
	s_waitcnt vmcnt(1)
	v_fmac_f32_e32 v8, v36, v44
	v_fmac_f32_e32 v23, v40, v44
	;; [unrolled: 1-line block ×10, first 2 shown]
	global_load_dwordx4 v[36:39], v[18:19], off offset:2048
	v_fmac_f32_e32 v23, v43, v47
	global_load_dwordx4 v[40:43], v[18:19], off offset:2080
	v_fmac_f32_e32 v22, v31, v47
	;; [unrolled: 2-line block ×3, first 2 shown]
	v_fmac_f32_e32 v7, v25, v45
	v_fmac_f32_e32 v7, v26, v46
	;; [unrolled: 1-line block ×3, first 2 shown]
	s_waitcnt vmcnt(3)
	v_fmac_f32_e32 v23, v32, v48
	v_fmac_f32_e32 v23, v33, v49
	;; [unrolled: 1-line block ×4, first 2 shown]
	s_waitcnt vmcnt(2)
	v_fmac_f32_e32 v8, v36, v48
	v_fmac_f32_e32 v8, v37, v49
	s_waitcnt vmcnt(1)
	v_fmac_f32_e32 v22, v40, v48
	v_fmac_f32_e32 v22, v41, v49
	;; [unrolled: 3-line block ×3, first 2 shown]
	v_fmac_f32_e32 v8, v38, v50
	v_fmac_f32_e32 v22, v42, v50
	;; [unrolled: 1-line block ×6, first 2 shown]
	s_andn2_b64 exec, exec, s[22:23]
	s_cbranch_execnz .LBB23_21
; %bb.22:
	s_or_b64 exec, exec, s[22:23]
.LBB23_23:
	s_or_b64 exec, exec, s[14:15]
.LBB23_24:
	s_or_b64 exec, exec, s[10:11]
	s_cbranch_execz .LBB23_26
	s_branch .LBB23_37
.LBB23_25:
                                        ; implicit-def: $vgpr7
                                        ; implicit-def: $vgpr22
                                        ; implicit-def: $vgpr23
                                        ; implicit-def: $vgpr8
.LBB23_26:
	v_mov_b32_e32 v7, 0
	v_mov_b32_e32 v22, 0
	v_mov_b32_e32 v23, 0
	v_mov_b32_e32 v8, 0
	s_and_saveexec_b64 s[2:3], s[0:1]
	s_cbranch_execz .LBB23_36
; %bb.27:
	v_or_b32_e32 v7, 32, v21
	v_subrev_co_u32_e32 v7, vcc, s20, v7
	v_subb_co_u32_e64 v8, s[0:1], 0, 0, vcc
	v_add_co_u32_e32 v7, vcc, v7, v9
	v_addc_co_u32_e32 v8, vcc, v8, v10, vcc
	v_cmp_gt_i64_e32 vcc, v[7:8], v[2:3]
	v_not_b32_e32 v9, v9
	v_cndmask_b32_e32 v8, v3, v8, vcc
	v_cndmask_b32_e32 v7, v2, v7, vcc
	v_sub_co_u32_e32 v11, vcc, s20, v21
	v_not_b32_e32 v10, v10
	v_subb_co_u32_e64 v12, s[0:1], 0, 0, vcc
	v_add_co_u32_e32 v9, vcc, v11, v9
	v_addc_co_u32_e32 v10, vcc, v12, v10, vcc
	v_add_co_u32_e32 v9, vcc, v9, v7
	v_addc_co_u32_e32 v10, vcc, v10, v8, vcc
	v_and_b32_e32 v7, 0x60, v9
	v_mov_b32_e32 v8, 0
	s_mov_b64 s[0:1], 0x60
	v_cmp_ne_u64_e32 vcc, s[0:1], v[7:8]
	v_mov_b32_e32 v23, v8
	v_mov_b32_e32 v22, v8
	;; [unrolled: 1-line block ×3, first 2 shown]
	s_and_saveexec_b64 s[6:7], vcc
	s_cbranch_execz .LBB23_31
; %bb.28:
	v_lshlrev_b64 v[11:12], 2, v[0:1]
	v_lshrrev_b32_e32 v7, 5, v9
	v_add_u32_e32 v7, 1, v7
	v_mov_b32_e32 v13, s13
	v_add_co_u32_e32 v11, vcc, s12, v11
	v_and_b32_e32 v8, 3, v7
	v_addc_co_u32_e32 v12, vcc, v13, v12, vcc
	v_sub_co_u32_e32 v13, vcc, 0, v8
	v_mov_b32_e32 v7, 0
	s_mov_b64 s[10:11], 0
	v_subb_co_u32_e64 v14, s[0:1], 0, 0, vcc
	s_movk_i32 s14, 0x800
	s_waitcnt lgkmcnt(0)
	v_mov_b32_e32 v15, s9
	v_mov_b32_e32 v22, 0
	;; [unrolled: 1-line block ×4, first 2 shown]
.LBB23_29:                              ; =>This Inner Loop Header: Depth=1
	global_load_dword v20, v[11:12], off
	global_load_dwordx4 v[16:19], v[5:6], off offset:32
	global_load_dwordx4 v[24:27], v[5:6], off offset:16
	global_load_dwordx4 v[28:31], v[5:6], off
	v_add_co_u32_e64 v0, s[0:1], 32, v0
	v_addc_co_u32_e64 v1, s[0:1], 0, v1, s[0:1]
	v_add_co_u32_e64 v13, s[0:1], 1, v13
	v_addc_co_u32_e64 v14, s[0:1], 0, v14, s[0:1]
	v_cmp_eq_u64_e64 s[0:1], 0, v[13:14]
	s_or_b64 s[10:11], s[0:1], s[10:11]
	s_waitcnt vmcnt(3)
	v_subrev_u32_e32 v20, s20, v20
	v_lshlrev_b32_e32 v32, 2, v20
	v_ashrrev_i32_e32 v33, 31, v32
	v_lshlrev_b64 v[32:33], 2, v[32:33]
	v_add_co_u32_e32 v40, vcc, s8, v32
	v_addc_co_u32_e32 v41, vcc, v15, v33, vcc
	global_load_dwordx4 v[32:35], v[40:41], off
	global_load_dwordx4 v[36:39], v[5:6], off offset:48
	v_add_co_u32_e32 v5, vcc, s14, v5
	v_addc_co_u32_e32 v6, vcc, 0, v6, vcc
	v_add_co_u32_e32 v11, vcc, 0x80, v11
	v_addc_co_u32_e32 v12, vcc, 0, v12, vcc
	s_waitcnt vmcnt(1)
	v_fmac_f32_e32 v8, v28, v32
	v_fmac_f32_e32 v23, v29, v32
	;; [unrolled: 1-line block ×12, first 2 shown]
	s_waitcnt vmcnt(0)
	v_fmac_f32_e32 v8, v36, v35
	v_fmac_f32_e32 v23, v37, v35
	v_fmac_f32_e32 v22, v38, v35
	v_fmac_f32_e32 v7, v39, v35
	s_andn2_b64 exec, exec, s[10:11]
	s_cbranch_execnz .LBB23_29
; %bb.30:
	s_or_b64 exec, exec, s[10:11]
.LBB23_31:
	s_or_b64 exec, exec, s[6:7]
	s_mov_b64 s[0:1], 0x5f
	v_cmp_lt_u64_e32 vcc, s[0:1], v[9:10]
	s_and_saveexec_b64 s[6:7], vcc
	s_cbranch_execz .LBB23_35
; %bb.32:
	v_lshlrev_b64 v[9:10], 2, v[0:1]
	v_mov_b32_e32 v11, s13
	v_add_co_u32_e32 v9, vcc, s12, v9
	v_addc_co_u32_e32 v10, vcc, v11, v10, vcc
	v_add_co_u32_e32 v9, vcc, 0x100, v9
	v_addc_co_u32_e32 v10, vcc, 0, v10, vcc
	s_mov_b64 s[10:11], 0
	s_waitcnt lgkmcnt(0)
	v_mov_b32_e32 v11, s9
	s_movk_i32 s9, 0x1000
.LBB23_33:                              ; =>This Inner Loop Header: Depth=1
	global_load_dword v20, v[9:10], off offset:-256
	global_load_dword v36, v[9:10], off offset:-128
	global_load_dwordx4 v[12:15], v[5:6], off offset:16
	global_load_dwordx4 v[16:19], v[5:6], off
	global_load_dword v48, v[9:10], off
	global_load_dword v49, v[9:10], off offset:128
	global_load_dwordx4 v[24:27], v[5:6], off offset:32
	global_load_dwordx4 v[28:31], v[5:6], off offset:48
	;; [unrolled: 1-line block ×3, first 2 shown]
	s_waitcnt vmcnt(8)
	v_subrev_u32_e32 v20, s20, v20
	s_waitcnt vmcnt(7)
	v_subrev_u32_e32 v37, s20, v36
	v_lshlrev_b32_e32 v36, 2, v20
	v_lshlrev_b32_e32 v38, 2, v37
	v_ashrrev_i32_e32 v37, 31, v36
	v_lshlrev_b64 v[36:37], 2, v[36:37]
	v_ashrrev_i32_e32 v39, 31, v38
	v_lshlrev_b64 v[38:39], 2, v[38:39]
	v_add_co_u32_e32 v44, vcc, s8, v36
	v_addc_co_u32_e32 v45, vcc, v11, v37, vcc
	v_add_co_u32_e32 v46, vcc, s8, v38
	v_addc_co_u32_e32 v47, vcc, v11, v39, vcc
	global_load_dwordx4 v[36:39], v[44:45], off
	global_load_dwordx4 v[40:43], v[46:47], off
	s_waitcnt vmcnt(6)
	v_subrev_u32_e32 v20, s20, v48
	v_add_co_u32_e32 v44, vcc, s9, v5
	v_addc_co_u32_e32 v45, vcc, 0, v6, vcc
	s_waitcnt vmcnt(1)
	v_fmac_f32_e32 v8, v16, v36
	v_fmac_f32_e32 v23, v17, v36
	v_fmac_f32_e32 v22, v18, v36
	v_fmac_f32_e32 v7, v19, v36
	global_load_dwordx4 v[16:19], v[5:6], off offset:2064
	v_fmac_f32_e32 v8, v12, v37
	v_fmac_f32_e32 v23, v13, v37
	v_fmac_f32_e32 v22, v14, v37
	v_fmac_f32_e32 v7, v15, v37
	global_load_dwordx4 v[12:15], v[5:6], off offset:2080
	;; [unrolled: 5-line block ×3, first 2 shown]
	v_subrev_u32_e32 v37, s20, v49
	v_lshlrev_b32_e32 v36, 2, v20
	v_lshlrev_b32_e32 v38, 2, v37
	v_ashrrev_i32_e32 v37, 31, v36
	v_lshlrev_b64 v[36:37], 2, v[36:37]
	v_fmac_f32_e32 v8, v28, v39
	v_fmac_f32_e32 v23, v29, v39
	v_fmac_f32_e32 v22, v30, v39
	v_fmac_f32_e32 v7, v31, v39
	v_ashrrev_i32_e32 v39, 31, v38
	s_waitcnt vmcnt(3)
	v_fmac_f32_e32 v8, v32, v40
	v_fmac_f32_e32 v23, v33, v40
	;; [unrolled: 1-line block ×4, first 2 shown]
	v_lshlrev_b64 v[38:39], 2, v[38:39]
	v_add_co_u32_e32 v46, vcc, s8, v36
	v_addc_co_u32_e32 v47, vcc, v11, v37, vcc
	global_load_dwordx4 v[28:31], v[44:45], off
	v_add_co_u32_e32 v48, vcc, s8, v38
	global_load_dwordx4 v[32:35], v[44:45], off offset:32
	v_addc_co_u32_e32 v49, vcc, v11, v39, vcc
	v_add_co_u32_e32 v0, vcc, 0x80, v0
	v_addc_co_u32_e32 v1, vcc, 0, v1, vcc
	v_add_co_u32_e32 v9, vcc, 0x200, v9
	v_addc_co_u32_e32 v10, vcc, 0, v10, vcc
	v_cmp_ge_i64_e64 s[0:1], v[0:1], v[2:3]
	v_add_co_u32_e32 v5, vcc, 0x2000, v5
	v_addc_co_u32_e32 v6, vcc, 0, v6, vcc
	s_or_b64 s[10:11], s[0:1], s[10:11]
	s_waitcnt vmcnt(4)
	v_fmac_f32_e32 v8, v16, v41
	v_fmac_f32_e32 v23, v17, v41
	v_fmac_f32_e32 v22, v18, v41
	v_fmac_f32_e32 v7, v19, v41
	global_load_dwordx4 v[16:19], v[44:45], off offset:16
	s_waitcnt vmcnt(4)
	v_fmac_f32_e32 v8, v12, v42
	v_fmac_f32_e32 v23, v13, v42
	v_fmac_f32_e32 v22, v14, v42
	v_fmac_f32_e32 v7, v15, v42
	global_load_dwordx4 v[12:15], v[44:45], off offset:48
	;; [unrolled: 6-line block ×3, first 2 shown]
	global_load_dwordx4 v[36:39], v[46:47], off
	global_load_dwordx4 v[40:43], v[48:49], off
	s_waitcnt vmcnt(1)
	v_fmac_f32_e32 v8, v28, v36
	v_fmac_f32_e32 v23, v29, v36
	v_fmac_f32_e32 v22, v30, v36
	v_fmac_f32_e32 v7, v31, v36
	global_load_dwordx4 v[28:31], v[44:45], off offset:2064
	v_fmac_f32_e32 v8, v16, v37
	v_fmac_f32_e32 v23, v17, v37
	v_fmac_f32_e32 v22, v18, v37
	v_fmac_f32_e32 v7, v19, v37
	global_load_dwordx4 v[16:19], v[44:45], off offset:2080
	;; [unrolled: 5-line block ×3, first 2 shown]
	v_fmac_f32_e32 v8, v12, v39
	v_fmac_f32_e32 v23, v13, v39
	v_fmac_f32_e32 v22, v14, v39
	v_fmac_f32_e32 v7, v15, v39
	s_waitcnt vmcnt(3)
	v_fmac_f32_e32 v8, v24, v40
	v_fmac_f32_e32 v23, v25, v40
	v_fmac_f32_e32 v22, v26, v40
	v_fmac_f32_e32 v7, v27, v40
	s_waitcnt vmcnt(2)
	v_fmac_f32_e32 v8, v28, v41
	v_fmac_f32_e32 v23, v29, v41
	v_fmac_f32_e32 v22, v30, v41
	v_fmac_f32_e32 v7, v31, v41
	s_waitcnt vmcnt(1)
	v_fmac_f32_e32 v8, v16, v42
	v_fmac_f32_e32 v23, v17, v42
	v_fmac_f32_e32 v22, v18, v42
	v_fmac_f32_e32 v7, v19, v42
	s_waitcnt vmcnt(0)
	v_fmac_f32_e32 v8, v32, v43
	v_fmac_f32_e32 v23, v33, v43
	;; [unrolled: 1-line block ×4, first 2 shown]
	s_andn2_b64 exec, exec, s[10:11]
	s_cbranch_execnz .LBB23_33
; %bb.34:
	s_or_b64 exec, exec, s[10:11]
.LBB23_35:
	s_or_b64 exec, exec, s[6:7]
.LBB23_36:
	s_or_b64 exec, exec, s[2:3]
.LBB23_37:
	v_mov_b32_dpp v0, v8 row_shr:1 row_mask:0xf bank_mask:0xf
	v_add_f32_e32 v0, v8, v0
	v_mov_b32_dpp v2, v23 row_shr:1 row_mask:0xf bank_mask:0xf
	v_mov_b32_dpp v5, v22 row_shr:1 row_mask:0xf bank_mask:0xf
	;; [unrolled: 1-line block ×3, first 2 shown]
	v_add_f32_e32 v2, v23, v2
	v_add_f32_e32 v5, v22, v5
	v_add_f32_e32 v7, v7, v8
	v_mov_b32_dpp v1, v0 row_shr:2 row_mask:0xf bank_mask:0xf
	v_mov_b32_dpp v3, v2 row_shr:2 row_mask:0xf bank_mask:0xf
	v_mov_b32_dpp v6, v5 row_shr:2 row_mask:0xf bank_mask:0xf
	v_mov_b32_dpp v8, v7 row_shr:2 row_mask:0xf bank_mask:0xf
	v_add_f32_e32 v0, v0, v1
	v_add_f32_e32 v2, v2, v3
	v_add_f32_e32 v5, v5, v6
	v_add_f32_e32 v7, v7, v8
	v_mov_b32_dpp v1, v0 row_shr:4 row_mask:0xf bank_mask:0xe
	v_mov_b32_dpp v3, v2 row_shr:4 row_mask:0xf bank_mask:0xe
	v_mov_b32_dpp v6, v5 row_shr:4 row_mask:0xf bank_mask:0xe
	v_mov_b32_dpp v8, v7 row_shr:4 row_mask:0xf bank_mask:0xe
	v_add_f32_e32 v0, v0, v1
	;; [unrolled: 8-line block ×3, first 2 shown]
	v_add_f32_e32 v2, v2, v3
	v_add_f32_e32 v5, v5, v6
	;; [unrolled: 1-line block ×3, first 2 shown]
	v_mov_b32_dpp v1, v0 row_bcast:15 row_mask:0xa bank_mask:0xf
	v_mov_b32_dpp v3, v2 row_bcast:15 row_mask:0xa bank_mask:0xf
	;; [unrolled: 1-line block ×4, first 2 shown]
	v_cmp_eq_u32_e32 vcc, 31, v21
	s_and_b64 exec, exec, vcc
	s_cbranch_execz .LBB23_10
; %bb.38:
	s_load_dwordx2 s[0:1], s[4:5], 0x50
	v_add_f32_e32 v0, v0, v1
	v_add_f32_e32 v1, v2, v3
	v_add_f32_e32 v2, v5, v6
	v_add_f32_e32 v3, v7, v8
	v_cmp_eq_f32_e64 s[2:3], s16, 0
	s_and_b64 vcc, exec, s[2:3]
	v_mul_f32_e32 v0, s18, v0
	v_mul_f32_e32 v1, s18, v1
	;; [unrolled: 1-line block ×4, first 2 shown]
	v_lshlrev_b32_e32 v4, 2, v4
	s_cbranch_vccz .LBB23_40
; %bb.39:
	v_ashrrev_i32_e32 v5, 31, v4
	v_lshlrev_b64 v[5:6], 2, v[4:5]
	s_waitcnt lgkmcnt(0)
	v_mov_b32_e32 v7, s1
	v_add_co_u32_e32 v5, vcc, s0, v5
	v_addc_co_u32_e32 v6, vcc, v7, v6, vcc
	global_store_dwordx4 v[5:6], v[0:3], off
	s_cbranch_execnz .LBB23_10
	s_branch .LBB23_41
.LBB23_40:
.LBB23_41:
	v_ashrrev_i32_e32 v5, 31, v4
	v_lshlrev_b64 v[4:5], 2, v[4:5]
	s_waitcnt lgkmcnt(0)
	v_mov_b32_e32 v6, s1
	v_add_co_u32_e32 v8, vcc, s0, v4
	v_addc_co_u32_e32 v9, vcc, v6, v5, vcc
	global_load_dwordx4 v[4:7], v[8:9], off
	s_waitcnt vmcnt(0)
	v_fmac_f32_e32 v0, s16, v4
	v_fmac_f32_e32 v1, s16, v5
	;; [unrolled: 1-line block ×4, first 2 shown]
	global_store_dwordx4 v[8:9], v[0:3], off
	s_endpgm
	.section	.rodata,"a",@progbits
	.p2align	6, 0x0
	.amdhsa_kernel _ZN9rocsparseL18bsrxmvn_4x4_kernelILj128ELj32EflifffEEvT3_20rocsparse_direction_NS_24const_host_device_scalarIT1_EES1_PKS1_PKT2_SA_S7_PKT4_PKT5_S5_PT6_21rocsparse_index_base_b
		.amdhsa_group_segment_fixed_size 0
		.amdhsa_private_segment_fixed_size 0
		.amdhsa_kernarg_size 96
		.amdhsa_user_sgpr_count 6
		.amdhsa_user_sgpr_private_segment_buffer 1
		.amdhsa_user_sgpr_dispatch_ptr 0
		.amdhsa_user_sgpr_queue_ptr 0
		.amdhsa_user_sgpr_kernarg_segment_ptr 1
		.amdhsa_user_sgpr_dispatch_id 0
		.amdhsa_user_sgpr_flat_scratch_init 0
		.amdhsa_user_sgpr_private_segment_size 0
		.amdhsa_uses_dynamic_stack 0
		.amdhsa_system_sgpr_private_segment_wavefront_offset 0
		.amdhsa_system_sgpr_workgroup_id_x 1
		.amdhsa_system_sgpr_workgroup_id_y 0
		.amdhsa_system_sgpr_workgroup_id_z 0
		.amdhsa_system_sgpr_workgroup_info 0
		.amdhsa_system_vgpr_workitem_id 0
		.amdhsa_next_free_vgpr 56
		.amdhsa_next_free_sgpr 24
		.amdhsa_reserve_vcc 1
		.amdhsa_reserve_flat_scratch 0
		.amdhsa_float_round_mode_32 0
		.amdhsa_float_round_mode_16_64 0
		.amdhsa_float_denorm_mode_32 3
		.amdhsa_float_denorm_mode_16_64 3
		.amdhsa_dx10_clamp 1
		.amdhsa_ieee_mode 1
		.amdhsa_fp16_overflow 0
		.amdhsa_exception_fp_ieee_invalid_op 0
		.amdhsa_exception_fp_denorm_src 0
		.amdhsa_exception_fp_ieee_div_zero 0
		.amdhsa_exception_fp_ieee_overflow 0
		.amdhsa_exception_fp_ieee_underflow 0
		.amdhsa_exception_fp_ieee_inexact 0
		.amdhsa_exception_int_div_zero 0
	.end_amdhsa_kernel
	.section	.text._ZN9rocsparseL18bsrxmvn_4x4_kernelILj128ELj32EflifffEEvT3_20rocsparse_direction_NS_24const_host_device_scalarIT1_EES1_PKS1_PKT2_SA_S7_PKT4_PKT5_S5_PT6_21rocsparse_index_base_b,"axG",@progbits,_ZN9rocsparseL18bsrxmvn_4x4_kernelILj128ELj32EflifffEEvT3_20rocsparse_direction_NS_24const_host_device_scalarIT1_EES1_PKS1_PKT2_SA_S7_PKT4_PKT5_S5_PT6_21rocsparse_index_base_b,comdat
.Lfunc_end23:
	.size	_ZN9rocsparseL18bsrxmvn_4x4_kernelILj128ELj32EflifffEEvT3_20rocsparse_direction_NS_24const_host_device_scalarIT1_EES1_PKS1_PKT2_SA_S7_PKT4_PKT5_S5_PT6_21rocsparse_index_base_b, .Lfunc_end23-_ZN9rocsparseL18bsrxmvn_4x4_kernelILj128ELj32EflifffEEvT3_20rocsparse_direction_NS_24const_host_device_scalarIT1_EES1_PKS1_PKT2_SA_S7_PKT4_PKT5_S5_PT6_21rocsparse_index_base_b
                                        ; -- End function
	.set _ZN9rocsparseL18bsrxmvn_4x4_kernelILj128ELj32EflifffEEvT3_20rocsparse_direction_NS_24const_host_device_scalarIT1_EES1_PKS1_PKT2_SA_S7_PKT4_PKT5_S5_PT6_21rocsparse_index_base_b.num_vgpr, 56
	.set _ZN9rocsparseL18bsrxmvn_4x4_kernelILj128ELj32EflifffEEvT3_20rocsparse_direction_NS_24const_host_device_scalarIT1_EES1_PKS1_PKT2_SA_S7_PKT4_PKT5_S5_PT6_21rocsparse_index_base_b.num_agpr, 0
	.set _ZN9rocsparseL18bsrxmvn_4x4_kernelILj128ELj32EflifffEEvT3_20rocsparse_direction_NS_24const_host_device_scalarIT1_EES1_PKS1_PKT2_SA_S7_PKT4_PKT5_S5_PT6_21rocsparse_index_base_b.numbered_sgpr, 24
	.set _ZN9rocsparseL18bsrxmvn_4x4_kernelILj128ELj32EflifffEEvT3_20rocsparse_direction_NS_24const_host_device_scalarIT1_EES1_PKS1_PKT2_SA_S7_PKT4_PKT5_S5_PT6_21rocsparse_index_base_b.num_named_barrier, 0
	.set _ZN9rocsparseL18bsrxmvn_4x4_kernelILj128ELj32EflifffEEvT3_20rocsparse_direction_NS_24const_host_device_scalarIT1_EES1_PKS1_PKT2_SA_S7_PKT4_PKT5_S5_PT6_21rocsparse_index_base_b.private_seg_size, 0
	.set _ZN9rocsparseL18bsrxmvn_4x4_kernelILj128ELj32EflifffEEvT3_20rocsparse_direction_NS_24const_host_device_scalarIT1_EES1_PKS1_PKT2_SA_S7_PKT4_PKT5_S5_PT6_21rocsparse_index_base_b.uses_vcc, 1
	.set _ZN9rocsparseL18bsrxmvn_4x4_kernelILj128ELj32EflifffEEvT3_20rocsparse_direction_NS_24const_host_device_scalarIT1_EES1_PKS1_PKT2_SA_S7_PKT4_PKT5_S5_PT6_21rocsparse_index_base_b.uses_flat_scratch, 0
	.set _ZN9rocsparseL18bsrxmvn_4x4_kernelILj128ELj32EflifffEEvT3_20rocsparse_direction_NS_24const_host_device_scalarIT1_EES1_PKS1_PKT2_SA_S7_PKT4_PKT5_S5_PT6_21rocsparse_index_base_b.has_dyn_sized_stack, 0
	.set _ZN9rocsparseL18bsrxmvn_4x4_kernelILj128ELj32EflifffEEvT3_20rocsparse_direction_NS_24const_host_device_scalarIT1_EES1_PKS1_PKT2_SA_S7_PKT4_PKT5_S5_PT6_21rocsparse_index_base_b.has_recursion, 0
	.set _ZN9rocsparseL18bsrxmvn_4x4_kernelILj128ELj32EflifffEEvT3_20rocsparse_direction_NS_24const_host_device_scalarIT1_EES1_PKS1_PKT2_SA_S7_PKT4_PKT5_S5_PT6_21rocsparse_index_base_b.has_indirect_call, 0
	.section	.AMDGPU.csdata,"",@progbits
; Kernel info:
; codeLenInByte = 3308
; TotalNumSgprs: 28
; NumVgprs: 56
; ScratchSize: 0
; MemoryBound: 0
; FloatMode: 240
; IeeeMode: 1
; LDSByteSize: 0 bytes/workgroup (compile time only)
; SGPRBlocks: 3
; VGPRBlocks: 13
; NumSGPRsForWavesPerEU: 28
; NumVGPRsForWavesPerEU: 56
; Occupancy: 4
; WaveLimiterHint : 1
; COMPUTE_PGM_RSRC2:SCRATCH_EN: 0
; COMPUTE_PGM_RSRC2:USER_SGPR: 6
; COMPUTE_PGM_RSRC2:TRAP_HANDLER: 0
; COMPUTE_PGM_RSRC2:TGID_X_EN: 1
; COMPUTE_PGM_RSRC2:TGID_Y_EN: 0
; COMPUTE_PGM_RSRC2:TGID_Z_EN: 0
; COMPUTE_PGM_RSRC2:TIDIG_COMP_CNT: 0
	.section	.text._ZN9rocsparseL18bsrxmvn_4x4_kernelILj128ELj64EflifffEEvT3_20rocsparse_direction_NS_24const_host_device_scalarIT1_EES1_PKS1_PKT2_SA_S7_PKT4_PKT5_S5_PT6_21rocsparse_index_base_b,"axG",@progbits,_ZN9rocsparseL18bsrxmvn_4x4_kernelILj128ELj64EflifffEEvT3_20rocsparse_direction_NS_24const_host_device_scalarIT1_EES1_PKS1_PKT2_SA_S7_PKT4_PKT5_S5_PT6_21rocsparse_index_base_b,comdat
	.globl	_ZN9rocsparseL18bsrxmvn_4x4_kernelILj128ELj64EflifffEEvT3_20rocsparse_direction_NS_24const_host_device_scalarIT1_EES1_PKS1_PKT2_SA_S7_PKT4_PKT5_S5_PT6_21rocsparse_index_base_b ; -- Begin function _ZN9rocsparseL18bsrxmvn_4x4_kernelILj128ELj64EflifffEEvT3_20rocsparse_direction_NS_24const_host_device_scalarIT1_EES1_PKS1_PKT2_SA_S7_PKT4_PKT5_S5_PT6_21rocsparse_index_base_b
	.p2align	8
	.type	_ZN9rocsparseL18bsrxmvn_4x4_kernelILj128ELj64EflifffEEvT3_20rocsparse_direction_NS_24const_host_device_scalarIT1_EES1_PKS1_PKT2_SA_S7_PKT4_PKT5_S5_PT6_21rocsparse_index_base_b,@function
_ZN9rocsparseL18bsrxmvn_4x4_kernelILj128ELj64EflifffEEvT3_20rocsparse_direction_NS_24const_host_device_scalarIT1_EES1_PKS1_PKT2_SA_S7_PKT4_PKT5_S5_PT6_21rocsparse_index_base_b: ; @_ZN9rocsparseL18bsrxmvn_4x4_kernelILj128ELj64EflifffEEvT3_20rocsparse_direction_NS_24const_host_device_scalarIT1_EES1_PKS1_PKT2_SA_S7_PKT4_PKT5_S5_PT6_21rocsparse_index_base_b
; %bb.0:
	s_load_dwordx2 s[20:21], s[4:5], 0x58
	s_load_dwordx2 s[18:19], s[4:5], 0x8
	;; [unrolled: 1-line block ×3, first 2 shown]
	s_waitcnt lgkmcnt(0)
	s_bitcmp1_b32 s21, 0
	s_cselect_b64 s[2:3], -1, 0
	s_xor_b64 s[0:1], s[2:3], -1
	s_and_b64 vcc, exec, s[2:3]
	s_cbranch_vccnz .LBB24_2
; %bb.1:
	s_load_dword s18, s[18:19], 0x0
.LBB24_2:
	s_andn2_b64 vcc, exec, s[0:1]
	s_cbranch_vccnz .LBB24_4
; %bb.3:
	s_load_dword s16, s[16:17], 0x0
.LBB24_4:
	s_waitcnt lgkmcnt(0)
	v_cmp_neq_f32_e64 s[0:1], s18, 0
	v_cmp_neq_f32_e64 s[2:3], s16, 1.0
	s_or_b64 s[0:1], s[0:1], s[2:3]
	s_andn2_b64 vcc, exec, s[0:1]
	s_cbranch_vccnz .LBB24_10
; %bb.5:
	s_load_dwordx2 s[8:9], s[4:5], 0x18
	s_load_dwordx2 s[0:1], s[4:5], 0x0
	v_lshrrev_b32_e32 v1, 6, v0
	v_lshl_or_b32 v4, s6, 1, v1
	s_mov_b64 s[2:3], 0
	s_waitcnt lgkmcnt(0)
	s_cmp_lg_u64 s[8:9], 0
	s_cbranch_scc0 .LBB24_11
; %bb.6:
	s_load_dword s6, s[4:5], 0x10
                                        ; implicit-def: $vgpr1
	s_waitcnt lgkmcnt(0)
	v_cmp_gt_i32_e32 vcc, s6, v4
	s_and_saveexec_b64 s[6:7], vcc
	s_xor_b64 s[6:7], exec, s[6:7]
	s_cbranch_execz .LBB24_8
; %bb.7:
	v_ashrrev_i32_e32 v5, 31, v4
	v_lshlrev_b64 v[1:2], 2, v[4:5]
	v_mov_b32_e32 v3, s9
	v_add_co_u32_e32 v1, vcc, s8, v1
	v_addc_co_u32_e32 v2, vcc, v3, v2, vcc
	global_load_dword v1, v[1:2], off
	s_mov_b64 s[2:3], exec
	s_waitcnt vmcnt(0)
	v_subrev_u32_e32 v1, s20, v1
.LBB24_8:
	s_or_b64 exec, exec, s[6:7]
	s_branch .LBB24_12
.LBB24_9:
	v_cmp_gt_i32_e32 vcc, s0, v4
	s_andn2_b64 s[2:3], s[2:3], exec
	s_and_b64 s[6:7], vcc, exec
	s_or_b64 s[2:3], s[2:3], s[6:7]
	s_and_saveexec_b64 s[6:7], s[2:3]
	s_cbranch_execnz .LBB24_13
.LBB24_10:
	s_endpgm
.LBB24_11:
                                        ; implicit-def: $vgpr1
	s_cbranch_execnz .LBB24_9
.LBB24_12:
	v_mov_b32_e32 v4, v1
	s_and_saveexec_b64 s[6:7], s[2:3]
	s_cbranch_execz .LBB24_10
.LBB24_13:
	s_load_dwordx8 s[8:15], s[4:5], 0x20
	v_ashrrev_i32_e32 v5, 31, v4
	v_lshlrev_b64 v[1:2], 3, v[4:5]
	v_and_b32_e32 v21, 63, v0
	v_mov_b32_e32 v7, 0
	s_waitcnt lgkmcnt(0)
	v_mov_b32_e32 v3, s9
	v_add_co_u32_e32 v5, vcc, s8, v1
	v_addc_co_u32_e32 v6, vcc, v3, v2, vcc
	v_add_co_u32_e32 v3, vcc, 8, v5
	global_load_dwordx2 v[9:10], v[5:6], off
	v_addc_co_u32_e32 v5, vcc, 0, v6, vcc
	v_mov_b32_e32 v6, s11
	v_add_co_u32_e32 v1, vcc, s10, v1
	s_cmp_eq_u64 s[10:11], 0
	v_addc_co_u32_e32 v2, vcc, v6, v2, vcc
	s_cselect_b64 vcc, -1, 0
	v_cndmask_b32_e32 v2, v2, v5, vcc
	v_cndmask_b32_e32 v1, v1, v3, vcc
	global_load_dwordx2 v[2:3], v[1:2], off
	s_load_dwordx2 s[8:9], s[4:5], 0x40
	v_mov_b32_e32 v8, s15
	s_cmp_eq_u32 s1, 1
	s_waitcnt vmcnt(1)
	v_subrev_co_u32_e32 v0, vcc, s20, v9
	v_subbrev_co_u32_e32 v1, vcc, 0, v10, vcc
	v_add_co_u32_e32 v0, vcc, v0, v21
	v_addc_co_u32_e32 v1, vcc, 0, v1, vcc
	v_lshlrev_b64 v[5:6], 6, v[0:1]
	s_waitcnt vmcnt(0)
	v_subrev_co_u32_e32 v2, vcc, s20, v2
	v_subbrev_co_u32_e32 v3, vcc, 0, v3, vcc
	v_cmp_lt_i64_e64 s[0:1], v[0:1], v[2:3]
	v_add_co_u32_e32 v5, vcc, s14, v5
	v_addc_co_u32_e32 v6, vcc, v8, v6, vcc
	s_cbranch_scc1 .LBB24_25
; %bb.14:
	v_mov_b32_e32 v22, 0
	v_mov_b32_e32 v23, 0
	;; [unrolled: 1-line block ×3, first 2 shown]
	s_and_saveexec_b64 s[10:11], s[0:1]
	s_cbranch_execz .LBB24_24
; %bb.15:
	v_or_b32_e32 v7, 64, v21
	v_subrev_co_u32_e32 v7, vcc, s20, v7
	v_subb_co_u32_e64 v8, s[2:3], 0, 0, vcc
	v_add_co_u32_e32 v7, vcc, v7, v9
	v_addc_co_u32_e32 v8, vcc, v8, v10, vcc
	v_cmp_gt_i64_e32 vcc, v[7:8], v[2:3]
	v_not_b32_e32 v12, v9
	v_cndmask_b32_e32 v8, v3, v8, vcc
	v_cndmask_b32_e32 v7, v2, v7, vcc
	v_sub_co_u32_e32 v13, vcc, s20, v21
	v_not_b32_e32 v11, v10
	v_subb_co_u32_e64 v14, s[2:3], 0, 0, vcc
	v_add_co_u32_e32 v12, vcc, v13, v12
	v_addc_co_u32_e32 v11, vcc, v14, v11, vcc
	v_add_co_u32_e32 v15, vcc, v12, v7
	v_addc_co_u32_e32 v16, vcc, v11, v8, vcc
	v_and_b32_e32 v7, 0xc0, v15
	v_mov_b32_e32 v8, 0
	s_mov_b64 s[2:3], 0xc0
	v_cmp_ne_u64_e32 vcc, s[2:3], v[7:8]
	v_mov_b32_e32 v12, v1
	v_mov_b32_e32 v14, v6
	;; [unrolled: 1-line block ×7, first 2 shown]
	s_and_saveexec_b64 s[6:7], vcc
	s_cbranch_execz .LBB24_19
; %bb.16:
	v_lshlrev_b64 v[11:12], 2, v[0:1]
	v_lshrrev_b32_e32 v7, 6, v15
	v_add_u32_e32 v7, 1, v7
	v_mov_b32_e32 v13, s13
	v_add_co_u32_e32 v17, vcc, s12, v11
	v_and_b32_e32 v8, 3, v7
	v_addc_co_u32_e32 v18, vcc, v13, v12, vcc
	v_sub_co_u32_e32 v19, vcc, 0, v8
	v_mov_b32_e32 v14, v6
	v_mov_b32_e32 v12, v1
	;; [unrolled: 1-line block ×3, first 2 shown]
	s_mov_b64 s[14:15], 0
	v_subb_co_u32_e64 v20, s[2:3], 0, 0, vcc
	s_movk_i32 s17, 0x1000
	s_waitcnt lgkmcnt(0)
	v_mov_b32_e32 v24, s9
	v_mov_b32_e32 v13, v5
	v_mov_b32_e32 v11, v0
	v_mov_b32_e32 v22, 0
	v_mov_b32_e32 v23, 0
	v_mov_b32_e32 v8, 0
.LBB24_17:                              ; =>This Inner Loop Header: Depth=1
	global_load_dword v41, v[17:18], off
	global_load_dwordx4 v[25:28], v[13:14], off
	global_load_dwordx4 v[29:32], v[13:14], off offset:16
	global_load_dwordx4 v[33:36], v[13:14], off offset:32
	;; [unrolled: 1-line block ×3, first 2 shown]
	v_add_co_u32_e64 v11, s[2:3], 64, v11
	v_addc_co_u32_e64 v12, s[2:3], 0, v12, s[2:3]
	v_add_co_u32_e64 v19, s[2:3], 1, v19
	v_addc_co_u32_e64 v20, s[2:3], 0, v20, s[2:3]
	v_cmp_eq_u64_e64 s[2:3], 0, v[19:20]
	s_or_b64 s[14:15], s[2:3], s[14:15]
	s_waitcnt vmcnt(4)
	v_subrev_u32_e32 v41, s20, v41
	v_lshlrev_b32_e32 v41, 2, v41
	v_ashrrev_i32_e32 v42, 31, v41
	v_lshlrev_b64 v[41:42], 2, v[41:42]
	v_add_co_u32_e32 v41, vcc, s8, v41
	v_addc_co_u32_e32 v42, vcc, v24, v42, vcc
	global_load_dwordx4 v[41:44], v[41:42], off
	v_add_co_u32_e32 v13, vcc, s17, v13
	v_addc_co_u32_e32 v14, vcc, 0, v14, vcc
	v_add_co_u32_e32 v17, vcc, 0x100, v17
	v_addc_co_u32_e32 v18, vcc, 0, v18, vcc
	s_waitcnt vmcnt(0)
	v_fmac_f32_e32 v8, v25, v41
	v_fmac_f32_e32 v23, v29, v41
	;; [unrolled: 1-line block ×16, first 2 shown]
	s_andn2_b64 exec, exec, s[14:15]
	s_cbranch_execnz .LBB24_17
; %bb.18:
	s_or_b64 exec, exec, s[14:15]
.LBB24_19:
	s_or_b64 exec, exec, s[6:7]
	s_mov_b64 s[2:3], 0xbf
	v_cmp_lt_u64_e32 vcc, s[2:3], v[15:16]
	s_and_saveexec_b64 s[14:15], vcc
	s_cbranch_execz .LBB24_23
; %bb.20:
	v_lshlrev_b64 v[15:16], 2, v[11:12]
	v_mov_b32_e32 v17, s13
	v_add_co_u32_e32 v15, vcc, s12, v15
	v_addc_co_u32_e32 v16, vcc, v17, v16, vcc
	v_add_co_u32_e32 v15, vcc, 0x200, v15
	v_addc_co_u32_e32 v16, vcc, 0, v16, vcc
	s_mov_b64 s[22:23], 0
	s_waitcnt lgkmcnt(0)
	v_mov_b32_e32 v17, s9
	s_movk_i32 s17, 0x1000
	s_movk_i32 s19, 0x2000
	;; [unrolled: 1-line block ×3, first 2 shown]
.LBB24_21:                              ; =>This Inner Loop Header: Depth=1
	global_load_dword v20, v[15:16], off offset:-512
	global_load_dwordx4 v[24:27], v[13:14], off offset:16
	global_load_dwordx4 v[28:31], v[13:14], off offset:32
	;; [unrolled: 1-line block ×3, first 2 shown]
	global_load_dword v50, v[15:16], off offset:-256
	global_load_dword v51, v[15:16], off
	global_load_dword v54, v[15:16], off offset:256
	v_add_co_u32_e32 v18, vcc, s19, v13
	v_addc_co_u32_e32 v19, vcc, 0, v14, vcc
	global_load_dwordx4 v[36:39], v[13:14], off
	global_load_dwordx4 v[40:43], v[18:19], off offset:48
	s_waitcnt vmcnt(8)
	v_subrev_u32_e32 v20, s20, v20
	v_lshlrev_b32_e32 v44, 2, v20
	v_ashrrev_i32_e32 v45, 31, v44
	v_lshlrev_b64 v[44:45], 2, v[44:45]
	s_waitcnt vmcnt(4)
	v_subrev_u32_e32 v20, s20, v50
	v_add_co_u32_e32 v44, vcc, s8, v44
	v_addc_co_u32_e32 v45, vcc, v17, v45, vcc
	global_load_dwordx4 v[44:47], v[44:45], off
	v_add_co_u32_e32 v48, vcc, s17, v13
	v_addc_co_u32_e32 v49, vcc, 0, v14, vcc
	s_waitcnt vmcnt(0)
	v_fmac_f32_e32 v8, v36, v44
	v_fmac_f32_e32 v8, v37, v45
	v_subrev_u32_e32 v37, s20, v51
	v_lshlrev_b32_e32 v36, 2, v20
	v_fmac_f32_e32 v8, v38, v46
	v_lshlrev_b32_e32 v38, 2, v37
	v_ashrrev_i32_e32 v37, 31, v36
	v_lshlrev_b64 v[36:37], 2, v[36:37]
	v_fmac_f32_e32 v8, v39, v47
	v_fmac_f32_e32 v23, v24, v44
	v_ashrrev_i32_e32 v39, 31, v38
	v_fmac_f32_e32 v23, v25, v45
	v_fmac_f32_e32 v22, v28, v44
	;; [unrolled: 1-line block ×3, first 2 shown]
	v_lshlrev_b64 v[38:39], 2, v[38:39]
	v_add_co_u32_e32 v50, vcc, s8, v36
	v_fmac_f32_e32 v23, v26, v46
	v_fmac_f32_e32 v22, v29, v45
	;; [unrolled: 1-line block ×3, first 2 shown]
	v_addc_co_u32_e32 v51, vcc, v17, v37, vcc
	v_fmac_f32_e32 v23, v27, v47
	global_load_dwordx4 v[24:27], v[18:19], off offset:-4096
	v_fmac_f32_e32 v22, v30, v46
	v_fmac_f32_e32 v7, v34, v46
	v_add_co_u32_e32 v52, vcc, s8, v38
	v_fmac_f32_e32 v22, v31, v47
	global_load_dwordx4 v[28:31], v[48:49], off offset:16
	v_fmac_f32_e32 v7, v35, v47
	global_load_dwordx4 v[32:35], v[18:19], off
	v_addc_co_u32_e32 v53, vcc, v17, v39, vcc
	global_load_dwordx4 v[36:39], v[50:51], off
	global_load_dwordx4 v[44:47], v[52:53], off
	v_add_co_u32_e32 v50, vcc, s21, v13
	v_addc_co_u32_e32 v51, vcc, 0, v14, vcc
	s_waitcnt vmcnt(1)
	v_fmac_f32_e32 v8, v24, v36
	v_fmac_f32_e32 v8, v25, v37
	;; [unrolled: 1-line block ×4, first 2 shown]
	global_load_dwordx4 v[24:27], v[48:49], off offset:32
	v_fmac_f32_e32 v23, v28, v36
	v_fmac_f32_e32 v23, v29, v37
	;; [unrolled: 1-line block ×4, first 2 shown]
	global_load_dwordx4 v[28:31], v[48:49], off offset:48
	s_waitcnt vmcnt(2)
	v_fmac_f32_e32 v8, v32, v44
	v_fmac_f32_e32 v8, v33, v45
	;; [unrolled: 1-line block ×4, first 2 shown]
	s_waitcnt vmcnt(1)
	v_fmac_f32_e32 v22, v24, v36
	v_fmac_f32_e32 v22, v25, v37
	;; [unrolled: 1-line block ×4, first 2 shown]
	global_load_dwordx4 v[24:27], v[18:19], off offset:16
	s_waitcnt vmcnt(1)
	v_fmac_f32_e32 v7, v28, v36
	v_fmac_f32_e32 v7, v29, v37
	;; [unrolled: 1-line block ×4, first 2 shown]
	global_load_dwordx4 v[28:31], v[18:19], off offset:32
	global_load_dwordx4 v[36:39], v[50:51], off
	v_subrev_u32_e32 v18, s20, v54
	v_lshlrev_b32_e32 v18, 2, v18
	v_ashrrev_i32_e32 v19, 31, v18
	v_lshlrev_b64 v[18:19], 2, v[18:19]
	global_load_dwordx4 v[32:35], v[50:51], off offset:16
	v_add_co_u32_e32 v18, vcc, s8, v18
	v_addc_co_u32_e32 v19, vcc, v17, v19, vcc
	v_fmac_f32_e32 v7, v40, v44
	v_add_co_u32_e32 v11, vcc, 0x100, v11
	v_fmac_f32_e32 v7, v41, v45
	s_mov_b64 s[2:3], vcc
	v_add_co_u32_e32 v15, vcc, 0x400, v15
	v_fmac_f32_e32 v7, v42, v46
	s_mov_b64 s[6:7], vcc
	v_fmac_f32_e32 v7, v43, v47
	v_addc_co_u32_e64 v12, vcc, 0, v12, s[2:3]
	v_addc_co_u32_e64 v16, s[2:3], 0, v16, s[6:7]
	v_cmp_ge_i64_e64 s[2:3], v[11:12], v[2:3]
	v_add_co_u32_e32 v13, vcc, 0x4000, v13
	v_addc_co_u32_e32 v14, vcc, 0, v14, vcc
	s_or_b64 s[22:23], s[2:3], s[22:23]
	s_waitcnt vmcnt(3)
	v_fmac_f32_e32 v23, v24, v44
	v_fmac_f32_e32 v23, v25, v45
	;; [unrolled: 1-line block ×4, first 2 shown]
	s_waitcnt vmcnt(2)
	v_fmac_f32_e32 v22, v28, v44
	v_fmac_f32_e32 v22, v29, v45
	;; [unrolled: 1-line block ×3, first 2 shown]
	global_load_dwordx4 v[24:27], v[50:51], off offset:32
	v_fmac_f32_e32 v22, v31, v47
	global_load_dwordx4 v[48:51], v[50:51], off offset:48
	s_nop 0
	global_load_dwordx4 v[28:31], v[18:19], off
	s_waitcnt vmcnt(0)
	v_fmac_f32_e32 v8, v36, v28
	v_fmac_f32_e32 v23, v32, v28
	;; [unrolled: 1-line block ×16, first 2 shown]
	s_andn2_b64 exec, exec, s[22:23]
	s_cbranch_execnz .LBB24_21
; %bb.22:
	s_or_b64 exec, exec, s[22:23]
.LBB24_23:
	s_or_b64 exec, exec, s[14:15]
.LBB24_24:
	s_or_b64 exec, exec, s[10:11]
	s_cbranch_execz .LBB24_26
	s_branch .LBB24_37
.LBB24_25:
                                        ; implicit-def: $vgpr7
                                        ; implicit-def: $vgpr22
                                        ; implicit-def: $vgpr23
                                        ; implicit-def: $vgpr8
.LBB24_26:
	v_mov_b32_e32 v7, 0
	v_mov_b32_e32 v22, 0
	;; [unrolled: 1-line block ×4, first 2 shown]
	s_and_saveexec_b64 s[2:3], s[0:1]
	s_cbranch_execz .LBB24_36
; %bb.27:
	v_or_b32_e32 v7, 64, v21
	v_subrev_co_u32_e32 v7, vcc, s20, v7
	v_subb_co_u32_e64 v8, s[0:1], 0, 0, vcc
	v_add_co_u32_e32 v7, vcc, v7, v9
	v_addc_co_u32_e32 v8, vcc, v8, v10, vcc
	v_cmp_gt_i64_e32 vcc, v[7:8], v[2:3]
	v_not_b32_e32 v9, v9
	v_cndmask_b32_e32 v8, v3, v8, vcc
	v_cndmask_b32_e32 v7, v2, v7, vcc
	v_sub_co_u32_e32 v11, vcc, s20, v21
	v_not_b32_e32 v10, v10
	v_subb_co_u32_e64 v12, s[0:1], 0, 0, vcc
	v_add_co_u32_e32 v9, vcc, v11, v9
	v_addc_co_u32_e32 v10, vcc, v12, v10, vcc
	v_add_co_u32_e32 v9, vcc, v9, v7
	v_addc_co_u32_e32 v10, vcc, v10, v8, vcc
	v_and_b32_e32 v7, 0xc0, v9
	v_mov_b32_e32 v8, 0
	s_mov_b64 s[0:1], 0xc0
	v_cmp_ne_u64_e32 vcc, s[0:1], v[7:8]
	v_mov_b32_e32 v23, v8
	v_mov_b32_e32 v22, v8
	;; [unrolled: 1-line block ×3, first 2 shown]
	s_and_saveexec_b64 s[6:7], vcc
	s_cbranch_execz .LBB24_31
; %bb.28:
	v_lshlrev_b64 v[11:12], 2, v[0:1]
	v_lshrrev_b32_e32 v7, 6, v9
	v_add_u32_e32 v7, 1, v7
	v_mov_b32_e32 v13, s13
	v_add_co_u32_e32 v11, vcc, s12, v11
	v_and_b32_e32 v8, 3, v7
	v_addc_co_u32_e32 v12, vcc, v13, v12, vcc
	v_sub_co_u32_e32 v13, vcc, 0, v8
	v_mov_b32_e32 v7, 0
	s_mov_b64 s[10:11], 0
	v_subb_co_u32_e64 v14, s[0:1], 0, 0, vcc
	s_movk_i32 s14, 0x1000
	s_waitcnt lgkmcnt(0)
	v_mov_b32_e32 v15, s9
	v_mov_b32_e32 v22, 0
	;; [unrolled: 1-line block ×4, first 2 shown]
.LBB24_29:                              ; =>This Inner Loop Header: Depth=1
	global_load_dword v20, v[11:12], off
	global_load_dwordx4 v[16:19], v[5:6], off offset:32
	global_load_dwordx4 v[24:27], v[5:6], off offset:16
	global_load_dwordx4 v[28:31], v[5:6], off
	v_add_co_u32_e64 v0, s[0:1], 64, v0
	v_addc_co_u32_e64 v1, s[0:1], 0, v1, s[0:1]
	v_add_co_u32_e64 v13, s[0:1], 1, v13
	v_addc_co_u32_e64 v14, s[0:1], 0, v14, s[0:1]
	v_cmp_eq_u64_e64 s[0:1], 0, v[13:14]
	s_or_b64 s[10:11], s[0:1], s[10:11]
	s_waitcnt vmcnt(3)
	v_subrev_u32_e32 v20, s20, v20
	v_lshlrev_b32_e32 v32, 2, v20
	v_ashrrev_i32_e32 v33, 31, v32
	v_lshlrev_b64 v[32:33], 2, v[32:33]
	v_add_co_u32_e32 v40, vcc, s8, v32
	v_addc_co_u32_e32 v41, vcc, v15, v33, vcc
	global_load_dwordx4 v[32:35], v[40:41], off
	global_load_dwordx4 v[36:39], v[5:6], off offset:48
	v_add_co_u32_e32 v5, vcc, s14, v5
	v_addc_co_u32_e32 v6, vcc, 0, v6, vcc
	v_add_co_u32_e32 v11, vcc, 0x100, v11
	v_addc_co_u32_e32 v12, vcc, 0, v12, vcc
	s_waitcnt vmcnt(1)
	v_fmac_f32_e32 v8, v28, v32
	v_fmac_f32_e32 v23, v29, v32
	;; [unrolled: 1-line block ×12, first 2 shown]
	s_waitcnt vmcnt(0)
	v_fmac_f32_e32 v8, v36, v35
	v_fmac_f32_e32 v23, v37, v35
	;; [unrolled: 1-line block ×4, first 2 shown]
	s_andn2_b64 exec, exec, s[10:11]
	s_cbranch_execnz .LBB24_29
; %bb.30:
	s_or_b64 exec, exec, s[10:11]
.LBB24_31:
	s_or_b64 exec, exec, s[6:7]
	s_mov_b64 s[0:1], 0xbf
	v_cmp_lt_u64_e32 vcc, s[0:1], v[9:10]
	s_and_saveexec_b64 s[6:7], vcc
	s_cbranch_execz .LBB24_35
; %bb.32:
	v_lshlrev_b64 v[9:10], 2, v[0:1]
	v_mov_b32_e32 v11, s13
	v_add_co_u32_e32 v9, vcc, s12, v9
	v_addc_co_u32_e32 v10, vcc, v11, v10, vcc
	v_add_co_u32_e32 v9, vcc, 0x200, v9
	v_addc_co_u32_e32 v10, vcc, 0, v10, vcc
	s_mov_b64 s[10:11], 0
	s_waitcnt lgkmcnt(0)
	v_mov_b32_e32 v11, s9
	s_movk_i32 s9, 0x1000
	s_movk_i32 s12, 0x2000
	;; [unrolled: 1-line block ×3, first 2 shown]
.LBB24_33:                              ; =>This Inner Loop Header: Depth=1
	global_load_dword v20, v[9:10], off offset:-512
	v_add_co_u32_e32 v40, vcc, s12, v5
	v_addc_co_u32_e32 v41, vcc, 0, v6, vcc
	global_load_dword v44, v[9:10], off offset:-256
	global_load_dword v45, v[9:10], off
	global_load_dword v48, v[9:10], off offset:256
	global_load_dwordx4 v[12:15], v[5:6], off offset:16
	global_load_dwordx4 v[16:19], v[5:6], off offset:32
	;; [unrolled: 1-line block ×3, first 2 shown]
	global_load_dwordx4 v[28:31], v[5:6], off
	global_load_dwordx4 v[32:35], v[40:41], off offset:48
	s_waitcnt vmcnt(8)
	v_subrev_u32_e32 v20, s20, v20
	v_lshlrev_b32_e32 v36, 2, v20
	v_ashrrev_i32_e32 v37, 31, v36
	v_lshlrev_b64 v[36:37], 2, v[36:37]
	s_waitcnt vmcnt(7)
	v_subrev_u32_e32 v20, s20, v44
	v_add_co_u32_e32 v36, vcc, s8, v36
	v_addc_co_u32_e32 v37, vcc, v11, v37, vcc
	global_load_dwordx4 v[36:39], v[36:37], off
	v_add_co_u32_e32 v42, vcc, s9, v5
	v_addc_co_u32_e32 v43, vcc, 0, v6, vcc
	s_waitcnt vmcnt(0)
	v_fmac_f32_e32 v8, v28, v36
	v_fmac_f32_e32 v23, v29, v36
	v_subrev_u32_e32 v29, s20, v45
	v_lshlrev_b32_e32 v28, 2, v20
	v_fmac_f32_e32 v22, v30, v36
	v_lshlrev_b32_e32 v30, 2, v29
	v_ashrrev_i32_e32 v29, 31, v28
	v_lshlrev_b64 v[28:29], 2, v[28:29]
	v_fmac_f32_e32 v7, v31, v36
	v_ashrrev_i32_e32 v31, 31, v30
	v_lshlrev_b64 v[30:31], 2, v[30:31]
	v_add_co_u32_e32 v44, vcc, s8, v28
	v_fmac_f32_e32 v8, v12, v37
	v_fmac_f32_e32 v23, v13, v37
	v_fmac_f32_e32 v22, v14, v37
	v_fmac_f32_e32 v7, v15, v37
	v_addc_co_u32_e32 v45, vcc, v11, v29, vcc
	global_load_dwordx4 v[12:15], v[40:41], off offset:-4096
	v_fmac_f32_e32 v8, v16, v38
	v_fmac_f32_e32 v23, v17, v38
	;; [unrolled: 1-line block ×4, first 2 shown]
	v_add_co_u32_e32 v46, vcc, s8, v30
	global_load_dwordx4 v[16:19], v[40:41], off
	v_fmac_f32_e32 v8, v24, v39
	v_fmac_f32_e32 v23, v25, v39
	;; [unrolled: 1-line block ×4, first 2 shown]
	global_load_dwordx4 v[24:27], v[42:43], off offset:16
	v_addc_co_u32_e32 v47, vcc, v11, v31, vcc
	global_load_dwordx4 v[28:31], v[44:45], off
	global_load_dwordx4 v[36:39], v[46:47], off
	v_add_co_u32_e32 v44, vcc, s13, v5
	v_addc_co_u32_e32 v45, vcc, 0, v6, vcc
	v_subrev_u32_e32 v20, s20, v48
	s_waitcnt vmcnt(1)
	v_fmac_f32_e32 v8, v12, v28
	v_fmac_f32_e32 v23, v13, v28
	;; [unrolled: 1-line block ×4, first 2 shown]
	global_load_dwordx4 v[12:15], v[42:43], off offset:32
	v_fmac_f32_e32 v8, v24, v29
	v_fmac_f32_e32 v23, v25, v29
	;; [unrolled: 1-line block ×4, first 2 shown]
	global_load_dwordx4 v[24:27], v[42:43], off offset:48
	s_waitcnt vmcnt(1)
	v_fmac_f32_e32 v8, v12, v30
	v_fmac_f32_e32 v23, v13, v30
	;; [unrolled: 1-line block ×4, first 2 shown]
	global_load_dwordx4 v[12:15], v[40:41], off offset:16
	s_waitcnt vmcnt(1)
	v_fmac_f32_e32 v8, v24, v31
	v_fmac_f32_e32 v23, v25, v31
	;; [unrolled: 1-line block ×4, first 2 shown]
	global_load_dwordx4 v[24:27], v[40:41], off offset:32
	global_load_dwordx4 v[28:31], v[44:45], off
	v_fmac_f32_e32 v8, v16, v36
	v_fmac_f32_e32 v23, v17, v36
	;; [unrolled: 1-line block ×4, first 2 shown]
	v_lshlrev_b32_e32 v36, 2, v20
	global_load_dwordx4 v[16:19], v[44:45], off offset:32
	s_waitcnt vmcnt(3)
	v_fmac_f32_e32 v8, v12, v37
	v_fmac_f32_e32 v23, v13, v37
	;; [unrolled: 1-line block ×4, first 2 shown]
	v_ashrrev_i32_e32 v37, 31, v36
	v_lshlrev_b64 v[36:37], 2, v[36:37]
	global_load_dwordx4 v[12:15], v[44:45], off offset:16
	v_add_co_u32_e32 v36, vcc, s8, v36
	v_addc_co_u32_e32 v37, vcc, v11, v37, vcc
	global_load_dwordx4 v[40:43], v[36:37], off
	s_waitcnt vmcnt(4)
	v_fmac_f32_e32 v8, v24, v38
	v_fmac_f32_e32 v23, v25, v38
	;; [unrolled: 1-line block ×4, first 2 shown]
	global_load_dwordx4 v[24:27], v[44:45], off offset:48
	v_add_co_u32_e32 v0, vcc, 0x100, v0
	v_addc_co_u32_e32 v1, vcc, 0, v1, vcc
	v_fmac_f32_e32 v8, v32, v39
	v_fmac_f32_e32 v23, v33, v39
	;; [unrolled: 1-line block ×4, first 2 shown]
	v_add_co_u32_e32 v9, vcc, 0x400, v9
	v_addc_co_u32_e32 v10, vcc, 0, v10, vcc
	v_cmp_ge_i64_e64 s[0:1], v[0:1], v[2:3]
	v_add_co_u32_e32 v5, vcc, 0x4000, v5
	v_addc_co_u32_e32 v6, vcc, 0, v6, vcc
	s_or_b64 s[10:11], s[0:1], s[10:11]
	s_waitcnt vmcnt(1)
	v_fmac_f32_e32 v8, v28, v40
	v_fmac_f32_e32 v23, v29, v40
	;; [unrolled: 1-line block ×12, first 2 shown]
	s_waitcnt vmcnt(0)
	v_fmac_f32_e32 v8, v24, v43
	v_fmac_f32_e32 v23, v25, v43
	;; [unrolled: 1-line block ×4, first 2 shown]
	s_andn2_b64 exec, exec, s[10:11]
	s_cbranch_execnz .LBB24_33
; %bb.34:
	s_or_b64 exec, exec, s[10:11]
.LBB24_35:
	s_or_b64 exec, exec, s[6:7]
.LBB24_36:
	s_or_b64 exec, exec, s[2:3]
.LBB24_37:
	v_mov_b32_dpp v0, v8 row_shr:1 row_mask:0xf bank_mask:0xf
	v_add_f32_e32 v0, v8, v0
	v_mov_b32_dpp v2, v23 row_shr:1 row_mask:0xf bank_mask:0xf
	v_mov_b32_dpp v5, v22 row_shr:1 row_mask:0xf bank_mask:0xf
	;; [unrolled: 1-line block ×3, first 2 shown]
	v_add_f32_e32 v2, v23, v2
	v_add_f32_e32 v5, v22, v5
	v_add_f32_e32 v7, v7, v8
	v_mov_b32_dpp v1, v0 row_shr:2 row_mask:0xf bank_mask:0xf
	v_mov_b32_dpp v3, v2 row_shr:2 row_mask:0xf bank_mask:0xf
	v_mov_b32_dpp v6, v5 row_shr:2 row_mask:0xf bank_mask:0xf
	v_mov_b32_dpp v8, v7 row_shr:2 row_mask:0xf bank_mask:0xf
	v_add_f32_e32 v0, v0, v1
	v_add_f32_e32 v2, v2, v3
	v_add_f32_e32 v5, v5, v6
	v_add_f32_e32 v7, v7, v8
	v_mov_b32_dpp v1, v0 row_shr:4 row_mask:0xf bank_mask:0xe
	v_mov_b32_dpp v3, v2 row_shr:4 row_mask:0xf bank_mask:0xe
	v_mov_b32_dpp v6, v5 row_shr:4 row_mask:0xf bank_mask:0xe
	v_mov_b32_dpp v8, v7 row_shr:4 row_mask:0xf bank_mask:0xe
	v_add_f32_e32 v0, v0, v1
	;; [unrolled: 8-line block ×3, first 2 shown]
	v_add_f32_e32 v2, v2, v3
	v_add_f32_e32 v5, v5, v6
	;; [unrolled: 1-line block ×3, first 2 shown]
	v_mov_b32_dpp v1, v0 row_bcast:15 row_mask:0xa bank_mask:0xf
	v_mov_b32_dpp v3, v2 row_bcast:15 row_mask:0xa bank_mask:0xf
	;; [unrolled: 1-line block ×4, first 2 shown]
	v_add_f32_e32 v0, v0, v1
	v_add_f32_e32 v2, v2, v3
	;; [unrolled: 1-line block ×4, first 2 shown]
	v_mov_b32_dpp v1, v0 row_bcast:31 row_mask:0xc bank_mask:0xf
	v_mov_b32_dpp v3, v2 row_bcast:31 row_mask:0xc bank_mask:0xf
	;; [unrolled: 1-line block ×4, first 2 shown]
	v_cmp_eq_u32_e32 vcc, 63, v21
	s_and_b64 exec, exec, vcc
	s_cbranch_execz .LBB24_10
; %bb.38:
	s_load_dwordx2 s[0:1], s[4:5], 0x50
	v_add_f32_e32 v0, v0, v1
	v_add_f32_e32 v1, v2, v3
	;; [unrolled: 1-line block ×4, first 2 shown]
	v_cmp_eq_f32_e64 s[2:3], s16, 0
	s_and_b64 vcc, exec, s[2:3]
	v_mul_f32_e32 v0, s18, v0
	v_mul_f32_e32 v1, s18, v1
	;; [unrolled: 1-line block ×4, first 2 shown]
	v_lshlrev_b32_e32 v4, 2, v4
	s_cbranch_vccz .LBB24_40
; %bb.39:
	v_ashrrev_i32_e32 v5, 31, v4
	v_lshlrev_b64 v[5:6], 2, v[4:5]
	s_waitcnt lgkmcnt(0)
	v_mov_b32_e32 v7, s1
	v_add_co_u32_e32 v5, vcc, s0, v5
	v_addc_co_u32_e32 v6, vcc, v7, v6, vcc
	global_store_dwordx4 v[5:6], v[0:3], off
	s_cbranch_execnz .LBB24_10
	s_branch .LBB24_41
.LBB24_40:
.LBB24_41:
	v_ashrrev_i32_e32 v5, 31, v4
	v_lshlrev_b64 v[4:5], 2, v[4:5]
	s_waitcnt lgkmcnt(0)
	v_mov_b32_e32 v6, s1
	v_add_co_u32_e32 v8, vcc, s0, v4
	v_addc_co_u32_e32 v9, vcc, v6, v5, vcc
	global_load_dwordx4 v[4:7], v[8:9], off
	s_waitcnt vmcnt(0)
	v_fmac_f32_e32 v0, s16, v4
	v_fmac_f32_e32 v1, s16, v5
	;; [unrolled: 1-line block ×4, first 2 shown]
	global_store_dwordx4 v[8:9], v[0:3], off
	s_endpgm
	.section	.rodata,"a",@progbits
	.p2align	6, 0x0
	.amdhsa_kernel _ZN9rocsparseL18bsrxmvn_4x4_kernelILj128ELj64EflifffEEvT3_20rocsparse_direction_NS_24const_host_device_scalarIT1_EES1_PKS1_PKT2_SA_S7_PKT4_PKT5_S5_PT6_21rocsparse_index_base_b
		.amdhsa_group_segment_fixed_size 0
		.amdhsa_private_segment_fixed_size 0
		.amdhsa_kernarg_size 96
		.amdhsa_user_sgpr_count 6
		.amdhsa_user_sgpr_private_segment_buffer 1
		.amdhsa_user_sgpr_dispatch_ptr 0
		.amdhsa_user_sgpr_queue_ptr 0
		.amdhsa_user_sgpr_kernarg_segment_ptr 1
		.amdhsa_user_sgpr_dispatch_id 0
		.amdhsa_user_sgpr_flat_scratch_init 0
		.amdhsa_user_sgpr_private_segment_size 0
		.amdhsa_uses_dynamic_stack 0
		.amdhsa_system_sgpr_private_segment_wavefront_offset 0
		.amdhsa_system_sgpr_workgroup_id_x 1
		.amdhsa_system_sgpr_workgroup_id_y 0
		.amdhsa_system_sgpr_workgroup_id_z 0
		.amdhsa_system_sgpr_workgroup_info 0
		.amdhsa_system_vgpr_workitem_id 0
		.amdhsa_next_free_vgpr 55
		.amdhsa_next_free_sgpr 24
		.amdhsa_reserve_vcc 1
		.amdhsa_reserve_flat_scratch 0
		.amdhsa_float_round_mode_32 0
		.amdhsa_float_round_mode_16_64 0
		.amdhsa_float_denorm_mode_32 3
		.amdhsa_float_denorm_mode_16_64 3
		.amdhsa_dx10_clamp 1
		.amdhsa_ieee_mode 1
		.amdhsa_fp16_overflow 0
		.amdhsa_exception_fp_ieee_invalid_op 0
		.amdhsa_exception_fp_denorm_src 0
		.amdhsa_exception_fp_ieee_div_zero 0
		.amdhsa_exception_fp_ieee_overflow 0
		.amdhsa_exception_fp_ieee_underflow 0
		.amdhsa_exception_fp_ieee_inexact 0
		.amdhsa_exception_int_div_zero 0
	.end_amdhsa_kernel
	.section	.text._ZN9rocsparseL18bsrxmvn_4x4_kernelILj128ELj64EflifffEEvT3_20rocsparse_direction_NS_24const_host_device_scalarIT1_EES1_PKS1_PKT2_SA_S7_PKT4_PKT5_S5_PT6_21rocsparse_index_base_b,"axG",@progbits,_ZN9rocsparseL18bsrxmvn_4x4_kernelILj128ELj64EflifffEEvT3_20rocsparse_direction_NS_24const_host_device_scalarIT1_EES1_PKS1_PKT2_SA_S7_PKT4_PKT5_S5_PT6_21rocsparse_index_base_b,comdat
.Lfunc_end24:
	.size	_ZN9rocsparseL18bsrxmvn_4x4_kernelILj128ELj64EflifffEEvT3_20rocsparse_direction_NS_24const_host_device_scalarIT1_EES1_PKS1_PKT2_SA_S7_PKT4_PKT5_S5_PT6_21rocsparse_index_base_b, .Lfunc_end24-_ZN9rocsparseL18bsrxmvn_4x4_kernelILj128ELj64EflifffEEvT3_20rocsparse_direction_NS_24const_host_device_scalarIT1_EES1_PKS1_PKT2_SA_S7_PKT4_PKT5_S5_PT6_21rocsparse_index_base_b
                                        ; -- End function
	.set _ZN9rocsparseL18bsrxmvn_4x4_kernelILj128ELj64EflifffEEvT3_20rocsparse_direction_NS_24const_host_device_scalarIT1_EES1_PKS1_PKT2_SA_S7_PKT4_PKT5_S5_PT6_21rocsparse_index_base_b.num_vgpr, 55
	.set _ZN9rocsparseL18bsrxmvn_4x4_kernelILj128ELj64EflifffEEvT3_20rocsparse_direction_NS_24const_host_device_scalarIT1_EES1_PKS1_PKT2_SA_S7_PKT4_PKT5_S5_PT6_21rocsparse_index_base_b.num_agpr, 0
	.set _ZN9rocsparseL18bsrxmvn_4x4_kernelILj128ELj64EflifffEEvT3_20rocsparse_direction_NS_24const_host_device_scalarIT1_EES1_PKS1_PKT2_SA_S7_PKT4_PKT5_S5_PT6_21rocsparse_index_base_b.numbered_sgpr, 24
	.set _ZN9rocsparseL18bsrxmvn_4x4_kernelILj128ELj64EflifffEEvT3_20rocsparse_direction_NS_24const_host_device_scalarIT1_EES1_PKS1_PKT2_SA_S7_PKT4_PKT5_S5_PT6_21rocsparse_index_base_b.num_named_barrier, 0
	.set _ZN9rocsparseL18bsrxmvn_4x4_kernelILj128ELj64EflifffEEvT3_20rocsparse_direction_NS_24const_host_device_scalarIT1_EES1_PKS1_PKT2_SA_S7_PKT4_PKT5_S5_PT6_21rocsparse_index_base_b.private_seg_size, 0
	.set _ZN9rocsparseL18bsrxmvn_4x4_kernelILj128ELj64EflifffEEvT3_20rocsparse_direction_NS_24const_host_device_scalarIT1_EES1_PKS1_PKT2_SA_S7_PKT4_PKT5_S5_PT6_21rocsparse_index_base_b.uses_vcc, 1
	.set _ZN9rocsparseL18bsrxmvn_4x4_kernelILj128ELj64EflifffEEvT3_20rocsparse_direction_NS_24const_host_device_scalarIT1_EES1_PKS1_PKT2_SA_S7_PKT4_PKT5_S5_PT6_21rocsparse_index_base_b.uses_flat_scratch, 0
	.set _ZN9rocsparseL18bsrxmvn_4x4_kernelILj128ELj64EflifffEEvT3_20rocsparse_direction_NS_24const_host_device_scalarIT1_EES1_PKS1_PKT2_SA_S7_PKT4_PKT5_S5_PT6_21rocsparse_index_base_b.has_dyn_sized_stack, 0
	.set _ZN9rocsparseL18bsrxmvn_4x4_kernelILj128ELj64EflifffEEvT3_20rocsparse_direction_NS_24const_host_device_scalarIT1_EES1_PKS1_PKT2_SA_S7_PKT4_PKT5_S5_PT6_21rocsparse_index_base_b.has_recursion, 0
	.set _ZN9rocsparseL18bsrxmvn_4x4_kernelILj128ELj64EflifffEEvT3_20rocsparse_direction_NS_24const_host_device_scalarIT1_EES1_PKS1_PKT2_SA_S7_PKT4_PKT5_S5_PT6_21rocsparse_index_base_b.has_indirect_call, 0
	.section	.AMDGPU.csdata,"",@progbits
; Kernel info:
; codeLenInByte = 3384
; TotalNumSgprs: 28
; NumVgprs: 55
; ScratchSize: 0
; MemoryBound: 0
; FloatMode: 240
; IeeeMode: 1
; LDSByteSize: 0 bytes/workgroup (compile time only)
; SGPRBlocks: 3
; VGPRBlocks: 13
; NumSGPRsForWavesPerEU: 28
; NumVGPRsForWavesPerEU: 55
; Occupancy: 4
; WaveLimiterHint : 1
; COMPUTE_PGM_RSRC2:SCRATCH_EN: 0
; COMPUTE_PGM_RSRC2:USER_SGPR: 6
; COMPUTE_PGM_RSRC2:TRAP_HANDLER: 0
; COMPUTE_PGM_RSRC2:TGID_X_EN: 1
; COMPUTE_PGM_RSRC2:TGID_Y_EN: 0
; COMPUTE_PGM_RSRC2:TGID_Z_EN: 0
; COMPUTE_PGM_RSRC2:TIDIG_COMP_CNT: 0
	.section	.text._ZN9rocsparseL18bsrxmvn_4x4_kernelILj128ELj4EdlidddEEvT3_20rocsparse_direction_NS_24const_host_device_scalarIT1_EES1_PKS1_PKT2_SA_S7_PKT4_PKT5_S5_PT6_21rocsparse_index_base_b,"axG",@progbits,_ZN9rocsparseL18bsrxmvn_4x4_kernelILj128ELj4EdlidddEEvT3_20rocsparse_direction_NS_24const_host_device_scalarIT1_EES1_PKS1_PKT2_SA_S7_PKT4_PKT5_S5_PT6_21rocsparse_index_base_b,comdat
	.globl	_ZN9rocsparseL18bsrxmvn_4x4_kernelILj128ELj4EdlidddEEvT3_20rocsparse_direction_NS_24const_host_device_scalarIT1_EES1_PKS1_PKT2_SA_S7_PKT4_PKT5_S5_PT6_21rocsparse_index_base_b ; -- Begin function _ZN9rocsparseL18bsrxmvn_4x4_kernelILj128ELj4EdlidddEEvT3_20rocsparse_direction_NS_24const_host_device_scalarIT1_EES1_PKS1_PKT2_SA_S7_PKT4_PKT5_S5_PT6_21rocsparse_index_base_b
	.p2align	8
	.type	_ZN9rocsparseL18bsrxmvn_4x4_kernelILj128ELj4EdlidddEEvT3_20rocsparse_direction_NS_24const_host_device_scalarIT1_EES1_PKS1_PKT2_SA_S7_PKT4_PKT5_S5_PT6_21rocsparse_index_base_b,@function
_ZN9rocsparseL18bsrxmvn_4x4_kernelILj128ELj4EdlidddEEvT3_20rocsparse_direction_NS_24const_host_device_scalarIT1_EES1_PKS1_PKT2_SA_S7_PKT4_PKT5_S5_PT6_21rocsparse_index_base_b: ; @_ZN9rocsparseL18bsrxmvn_4x4_kernelILj128ELj4EdlidddEEvT3_20rocsparse_direction_NS_24const_host_device_scalarIT1_EES1_PKS1_PKT2_SA_S7_PKT4_PKT5_S5_PT6_21rocsparse_index_base_b
; %bb.0:
	s_load_dwordx2 s[16:17], s[4:5], 0x58
	s_load_dwordx2 s[8:9], s[4:5], 0x8
	;; [unrolled: 1-line block ×3, first 2 shown]
	s_waitcnt lgkmcnt(0)
	s_bitcmp1_b32 s17, 0
	s_cselect_b64 s[10:11], -1, 0
	v_mov_b32_e32 v2, s8
	s_xor_b64 s[2:3], s[10:11], -1
	s_and_b64 vcc, exec, s[10:11]
	v_mov_b32_e32 v3, s9
	s_cbranch_vccnz .LBB25_2
; %bb.1:
	v_mov_b32_e32 v1, s8
	v_mov_b32_e32 v2, s9
	flat_load_dwordx2 v[2:3], v[1:2]
.LBB25_2:
	v_mov_b32_e32 v9, s1
	s_andn2_b64 vcc, exec, s[2:3]
	v_mov_b32_e32 v8, s0
	s_cbranch_vccnz .LBB25_4
; %bb.3:
	v_mov_b32_e32 v5, s1
	v_mov_b32_e32 v4, s0
	flat_load_dwordx2 v[8:9], v[4:5]
.LBB25_4:
	s_waitcnt vmcnt(0) lgkmcnt(0)
	v_cmp_neq_f64_e32 vcc, 0, v[2:3]
	v_cmp_neq_f64_e64 s[0:1], 1.0, v[8:9]
	s_mov_b64 s[2:3], 0
	s_or_b64 s[0:1], vcc, s[0:1]
	s_and_saveexec_b64 s[8:9], s[0:1]
	s_cbranch_execz .LBB25_10
; %bb.5:
	s_load_dwordx2 s[8:9], s[4:5], 0x18
	s_load_dwordx2 s[0:1], s[4:5], 0x0
	v_lshrrev_b32_e32 v1, 2, v0
	v_lshl_or_b32 v10, s6, 5, v1
	s_mov_b64 s[6:7], 0
	s_waitcnt lgkmcnt(0)
	s_cmp_lg_u64 s[8:9], 0
	s_cbranch_scc0 .LBB25_11
; %bb.6:
	s_load_dword s2, s[4:5], 0x10
                                        ; implicit-def: $vgpr1
	s_waitcnt lgkmcnt(0)
	v_cmp_gt_i32_e32 vcc, s2, v10
	s_and_saveexec_b64 s[2:3], vcc
	s_xor_b64 s[2:3], exec, s[2:3]
	s_cbranch_execz .LBB25_8
; %bb.7:
	v_ashrrev_i32_e32 v11, 31, v10
	v_lshlrev_b64 v[4:5], 2, v[10:11]
	v_mov_b32_e32 v1, s9
	v_add_co_u32_e32 v4, vcc, s8, v4
	v_addc_co_u32_e32 v5, vcc, v1, v5, vcc
	global_load_dword v1, v[4:5], off
	s_mov_b64 s[6:7], exec
	s_waitcnt vmcnt(0)
	v_subrev_u32_e32 v1, s16, v1
.LBB25_8:
	s_or_b64 exec, exec, s[2:3]
	s_mov_b64 s[2:3], s[6:7]
	s_branch .LBB25_12
.LBB25_9:
	v_cmp_gt_i32_e32 vcc, s0, v10
	s_andn2_b64 s[2:3], s[2:3], exec
	s_and_b64 s[6:7], vcc, exec
	s_or_b64 s[2:3], s[2:3], s[6:7]
	s_and_b64 exec, exec, s[2:3]
	s_cbranch_execnz .LBB25_13
.LBB25_10:
	s_endpgm
.LBB25_11:
                                        ; implicit-def: $vgpr1
	s_cbranch_execnz .LBB25_9
.LBB25_12:
	v_mov_b32_e32 v10, v1
	s_and_b64 exec, exec, s[2:3]
	s_cbranch_execz .LBB25_10
.LBB25_13:
	s_load_dwordx8 s[8:15], s[4:5], 0x20
	v_ashrrev_i32_e32 v11, 31, v10
	v_lshlrev_b64 v[4:5], 3, v[10:11]
	v_and_b32_e32 v31, 3, v0
	s_waitcnt lgkmcnt(0)
	v_mov_b32_e32 v1, s9
	v_add_co_u32_e32 v6, vcc, s8, v4
	v_addc_co_u32_e32 v7, vcc, v1, v5, vcc
	v_add_co_u32_e32 v1, vcc, 8, v6
	global_load_dwordx2 v[11:12], v[6:7], off
	v_addc_co_u32_e32 v6, vcc, 0, v7, vcc
	v_mov_b32_e32 v7, s11
	v_add_co_u32_e32 v4, vcc, s10, v4
	s_cmp_eq_u64 s[10:11], 0
	v_addc_co_u32_e32 v5, vcc, v7, v5, vcc
	s_cselect_b64 vcc, -1, 0
	v_cndmask_b32_e32 v5, v5, v6, vcc
	v_cndmask_b32_e32 v4, v4, v1, vcc
	global_load_dwordx2 v[4:5], v[4:5], off
	s_load_dwordx2 s[10:11], s[4:5], 0x40
	v_mov_b32_e32 v13, s15
	s_cmp_eq_u32 s1, 1
	s_waitcnt vmcnt(1)
	v_subrev_co_u32_e32 v0, vcc, s16, v11
	v_subbrev_co_u32_e32 v1, vcc, 0, v12, vcc
	v_add_co_u32_e32 v0, vcc, v0, v31
	v_addc_co_u32_e32 v1, vcc, 0, v1, vcc
	v_lshlrev_b64 v[6:7], 7, v[0:1]
	s_waitcnt vmcnt(0)
	v_subrev_co_u32_e32 v4, vcc, s16, v4
	v_subbrev_co_u32_e32 v5, vcc, 0, v5, vcc
	v_cmp_lt_i64_e64 s[0:1], v[0:1], v[4:5]
	v_add_co_u32_e32 v6, vcc, s14, v6
	v_addc_co_u32_e32 v7, vcc, v13, v7, vcc
	s_cbranch_scc1 .LBB25_25
; %bb.14:
	v_mov_b32_e32 v17, 0
	v_mov_b32_e32 v23, 0
	;; [unrolled: 1-line block ×8, first 2 shown]
	s_and_saveexec_b64 s[14:15], s[0:1]
	s_cbranch_execz .LBB25_24
; %bb.15:
	v_or_b32_e32 v13, 4, v31
	v_subrev_co_u32_e32 v13, vcc, s16, v13
	v_subb_co_u32_e64 v14, s[2:3], 0, 0, vcc
	v_add_co_u32_e32 v13, vcc, v13, v11
	v_addc_co_u32_e32 v14, vcc, v14, v12, vcc
	v_cmp_gt_i64_e32 vcc, v[13:14], v[4:5]
	v_not_b32_e32 v16, v11
	v_cndmask_b32_e32 v14, v5, v14, vcc
	v_cndmask_b32_e32 v13, v4, v13, vcc
	v_sub_co_u32_e32 v17, vcc, s16, v31
	v_not_b32_e32 v15, v12
	v_subb_co_u32_e64 v18, s[2:3], 0, 0, vcc
	v_add_co_u32_e32 v16, vcc, v17, v16
	v_addc_co_u32_e32 v15, vcc, v18, v15, vcc
	v_add_co_u32_e32 v25, vcc, v16, v13
	v_addc_co_u32_e32 v26, vcc, v15, v14, vcc
	v_and_b32_e32 v13, 12, v25
	v_mov_b32_e32 v14, 0
	v_cmp_ne_u64_e32 vcc, 12, v[13:14]
	v_mov_b32_e32 v21, 0
	v_mov_b32_e32 v19, 0
	;; [unrolled: 1-line block ×12, first 2 shown]
	s_and_saveexec_b64 s[18:19], vcc
	s_cbranch_execz .LBB25_19
; %bb.16:
	v_lshrrev_b32_e32 v13, 2, v25
	v_add_u32_e32 v13, 1, v13
	v_and_b32_e32 v15, 3, v13
	v_lshlrev_b64 v[13:14], 2, v[0:1]
	v_mov_b32_e32 v16, s13
	v_add_co_u32_e32 v27, vcc, s12, v13
	v_addc_co_u32_e32 v28, vcc, v16, v14, vcc
	v_sub_co_u32_e32 v29, vcc, 0, v15
	v_mov_b32_e32 v17, 0
	v_mov_b32_e32 v14, v7
	;; [unrolled: 1-line block ×6, first 2 shown]
	s_mov_b64 s[20:21], 0
	v_subb_co_u32_e64 v30, s[2:3], 0, 0, vcc
	v_mov_b32_e32 v18, 0
	s_movk_i32 s17, 0x200
	s_waitcnt lgkmcnt(0)
	v_mov_b32_e32 v32, s11
	v_mov_b32_e32 v13, v6
	;; [unrolled: 1-line block ×6, first 2 shown]
.LBB25_17:                              ; =>This Inner Loop Header: Depth=1
	global_load_dword v45, v[27:28], off
	global_load_dwordx4 v[33:36], v[13:14], off offset:32
	global_load_dwordx4 v[37:40], v[13:14], off
	global_load_dwordx4 v[41:44], v[13:14], off offset:64
	v_add_co_u32_e64 v15, s[2:3], 4, v15
	v_add_co_u32_e64 v27, s[6:7], 16, v27
	;; [unrolled: 1-line block ×3, first 2 shown]
	v_addc_co_u32_e64 v16, s[2:3], 0, v16, s[2:3]
	v_addc_co_u32_e64 v28, s[2:3], 0, v28, s[6:7]
	;; [unrolled: 1-line block ×3, first 2 shown]
	v_cmp_eq_u64_e64 s[2:3], 0, v[29:30]
	s_or_b64 s[20:21], s[2:3], s[20:21]
	s_waitcnt vmcnt(3)
	v_subrev_u32_e32 v45, s16, v45
	v_lshlrev_b32_e32 v45, 2, v45
	v_ashrrev_i32_e32 v46, 31, v45
	v_lshlrev_b64 v[45:46], 3, v[45:46]
	v_add_co_u32_e32 v49, vcc, s10, v45
	v_addc_co_u32_e32 v50, vcc, v32, v46, vcc
	global_load_dwordx4 v[45:48], v[49:50], off
	s_waitcnt vmcnt(0)
	v_fma_f64 v[21:22], v[37:38], v[45:46], v[21:22]
	v_fma_f64 v[19:20], v[33:34], v[45:46], v[19:20]
	;; [unrolled: 1-line block ×3, first 2 shown]
	global_load_dwordx4 v[37:40], v[13:14], off offset:96
	v_fma_f64 v[53:54], v[35:36], v[47:48], v[19:20]
	v_fma_f64 v[19:20], v[41:42], v[45:46], v[23:24]
	global_load_dwordx4 v[33:36], v[13:14], off offset:48
	v_fma_f64 v[23:24], v[43:44], v[47:48], v[19:20]
	global_load_dwordx4 v[19:22], v[13:14], off offset:16
	s_waitcnt vmcnt(2)
	v_fma_f64 v[17:18], v[37:38], v[45:46], v[17:18]
	v_fma_f64 v[17:18], v[39:40], v[47:48], v[17:18]
	global_load_dwordx4 v[37:40], v[13:14], off offset:80
	global_load_dwordx4 v[41:44], v[13:14], off offset:112
	;; [unrolled: 1-line block ×3, first 2 shown]
	v_add_co_u32_e32 v13, vcc, s17, v13
	v_addc_co_u32_e32 v14, vcc, 0, v14, vcc
	s_waitcnt vmcnt(0)
	v_fma_f64 v[19:20], v[19:20], v[45:46], v[51:52]
	v_fma_f64 v[33:34], v[33:34], v[45:46], v[53:54]
	;; [unrolled: 1-line block ×8, first 2 shown]
	s_andn2_b64 exec, exec, s[20:21]
	s_cbranch_execnz .LBB25_17
; %bb.18:
	s_or_b64 exec, exec, s[20:21]
.LBB25_19:
	s_or_b64 exec, exec, s[18:19]
	v_cmp_lt_u64_e32 vcc, 11, v[25:26]
	s_and_saveexec_b64 s[2:3], vcc
	s_cbranch_execz .LBB25_23
; %bb.20:
	v_lshlrev_b64 v[25:26], 2, v[15:16]
	v_mov_b32_e32 v27, s13
	v_add_co_u32_e32 v25, vcc, s12, v25
	v_addc_co_u32_e32 v26, vcc, v27, v26, vcc
	v_add_co_u32_e32 v25, vcc, 32, v25
	v_addc_co_u32_e32 v26, vcc, 0, v26, vcc
	s_mov_b64 s[6:7], 0
	s_waitcnt lgkmcnt(0)
	v_mov_b32_e32 v27, s11
	s_movk_i32 s8, 0x800
.LBB25_21:                              ; =>This Inner Loop Header: Depth=1
	global_load_dword v28, v[25:26], off offset:-32
	global_load_dwordx4 v[32:35], v[13:14], off offset:48
	global_load_dwordx4 v[36:39], v[13:14], off offset:32
	global_load_dwordx4 v[40:43], v[13:14], off offset:16
	global_load_dwordx4 v[44:47], v[13:14], off
	s_waitcnt vmcnt(4)
	v_subrev_u32_e32 v28, s16, v28
	v_lshlrev_b32_e32 v28, 2, v28
	v_ashrrev_i32_e32 v29, 31, v28
	v_lshlrev_b64 v[28:29], 3, v[28:29]
	v_add_co_u32_e32 v28, vcc, s10, v28
	v_addc_co_u32_e32 v29, vcc, v27, v29, vcc
	global_load_dwordx4 v[48:51], v[28:29], off offset:16
	global_load_dwordx4 v[52:55], v[28:29], off
	s_waitcnt vmcnt(0)
	v_fma_f64 v[21:22], v[44:45], v[52:53], v[21:22]
	v_fma_f64 v[19:20], v[36:37], v[52:53], v[19:20]
	;; [unrolled: 1-line block ×8, first 2 shown]
	global_load_dwordx4 v[19:22], v[13:14], off offset:112
	global_load_dwordx4 v[32:35], v[13:14], off offset:96
	;; [unrolled: 1-line block ×4, first 2 shown]
	s_waitcnt vmcnt(2)
	v_fma_f64 v[17:18], v[32:33], v[52:53], v[17:18]
	s_waitcnt vmcnt(0)
	v_fma_f64 v[23:24], v[40:41], v[52:53], v[23:24]
	v_fma_f64 v[17:18], v[34:35], v[54:55], v[17:18]
	;; [unrolled: 1-line block ×6, first 2 shown]
	global_load_dword v17, v[25:26], off offset:-16
	v_fma_f64 v[58:59], v[38:39], v[50:51], v[23:24]
	s_waitcnt vmcnt(0)
	v_subrev_u32_e32 v17, s16, v17
	v_lshlrev_b32_e32 v40, 2, v17
	v_ashrrev_i32_e32 v41, 31, v40
	v_lshlrev_b64 v[40:41], 3, v[40:41]
	global_load_dwordx4 v[17:20], v[13:14], off offset:560
	global_load_dwordx4 v[21:24], v[13:14], off offset:544
	;; [unrolled: 1-line block ×4, first 2 shown]
	v_add_co_u32_e32 v50, vcc, s10, v40
	v_addc_co_u32_e32 v51, vcc, v27, v41, vcc
	global_load_dwordx4 v[40:43], v[50:51], off offset:16
	global_load_dwordx4 v[44:47], v[50:51], off
	s_waitcnt vmcnt(0)
	v_fma_f64 v[28:29], v[36:37], v[44:45], v[28:29]
	v_fma_f64 v[21:22], v[21:22], v[44:45], v[56:57]
	v_fma_f64 v[28:29], v[38:39], v[46:47], v[28:29]
	v_fma_f64 v[21:22], v[23:24], v[46:47], v[21:22]
	v_fma_f64 v[28:29], v[32:33], v[40:41], v[28:29]
	v_fma_f64 v[17:18], v[17:18], v[40:41], v[21:22]
	v_fma_f64 v[28:29], v[34:35], v[42:43], v[28:29]
	v_fma_f64 v[50:51], v[19:20], v[42:43], v[17:18]
	global_load_dwordx4 v[17:20], v[13:14], off offset:624
	global_load_dwordx4 v[21:24], v[13:14], off offset:608
	;; [unrolled: 1-line block ×4, first 2 shown]
	s_waitcnt vmcnt(2)
	v_fma_f64 v[21:22], v[21:22], v[44:45], v[48:49]
	s_waitcnt vmcnt(0)
	v_fma_f64 v[36:37], v[36:37], v[44:45], v[58:59]
	v_fma_f64 v[21:22], v[23:24], v[46:47], v[21:22]
	;; [unrolled: 1-line block ×6, first 2 shown]
	global_load_dword v17, v[25:26], off
	v_fma_f64 v[52:53], v[34:35], v[42:43], v[32:33]
	s_waitcnt vmcnt(0)
	v_subrev_u32_e32 v17, s16, v17
	v_lshlrev_b32_e32 v40, 2, v17
	v_ashrrev_i32_e32 v41, 31, v40
	v_lshlrev_b64 v[40:41], 3, v[40:41]
	global_load_dwordx4 v[17:20], v[13:14], off offset:1072
	global_load_dwordx4 v[21:24], v[13:14], off offset:1056
	;; [unrolled: 1-line block ×4, first 2 shown]
	v_add_co_u32_e32 v54, vcc, s10, v40
	v_addc_co_u32_e32 v55, vcc, v27, v41, vcc
	global_load_dwordx4 v[40:43], v[54:55], off offset:16
	global_load_dwordx4 v[44:47], v[54:55], off
	s_waitcnt vmcnt(0)
	v_fma_f64 v[28:29], v[36:37], v[44:45], v[28:29]
	v_fma_f64 v[21:22], v[21:22], v[44:45], v[50:51]
	;; [unrolled: 1-line block ×8, first 2 shown]
	global_load_dwordx4 v[17:20], v[13:14], off offset:1136
	global_load_dwordx4 v[21:24], v[13:14], off offset:1120
	;; [unrolled: 1-line block ×4, first 2 shown]
	s_waitcnt vmcnt(2)
	v_fma_f64 v[21:22], v[21:22], v[44:45], v[48:49]
	s_waitcnt vmcnt(0)
	v_fma_f64 v[36:37], v[36:37], v[44:45], v[52:53]
	v_fma_f64 v[21:22], v[23:24], v[46:47], v[21:22]
	;; [unrolled: 1-line block ×6, first 2 shown]
	global_load_dword v17, v[25:26], off offset:16
	v_fma_f64 v[56:57], v[34:35], v[42:43], v[32:33]
	s_waitcnt vmcnt(0)
	v_subrev_u32_e32 v17, s16, v17
	v_lshlrev_b32_e32 v40, 2, v17
	v_ashrrev_i32_e32 v41, 31, v40
	v_lshlrev_b64 v[40:41], 3, v[40:41]
	global_load_dwordx4 v[17:20], v[13:14], off offset:1584
	global_load_dwordx4 v[32:35], v[13:14], off offset:1568
	global_load_dwordx4 v[21:24], v[13:14], off offset:1552
	global_load_dwordx4 v[36:39], v[13:14], off offset:1536
	v_add_co_u32_e32 v48, vcc, s10, v40
	v_addc_co_u32_e32 v49, vcc, v27, v41, vcc
	global_load_dwordx4 v[40:43], v[48:49], off offset:16
	global_load_dwordx4 v[44:47], v[48:49], off
	s_waitcnt vmcnt(0)
	v_fma_f64 v[28:29], v[36:37], v[44:45], v[28:29]
	v_fma_f64 v[28:29], v[38:39], v[46:47], v[28:29]
	;; [unrolled: 1-line block ×6, first 2 shown]
	global_load_dwordx4 v[32:35], v[13:14], off offset:1648
	global_load_dwordx4 v[36:39], v[13:14], off offset:1632
	;; [unrolled: 1-line block ×4, first 2 shown]
	v_add_co_u32_e32 v13, vcc, s8, v13
	v_addc_co_u32_e32 v14, vcc, 0, v14, vcc
	v_add_co_u32_e32 v15, vcc, 16, v15
	v_fma_f64 v[17:18], v[17:18], v[40:41], v[23:24]
	v_addc_co_u32_e32 v16, vcc, 0, v16, vcc
	v_add_co_u32_e32 v25, vcc, 64, v25
	v_addc_co_u32_e32 v26, vcc, 0, v26, vcc
	v_cmp_ge_i64_e32 vcc, v[15:16], v[4:5]
	v_fma_f64 v[19:20], v[19:20], v[42:43], v[17:18]
	s_or_b64 s[6:7], vcc, s[6:7]
	s_waitcnt vmcnt(0)
	v_fma_f64 v[17:18], v[52:53], v[44:45], v[56:57]
	v_fma_f64 v[17:18], v[54:55], v[46:47], v[17:18]
	;; [unrolled: 1-line block ×8, first 2 shown]
	s_andn2_b64 exec, exec, s[6:7]
	s_cbranch_execnz .LBB25_21
; %bb.22:
	s_or_b64 exec, exec, s[6:7]
.LBB25_23:
	s_or_b64 exec, exec, s[2:3]
.LBB25_24:
	s_or_b64 exec, exec, s[14:15]
	s_cbranch_execz .LBB25_26
	s_branch .LBB25_37
.LBB25_25:
                                        ; implicit-def: $vgpr17_vgpr18
                                        ; implicit-def: $vgpr23_vgpr24
                                        ; implicit-def: $vgpr19_vgpr20
                                        ; implicit-def: $vgpr21_vgpr22
.LBB25_26:
	v_mov_b32_e32 v17, 0
	v_mov_b32_e32 v23, 0
	;; [unrolled: 1-line block ×8, first 2 shown]
	s_and_saveexec_b64 s[2:3], s[0:1]
	s_cbranch_execz .LBB25_36
; %bb.27:
	v_or_b32_e32 v13, 4, v31
	v_subrev_co_u32_e32 v13, vcc, s16, v13
	v_subb_co_u32_e64 v14, s[0:1], 0, 0, vcc
	v_add_co_u32_e32 v13, vcc, v13, v11
	v_addc_co_u32_e32 v14, vcc, v14, v12, vcc
	v_cmp_gt_i64_e32 vcc, v[13:14], v[4:5]
	v_not_b32_e32 v11, v11
	v_cndmask_b32_e32 v14, v5, v14, vcc
	v_cndmask_b32_e32 v13, v4, v13, vcc
	v_sub_co_u32_e32 v15, vcc, s16, v31
	v_not_b32_e32 v12, v12
	v_subb_co_u32_e64 v16, s[0:1], 0, 0, vcc
	v_add_co_u32_e32 v11, vcc, v15, v11
	v_addc_co_u32_e32 v12, vcc, v16, v12, vcc
	v_add_co_u32_e32 v11, vcc, v11, v13
	v_addc_co_u32_e32 v12, vcc, v12, v14, vcc
	v_and_b32_e32 v13, 12, v11
	v_mov_b32_e32 v14, 0
	v_cmp_ne_u64_e32 vcc, 12, v[13:14]
	v_mov_b32_e32 v21, 0
	v_mov_b32_e32 v19, 0
	;; [unrolled: 1-line block ×8, first 2 shown]
	s_and_saveexec_b64 s[0:1], vcc
	s_cbranch_execz .LBB25_31
; %bb.28:
	v_lshrrev_b32_e32 v13, 2, v11
	v_add_u32_e32 v13, 1, v13
	v_and_b32_e32 v15, 3, v13
	v_lshlrev_b64 v[13:14], 2, v[0:1]
	v_mov_b32_e32 v16, s13
	v_add_co_u32_e32 v13, vcc, s12, v13
	v_addc_co_u32_e32 v14, vcc, v16, v14, vcc
	v_sub_co_u32_e32 v15, vcc, 0, v15
	v_subb_co_u32_e64 v16, s[8:9], 0, 0, vcc
	v_mov_b32_e32 v17, 0
	v_mov_b32_e32 v23, 0
	;; [unrolled: 1-line block ×4, first 2 shown]
	s_mov_b64 s[6:7], 0
	v_mov_b32_e32 v18, 0
	s_movk_i32 s8, 0x200
	v_mov_b32_e32 v24, 0
	v_mov_b32_e32 v20, 0
	;; [unrolled: 1-line block ×3, first 2 shown]
	s_waitcnt lgkmcnt(0)
	v_mov_b32_e32 v25, s11
.LBB25_29:                              ; =>This Inner Loop Header: Depth=1
	global_load_dword v26, v[13:14], off
	s_waitcnt vmcnt(0)
	v_subrev_u32_e32 v26, s16, v26
	v_lshlrev_b32_e32 v44, 2, v26
	v_ashrrev_i32_e32 v45, 31, v44
	v_lshlrev_b64 v[44:45], 3, v[44:45]
	global_load_dwordx4 v[26:29], v[6:7], off offset:48
	global_load_dwordx4 v[32:35], v[6:7], off offset:32
	;; [unrolled: 1-line block ×3, first 2 shown]
	global_load_dwordx4 v[40:43], v[6:7], off
	v_add_co_u32_e32 v52, vcc, s10, v44
	v_addc_co_u32_e32 v53, vcc, v25, v45, vcc
	global_load_dwordx4 v[44:47], v[52:53], off offset:16
	global_load_dwordx4 v[48:51], v[52:53], off
	s_waitcnt vmcnt(0)
	v_fma_f64 v[21:22], v[40:41], v[48:49], v[21:22]
	v_fma_f64 v[19:20], v[42:43], v[48:49], v[19:20]
	;; [unrolled: 1-line block ×8, first 2 shown]
	global_load_dwordx4 v[26:29], v[6:7], off offset:112
	global_load_dwordx4 v[17:20], v[6:7], off offset:96
	global_load_dwordx4 v[21:24], v[6:7], off offset:80
	global_load_dwordx4 v[32:35], v[6:7], off offset:64
	v_add_co_u32_e32 v6, vcc, s8, v6
	v_addc_co_u32_e32 v7, vcc, 0, v7, vcc
	v_add_co_u32_e32 v0, vcc, 4, v0
	v_addc_co_u32_e32 v1, vcc, 0, v1, vcc
	;; [unrolled: 2-line block ×4, first 2 shown]
	v_cmp_eq_u64_e32 vcc, 0, v[15:16]
	s_or_b64 s[6:7], vcc, s[6:7]
	s_waitcnt vmcnt(0)
	v_fma_f64 v[32:33], v[32:33], v[44:45], v[36:37]
	v_fma_f64 v[34:35], v[34:35], v[44:45], v[38:39]
	;; [unrolled: 1-line block ×8, first 2 shown]
	s_andn2_b64 exec, exec, s[6:7]
	s_cbranch_execnz .LBB25_29
; %bb.30:
	s_or_b64 exec, exec, s[6:7]
.LBB25_31:
	s_or_b64 exec, exec, s[0:1]
	v_cmp_lt_u64_e32 vcc, 11, v[11:12]
	s_and_saveexec_b64 s[0:1], vcc
	s_cbranch_execz .LBB25_35
; %bb.32:
	v_lshlrev_b64 v[11:12], 2, v[0:1]
	v_mov_b32_e32 v13, s13
	v_add_co_u32_e32 v11, vcc, s12, v11
	v_addc_co_u32_e32 v12, vcc, v13, v12, vcc
	v_add_co_u32_e32 v11, vcc, 32, v11
	v_addc_co_u32_e32 v12, vcc, 0, v12, vcc
	s_mov_b64 s[6:7], 0
	s_waitcnt lgkmcnt(0)
	v_mov_b32_e32 v13, s11
	s_movk_i32 s8, 0x800
.LBB25_33:                              ; =>This Inner Loop Header: Depth=1
	global_load_dword v14, v[11:12], off offset:-32
	global_load_dwordx4 v[25:28], v[6:7], off offset:48
	global_load_dwordx4 v[32:35], v[6:7], off offset:32
	;; [unrolled: 1-line block ×3, first 2 shown]
	global_load_dwordx4 v[40:43], v[6:7], off
	s_waitcnt vmcnt(4)
	v_subrev_u32_e32 v14, s16, v14
	v_lshlrev_b32_e32 v14, 2, v14
	v_ashrrev_i32_e32 v15, 31, v14
	v_lshlrev_b64 v[14:15], 3, v[14:15]
	v_add_co_u32_e32 v14, vcc, s10, v14
	v_addc_co_u32_e32 v15, vcc, v13, v15, vcc
	global_load_dwordx4 v[44:47], v[14:15], off offset:16
	global_load_dwordx4 v[48:51], v[14:15], off
	s_waitcnt vmcnt(0)
	v_fma_f64 v[14:15], v[40:41], v[48:49], v[21:22]
	v_fma_f64 v[19:20], v[42:43], v[48:49], v[19:20]
	;; [unrolled: 1-line block ×8, first 2 shown]
	global_load_dwordx4 v[14:17], v[6:7], off offset:112
	global_load_dwordx4 v[18:21], v[6:7], off offset:96
	;; [unrolled: 1-line block ×4, first 2 shown]
	s_waitcnt vmcnt(1)
	v_fma_f64 v[22:23], v[22:23], v[44:45], v[36:37]
	s_waitcnt vmcnt(0)
	v_fma_f64 v[26:27], v[26:27], v[44:45], v[32:33]
	v_fma_f64 v[28:29], v[28:29], v[44:45], v[34:35]
	;; [unrolled: 1-line block ×4, first 2 shown]
	global_load_dword v14, v[11:12], off offset:-16
	v_fma_f64 v[40:41], v[18:19], v[46:47], v[26:27]
	v_fma_f64 v[42:43], v[20:21], v[46:47], v[28:29]
	;; [unrolled: 1-line block ×3, first 2 shown]
	s_waitcnt vmcnt(0)
	v_subrev_u32_e32 v14, s16, v14
	v_lshlrev_b32_e32 v32, 2, v14
	v_ashrrev_i32_e32 v33, 31, v32
	v_lshlrev_b64 v[32:33], 3, v[32:33]
	global_load_dwordx4 v[14:17], v[6:7], off offset:560
	global_load_dwordx4 v[18:21], v[6:7], off offset:544
	;; [unrolled: 1-line block ×4, first 2 shown]
	v_add_co_u32_e32 v48, vcc, s10, v32
	v_addc_co_u32_e32 v49, vcc, v13, v33, vcc
	global_load_dwordx4 v[32:35], v[48:49], off offset:16
	global_load_dwordx4 v[36:39], v[48:49], off
	s_waitcnt vmcnt(0)
	v_fma_f64 v[26:27], v[26:27], v[36:37], v[40:41]
	v_fma_f64 v[28:29], v[28:29], v[36:37], v[42:43]
	;; [unrolled: 1-line block ×8, first 2 shown]
	global_load_dwordx4 v[14:17], v[6:7], off offset:624
	global_load_dwordx4 v[18:21], v[6:7], off offset:608
	;; [unrolled: 1-line block ×4, first 2 shown]
	s_waitcnt vmcnt(1)
	v_fma_f64 v[22:23], v[22:23], v[32:33], v[42:43]
	s_waitcnt vmcnt(0)
	v_fma_f64 v[26:27], v[26:27], v[32:33], v[36:37]
	v_fma_f64 v[28:29], v[28:29], v[32:33], v[40:41]
	;; [unrolled: 1-line block ×4, first 2 shown]
	global_load_dword v14, v[11:12], off
	v_fma_f64 v[40:41], v[18:19], v[34:35], v[26:27]
	v_fma_f64 v[42:43], v[20:21], v[34:35], v[28:29]
	;; [unrolled: 1-line block ×3, first 2 shown]
	s_waitcnt vmcnt(0)
	v_subrev_u32_e32 v14, s16, v14
	v_lshlrev_b32_e32 v32, 2, v14
	v_ashrrev_i32_e32 v33, 31, v32
	v_lshlrev_b64 v[32:33], 3, v[32:33]
	global_load_dwordx4 v[14:17], v[6:7], off offset:1072
	global_load_dwordx4 v[18:21], v[6:7], off offset:1056
	;; [unrolled: 1-line block ×4, first 2 shown]
	v_add_co_u32_e32 v48, vcc, s10, v32
	v_addc_co_u32_e32 v49, vcc, v13, v33, vcc
	global_load_dwordx4 v[32:35], v[48:49], off offset:16
	global_load_dwordx4 v[36:39], v[48:49], off
	s_waitcnt vmcnt(0)
	v_fma_f64 v[26:27], v[26:27], v[36:37], v[40:41]
	v_fma_f64 v[28:29], v[28:29], v[36:37], v[42:43]
	v_fma_f64 v[22:23], v[22:23], v[36:37], v[44:45]
	v_fma_f64 v[24:25], v[24:25], v[36:37], v[46:47]
	v_fma_f64 v[36:37], v[18:19], v[38:39], v[26:27]
	v_fma_f64 v[40:41], v[20:21], v[38:39], v[28:29]
	v_fma_f64 v[42:43], v[14:15], v[38:39], v[22:23]
	v_fma_f64 v[38:39], v[16:17], v[38:39], v[24:25]
	global_load_dwordx4 v[14:17], v[6:7], off offset:1136
	global_load_dwordx4 v[18:21], v[6:7], off offset:1120
	;; [unrolled: 1-line block ×4, first 2 shown]
	s_waitcnt vmcnt(1)
	v_fma_f64 v[22:23], v[22:23], v[32:33], v[42:43]
	s_waitcnt vmcnt(0)
	v_fma_f64 v[26:27], v[26:27], v[32:33], v[36:37]
	v_fma_f64 v[28:29], v[28:29], v[32:33], v[40:41]
	;; [unrolled: 1-line block ×4, first 2 shown]
	global_load_dword v14, v[11:12], off offset:16
	v_fma_f64 v[40:41], v[18:19], v[34:35], v[26:27]
	v_fma_f64 v[42:43], v[20:21], v[34:35], v[28:29]
	;; [unrolled: 1-line block ×3, first 2 shown]
	s_waitcnt vmcnt(0)
	v_subrev_u32_e32 v14, s16, v14
	v_lshlrev_b32_e32 v32, 2, v14
	v_ashrrev_i32_e32 v33, 31, v32
	v_lshlrev_b64 v[32:33], 3, v[32:33]
	global_load_dwordx4 v[14:17], v[6:7], off offset:1584
	global_load_dwordx4 v[18:21], v[6:7], off offset:1568
	;; [unrolled: 1-line block ×4, first 2 shown]
	v_add_co_u32_e32 v48, vcc, s10, v32
	v_addc_co_u32_e32 v49, vcc, v13, v33, vcc
	global_load_dwordx4 v[32:35], v[48:49], off offset:16
	global_load_dwordx4 v[36:39], v[48:49], off
	s_waitcnt vmcnt(0)
	v_fma_f64 v[26:27], v[26:27], v[36:37], v[40:41]
	v_fma_f64 v[28:29], v[28:29], v[36:37], v[42:43]
	;; [unrolled: 1-line block ×8, first 2 shown]
	global_load_dwordx4 v[14:17], v[6:7], off offset:1648
	global_load_dwordx4 v[21:24], v[6:7], off offset:1632
	;; [unrolled: 1-line block ×4, first 2 shown]
	v_add_co_u32_e32 v6, vcc, s8, v6
	v_addc_co_u32_e32 v7, vcc, 0, v7, vcc
	v_add_co_u32_e32 v0, vcc, 16, v0
	v_addc_co_u32_e32 v1, vcc, 0, v1, vcc
	;; [unrolled: 2-line block ×3, first 2 shown]
	v_cmp_ge_i64_e32 vcc, v[0:1], v[4:5]
	s_or_b64 s[6:7], vcc, s[6:7]
	s_waitcnt vmcnt(1)
	v_fma_f64 v[25:26], v[25:26], v[32:33], v[40:41]
	s_waitcnt vmcnt(0)
	v_fma_f64 v[18:19], v[36:37], v[32:33], v[18:19]
	v_fma_f64 v[29:30], v[38:39], v[32:33], v[29:30]
	v_fma_f64 v[27:28], v[27:28], v[32:33], v[42:43]
	v_fma_f64 v[21:22], v[21:22], v[34:35], v[18:19]
	v_fma_f64 v[19:20], v[23:24], v[34:35], v[29:30]
	v_fma_f64 v[23:24], v[14:15], v[34:35], v[25:26]
	v_fma_f64 v[17:18], v[16:17], v[34:35], v[27:28]
	s_andn2_b64 exec, exec, s[6:7]
	s_cbranch_execnz .LBB25_33
; %bb.34:
	s_or_b64 exec, exec, s[6:7]
.LBB25_35:
	s_or_b64 exec, exec, s[0:1]
.LBB25_36:
	s_or_b64 exec, exec, s[2:3]
.LBB25_37:
	v_mov_b32_dpp v0, v21 row_shr:1 row_mask:0xf bank_mask:0xf
	v_mov_b32_dpp v1, v22 row_shr:1 row_mask:0xf bank_mask:0xf
	;; [unrolled: 1-line block ×8, first 2 shown]
	v_add_f64 v[0:1], v[21:22], v[0:1]
	v_add_f64 v[4:5], v[19:20], v[4:5]
	v_add_f64 v[6:7], v[23:24], v[6:7]
	v_add_f64 v[11:12], v[17:18], v[11:12]
	v_cmp_eq_u32_e32 vcc, 3, v31
	v_mov_b32_dpp v19, v0 row_shr:2 row_mask:0xf bank_mask:0xf
	v_mov_b32_dpp v20, v1 row_shr:2 row_mask:0xf bank_mask:0xf
	;; [unrolled: 1-line block ×8, first 2 shown]
	s_and_b64 exec, exec, vcc
	s_cbranch_execz .LBB25_10
; %bb.38:
	v_add_f64 v[0:1], v[0:1], v[19:20]
	v_add_f64 v[17:18], v[4:5], v[17:18]
	;; [unrolled: 1-line block ×4, first 2 shown]
	v_cmp_eq_f64_e32 vcc, 0, v[8:9]
	s_load_dwordx2 s[0:1], s[4:5], 0x50
	v_lshlrev_b32_e32 v10, 2, v10
	v_mul_f64 v[4:5], v[2:3], v[0:1]
	v_mul_f64 v[6:7], v[2:3], v[17:18]
	;; [unrolled: 1-line block ×4, first 2 shown]
	s_and_saveexec_b64 s[2:3], vcc
	s_xor_b64 s[2:3], exec, s[2:3]
	s_cbranch_execz .LBB25_40
; %bb.39:
	v_ashrrev_i32_e32 v11, 31, v10
	v_lshlrev_b64 v[8:9], 3, v[10:11]
	s_waitcnt lgkmcnt(0)
	v_mov_b32_e32 v10, s1
	v_add_co_u32_e32 v8, vcc, s0, v8
	v_addc_co_u32_e32 v9, vcc, v10, v9, vcc
	global_store_dwordx4 v[8:9], v[4:7], off
	global_store_dwordx4 v[8:9], v[0:3], off offset:16
                                        ; implicit-def: $vgpr10
                                        ; implicit-def: $vgpr8_vgpr9
                                        ; implicit-def: $vgpr4_vgpr5
                                        ; implicit-def: $vgpr0_vgpr1
.LBB25_40:
	s_andn2_saveexec_b64 s[2:3], s[2:3]
	s_cbranch_execz .LBB25_10
; %bb.41:
	v_ashrrev_i32_e32 v11, 31, v10
	v_lshlrev_b64 v[10:11], 3, v[10:11]
	s_waitcnt lgkmcnt(0)
	v_mov_b32_e32 v12, s1
	v_add_co_u32_e32 v18, vcc, s0, v10
	v_addc_co_u32_e32 v19, vcc, v12, v11, vcc
	global_load_dwordx4 v[10:13], v[18:19], off
	global_load_dwordx4 v[14:17], v[18:19], off offset:16
	s_waitcnt vmcnt(1)
	v_fma_f64 v[4:5], v[8:9], v[10:11], v[4:5]
	v_fma_f64 v[6:7], v[8:9], v[12:13], v[6:7]
	s_waitcnt vmcnt(0)
	v_fma_f64 v[0:1], v[8:9], v[14:15], v[0:1]
	v_fma_f64 v[2:3], v[8:9], v[16:17], v[2:3]
	global_store_dwordx4 v[18:19], v[4:7], off
	global_store_dwordx4 v[18:19], v[0:3], off offset:16
	s_endpgm
	.section	.rodata,"a",@progbits
	.p2align	6, 0x0
	.amdhsa_kernel _ZN9rocsparseL18bsrxmvn_4x4_kernelILj128ELj4EdlidddEEvT3_20rocsparse_direction_NS_24const_host_device_scalarIT1_EES1_PKS1_PKT2_SA_S7_PKT4_PKT5_S5_PT6_21rocsparse_index_base_b
		.amdhsa_group_segment_fixed_size 0
		.amdhsa_private_segment_fixed_size 0
		.amdhsa_kernarg_size 96
		.amdhsa_user_sgpr_count 6
		.amdhsa_user_sgpr_private_segment_buffer 1
		.amdhsa_user_sgpr_dispatch_ptr 0
		.amdhsa_user_sgpr_queue_ptr 0
		.amdhsa_user_sgpr_kernarg_segment_ptr 1
		.amdhsa_user_sgpr_dispatch_id 0
		.amdhsa_user_sgpr_flat_scratch_init 0
		.amdhsa_user_sgpr_private_segment_size 0
		.amdhsa_uses_dynamic_stack 0
		.amdhsa_system_sgpr_private_segment_wavefront_offset 0
		.amdhsa_system_sgpr_workgroup_id_x 1
		.amdhsa_system_sgpr_workgroup_id_y 0
		.amdhsa_system_sgpr_workgroup_id_z 0
		.amdhsa_system_sgpr_workgroup_info 0
		.amdhsa_system_vgpr_workitem_id 0
		.amdhsa_next_free_vgpr 60
		.amdhsa_next_free_sgpr 22
		.amdhsa_reserve_vcc 1
		.amdhsa_reserve_flat_scratch 0
		.amdhsa_float_round_mode_32 0
		.amdhsa_float_round_mode_16_64 0
		.amdhsa_float_denorm_mode_32 3
		.amdhsa_float_denorm_mode_16_64 3
		.amdhsa_dx10_clamp 1
		.amdhsa_ieee_mode 1
		.amdhsa_fp16_overflow 0
		.amdhsa_exception_fp_ieee_invalid_op 0
		.amdhsa_exception_fp_denorm_src 0
		.amdhsa_exception_fp_ieee_div_zero 0
		.amdhsa_exception_fp_ieee_overflow 0
		.amdhsa_exception_fp_ieee_underflow 0
		.amdhsa_exception_fp_ieee_inexact 0
		.amdhsa_exception_int_div_zero 0
	.end_amdhsa_kernel
	.section	.text._ZN9rocsparseL18bsrxmvn_4x4_kernelILj128ELj4EdlidddEEvT3_20rocsparse_direction_NS_24const_host_device_scalarIT1_EES1_PKS1_PKT2_SA_S7_PKT4_PKT5_S5_PT6_21rocsparse_index_base_b,"axG",@progbits,_ZN9rocsparseL18bsrxmvn_4x4_kernelILj128ELj4EdlidddEEvT3_20rocsparse_direction_NS_24const_host_device_scalarIT1_EES1_PKS1_PKT2_SA_S7_PKT4_PKT5_S5_PT6_21rocsparse_index_base_b,comdat
.Lfunc_end25:
	.size	_ZN9rocsparseL18bsrxmvn_4x4_kernelILj128ELj4EdlidddEEvT3_20rocsparse_direction_NS_24const_host_device_scalarIT1_EES1_PKS1_PKT2_SA_S7_PKT4_PKT5_S5_PT6_21rocsparse_index_base_b, .Lfunc_end25-_ZN9rocsparseL18bsrxmvn_4x4_kernelILj128ELj4EdlidddEEvT3_20rocsparse_direction_NS_24const_host_device_scalarIT1_EES1_PKS1_PKT2_SA_S7_PKT4_PKT5_S5_PT6_21rocsparse_index_base_b
                                        ; -- End function
	.set _ZN9rocsparseL18bsrxmvn_4x4_kernelILj128ELj4EdlidddEEvT3_20rocsparse_direction_NS_24const_host_device_scalarIT1_EES1_PKS1_PKT2_SA_S7_PKT4_PKT5_S5_PT6_21rocsparse_index_base_b.num_vgpr, 60
	.set _ZN9rocsparseL18bsrxmvn_4x4_kernelILj128ELj4EdlidddEEvT3_20rocsparse_direction_NS_24const_host_device_scalarIT1_EES1_PKS1_PKT2_SA_S7_PKT4_PKT5_S5_PT6_21rocsparse_index_base_b.num_agpr, 0
	.set _ZN9rocsparseL18bsrxmvn_4x4_kernelILj128ELj4EdlidddEEvT3_20rocsparse_direction_NS_24const_host_device_scalarIT1_EES1_PKS1_PKT2_SA_S7_PKT4_PKT5_S5_PT6_21rocsparse_index_base_b.numbered_sgpr, 22
	.set _ZN9rocsparseL18bsrxmvn_4x4_kernelILj128ELj4EdlidddEEvT3_20rocsparse_direction_NS_24const_host_device_scalarIT1_EES1_PKS1_PKT2_SA_S7_PKT4_PKT5_S5_PT6_21rocsparse_index_base_b.num_named_barrier, 0
	.set _ZN9rocsparseL18bsrxmvn_4x4_kernelILj128ELj4EdlidddEEvT3_20rocsparse_direction_NS_24const_host_device_scalarIT1_EES1_PKS1_PKT2_SA_S7_PKT4_PKT5_S5_PT6_21rocsparse_index_base_b.private_seg_size, 0
	.set _ZN9rocsparseL18bsrxmvn_4x4_kernelILj128ELj4EdlidddEEvT3_20rocsparse_direction_NS_24const_host_device_scalarIT1_EES1_PKS1_PKT2_SA_S7_PKT4_PKT5_S5_PT6_21rocsparse_index_base_b.uses_vcc, 1
	.set _ZN9rocsparseL18bsrxmvn_4x4_kernelILj128ELj4EdlidddEEvT3_20rocsparse_direction_NS_24const_host_device_scalarIT1_EES1_PKS1_PKT2_SA_S7_PKT4_PKT5_S5_PT6_21rocsparse_index_base_b.uses_flat_scratch, 0
	.set _ZN9rocsparseL18bsrxmvn_4x4_kernelILj128ELj4EdlidddEEvT3_20rocsparse_direction_NS_24const_host_device_scalarIT1_EES1_PKS1_PKT2_SA_S7_PKT4_PKT5_S5_PT6_21rocsparse_index_base_b.has_dyn_sized_stack, 0
	.set _ZN9rocsparseL18bsrxmvn_4x4_kernelILj128ELj4EdlidddEEvT3_20rocsparse_direction_NS_24const_host_device_scalarIT1_EES1_PKS1_PKT2_SA_S7_PKT4_PKT5_S5_PT6_21rocsparse_index_base_b.has_recursion, 0
	.set _ZN9rocsparseL18bsrxmvn_4x4_kernelILj128ELj4EdlidddEEvT3_20rocsparse_direction_NS_24const_host_device_scalarIT1_EES1_PKS1_PKT2_SA_S7_PKT4_PKT5_S5_PT6_21rocsparse_index_base_b.has_indirect_call, 0
	.section	.AMDGPU.csdata,"",@progbits
; Kernel info:
; codeLenInByte = 4396
; TotalNumSgprs: 26
; NumVgprs: 60
; ScratchSize: 0
; MemoryBound: 1
; FloatMode: 240
; IeeeMode: 1
; LDSByteSize: 0 bytes/workgroup (compile time only)
; SGPRBlocks: 3
; VGPRBlocks: 14
; NumSGPRsForWavesPerEU: 26
; NumVGPRsForWavesPerEU: 60
; Occupancy: 4
; WaveLimiterHint : 1
; COMPUTE_PGM_RSRC2:SCRATCH_EN: 0
; COMPUTE_PGM_RSRC2:USER_SGPR: 6
; COMPUTE_PGM_RSRC2:TRAP_HANDLER: 0
; COMPUTE_PGM_RSRC2:TGID_X_EN: 1
; COMPUTE_PGM_RSRC2:TGID_Y_EN: 0
; COMPUTE_PGM_RSRC2:TGID_Z_EN: 0
; COMPUTE_PGM_RSRC2:TIDIG_COMP_CNT: 0
	.section	.text._ZN9rocsparseL18bsrxmvn_4x4_kernelILj128ELj8EdlidddEEvT3_20rocsparse_direction_NS_24const_host_device_scalarIT1_EES1_PKS1_PKT2_SA_S7_PKT4_PKT5_S5_PT6_21rocsparse_index_base_b,"axG",@progbits,_ZN9rocsparseL18bsrxmvn_4x4_kernelILj128ELj8EdlidddEEvT3_20rocsparse_direction_NS_24const_host_device_scalarIT1_EES1_PKS1_PKT2_SA_S7_PKT4_PKT5_S5_PT6_21rocsparse_index_base_b,comdat
	.globl	_ZN9rocsparseL18bsrxmvn_4x4_kernelILj128ELj8EdlidddEEvT3_20rocsparse_direction_NS_24const_host_device_scalarIT1_EES1_PKS1_PKT2_SA_S7_PKT4_PKT5_S5_PT6_21rocsparse_index_base_b ; -- Begin function _ZN9rocsparseL18bsrxmvn_4x4_kernelILj128ELj8EdlidddEEvT3_20rocsparse_direction_NS_24const_host_device_scalarIT1_EES1_PKS1_PKT2_SA_S7_PKT4_PKT5_S5_PT6_21rocsparse_index_base_b
	.p2align	8
	.type	_ZN9rocsparseL18bsrxmvn_4x4_kernelILj128ELj8EdlidddEEvT3_20rocsparse_direction_NS_24const_host_device_scalarIT1_EES1_PKS1_PKT2_SA_S7_PKT4_PKT5_S5_PT6_21rocsparse_index_base_b,@function
_ZN9rocsparseL18bsrxmvn_4x4_kernelILj128ELj8EdlidddEEvT3_20rocsparse_direction_NS_24const_host_device_scalarIT1_EES1_PKS1_PKT2_SA_S7_PKT4_PKT5_S5_PT6_21rocsparse_index_base_b: ; @_ZN9rocsparseL18bsrxmvn_4x4_kernelILj128ELj8EdlidddEEvT3_20rocsparse_direction_NS_24const_host_device_scalarIT1_EES1_PKS1_PKT2_SA_S7_PKT4_PKT5_S5_PT6_21rocsparse_index_base_b
; %bb.0:
	s_load_dwordx2 s[16:17], s[4:5], 0x58
	s_load_dwordx2 s[8:9], s[4:5], 0x8
	;; [unrolled: 1-line block ×3, first 2 shown]
	s_waitcnt lgkmcnt(0)
	s_bitcmp1_b32 s17, 0
	s_cselect_b64 s[10:11], -1, 0
	v_mov_b32_e32 v2, s8
	s_xor_b64 s[2:3], s[10:11], -1
	s_and_b64 vcc, exec, s[10:11]
	v_mov_b32_e32 v3, s9
	s_cbranch_vccnz .LBB26_2
; %bb.1:
	v_mov_b32_e32 v1, s8
	v_mov_b32_e32 v2, s9
	flat_load_dwordx2 v[2:3], v[1:2]
.LBB26_2:
	v_mov_b32_e32 v9, s1
	s_andn2_b64 vcc, exec, s[2:3]
	v_mov_b32_e32 v8, s0
	s_cbranch_vccnz .LBB26_4
; %bb.3:
	v_mov_b32_e32 v5, s1
	v_mov_b32_e32 v4, s0
	flat_load_dwordx2 v[8:9], v[4:5]
.LBB26_4:
	s_waitcnt vmcnt(0) lgkmcnt(0)
	v_cmp_neq_f64_e32 vcc, 0, v[2:3]
	v_cmp_neq_f64_e64 s[0:1], 1.0, v[8:9]
	s_mov_b64 s[2:3], 0
	s_or_b64 s[0:1], vcc, s[0:1]
	s_and_saveexec_b64 s[8:9], s[0:1]
	s_cbranch_execz .LBB26_10
; %bb.5:
	s_load_dwordx2 s[8:9], s[4:5], 0x18
	s_load_dwordx2 s[0:1], s[4:5], 0x0
	v_lshrrev_b32_e32 v1, 3, v0
	v_lshl_or_b32 v10, s6, 4, v1
	s_mov_b64 s[6:7], 0
	s_waitcnt lgkmcnt(0)
	s_cmp_lg_u64 s[8:9], 0
	s_cbranch_scc0 .LBB26_11
; %bb.6:
	s_load_dword s2, s[4:5], 0x10
                                        ; implicit-def: $vgpr1
	s_waitcnt lgkmcnt(0)
	v_cmp_gt_i32_e32 vcc, s2, v10
	s_and_saveexec_b64 s[2:3], vcc
	s_xor_b64 s[2:3], exec, s[2:3]
	s_cbranch_execz .LBB26_8
; %bb.7:
	v_ashrrev_i32_e32 v11, 31, v10
	v_lshlrev_b64 v[4:5], 2, v[10:11]
	v_mov_b32_e32 v1, s9
	v_add_co_u32_e32 v4, vcc, s8, v4
	v_addc_co_u32_e32 v5, vcc, v1, v5, vcc
	global_load_dword v1, v[4:5], off
	s_mov_b64 s[6:7], exec
	s_waitcnt vmcnt(0)
	v_subrev_u32_e32 v1, s16, v1
.LBB26_8:
	s_or_b64 exec, exec, s[2:3]
	s_mov_b64 s[2:3], s[6:7]
	s_branch .LBB26_12
.LBB26_9:
	v_cmp_gt_i32_e32 vcc, s0, v10
	s_andn2_b64 s[2:3], s[2:3], exec
	s_and_b64 s[6:7], vcc, exec
	s_or_b64 s[2:3], s[2:3], s[6:7]
	s_and_b64 exec, exec, s[2:3]
	s_cbranch_execnz .LBB26_13
.LBB26_10:
	s_endpgm
.LBB26_11:
                                        ; implicit-def: $vgpr1
	s_cbranch_execnz .LBB26_9
.LBB26_12:
	v_mov_b32_e32 v10, v1
	s_and_b64 exec, exec, s[2:3]
	s_cbranch_execz .LBB26_10
.LBB26_13:
	s_load_dwordx8 s[8:15], s[4:5], 0x20
	v_ashrrev_i32_e32 v11, 31, v10
	v_lshlrev_b64 v[4:5], 3, v[10:11]
	v_and_b32_e32 v31, 7, v0
	s_waitcnt lgkmcnt(0)
	v_mov_b32_e32 v1, s9
	v_add_co_u32_e32 v6, vcc, s8, v4
	v_addc_co_u32_e32 v7, vcc, v1, v5, vcc
	v_add_co_u32_e32 v1, vcc, 8, v6
	global_load_dwordx2 v[11:12], v[6:7], off
	v_addc_co_u32_e32 v6, vcc, 0, v7, vcc
	v_mov_b32_e32 v7, s11
	v_add_co_u32_e32 v4, vcc, s10, v4
	s_cmp_eq_u64 s[10:11], 0
	v_addc_co_u32_e32 v5, vcc, v7, v5, vcc
	s_cselect_b64 vcc, -1, 0
	v_cndmask_b32_e32 v5, v5, v6, vcc
	v_cndmask_b32_e32 v4, v4, v1, vcc
	global_load_dwordx2 v[4:5], v[4:5], off
	s_load_dwordx2 s[10:11], s[4:5], 0x40
	v_mov_b32_e32 v13, s15
	s_cmp_eq_u32 s1, 1
	s_waitcnt vmcnt(1)
	v_subrev_co_u32_e32 v0, vcc, s16, v11
	v_subbrev_co_u32_e32 v1, vcc, 0, v12, vcc
	v_add_co_u32_e32 v0, vcc, v0, v31
	v_addc_co_u32_e32 v1, vcc, 0, v1, vcc
	v_lshlrev_b64 v[6:7], 7, v[0:1]
	s_waitcnt vmcnt(0)
	v_subrev_co_u32_e32 v4, vcc, s16, v4
	v_subbrev_co_u32_e32 v5, vcc, 0, v5, vcc
	v_cmp_lt_i64_e64 s[0:1], v[0:1], v[4:5]
	v_add_co_u32_e32 v6, vcc, s14, v6
	v_addc_co_u32_e32 v7, vcc, v13, v7, vcc
	s_cbranch_scc1 .LBB26_25
; %bb.14:
	v_mov_b32_e32 v17, 0
	v_mov_b32_e32 v21, 0
	;; [unrolled: 1-line block ×8, first 2 shown]
	s_and_saveexec_b64 s[14:15], s[0:1]
	s_cbranch_execz .LBB26_24
; %bb.15:
	v_or_b32_e32 v13, 8, v31
	v_subrev_co_u32_e32 v13, vcc, s16, v13
	v_subb_co_u32_e64 v14, s[2:3], 0, 0, vcc
	v_add_co_u32_e32 v13, vcc, v13, v11
	v_addc_co_u32_e32 v14, vcc, v14, v12, vcc
	v_cmp_gt_i64_e32 vcc, v[13:14], v[4:5]
	v_not_b32_e32 v16, v11
	v_cndmask_b32_e32 v14, v5, v14, vcc
	v_cndmask_b32_e32 v13, v4, v13, vcc
	v_sub_co_u32_e32 v17, vcc, s16, v31
	v_not_b32_e32 v15, v12
	v_subb_co_u32_e64 v18, s[2:3], 0, 0, vcc
	v_add_co_u32_e32 v16, vcc, v17, v16
	v_addc_co_u32_e32 v15, vcc, v18, v15, vcc
	v_add_co_u32_e32 v25, vcc, v16, v13
	v_addc_co_u32_e32 v26, vcc, v15, v14, vcc
	v_and_b32_e32 v13, 24, v25
	v_mov_b32_e32 v14, 0
	v_cmp_ne_u64_e32 vcc, 24, v[13:14]
	v_mov_b32_e32 v23, 0
	v_mov_b32_e32 v19, 0
	;; [unrolled: 1-line block ×12, first 2 shown]
	s_and_saveexec_b64 s[18:19], vcc
	s_cbranch_execz .LBB26_19
; %bb.16:
	v_lshrrev_b32_e32 v13, 3, v25
	v_add_u32_e32 v13, 1, v13
	v_and_b32_e32 v15, 3, v13
	v_lshlrev_b64 v[13:14], 2, v[0:1]
	v_mov_b32_e32 v16, s13
	v_add_co_u32_e32 v27, vcc, s12, v13
	v_addc_co_u32_e32 v28, vcc, v16, v14, vcc
	v_sub_co_u32_e32 v29, vcc, 0, v15
	v_mov_b32_e32 v17, 0
	v_mov_b32_e32 v14, v7
	;; [unrolled: 1-line block ×6, first 2 shown]
	s_mov_b64 s[20:21], 0
	v_subb_co_u32_e64 v30, s[2:3], 0, 0, vcc
	v_mov_b32_e32 v18, 0
	s_movk_i32 s17, 0x400
	s_waitcnt lgkmcnt(0)
	v_mov_b32_e32 v32, s11
	v_mov_b32_e32 v13, v6
	;; [unrolled: 1-line block ×6, first 2 shown]
.LBB26_17:                              ; =>This Inner Loop Header: Depth=1
	global_load_dword v45, v[27:28], off
	global_load_dwordx4 v[33:36], v[13:14], off offset:32
	global_load_dwordx4 v[37:40], v[13:14], off
	global_load_dwordx4 v[41:44], v[13:14], off offset:64
	v_add_co_u32_e64 v15, s[2:3], 8, v15
	v_add_co_u32_e64 v27, s[6:7], 32, v27
	;; [unrolled: 1-line block ×3, first 2 shown]
	v_addc_co_u32_e64 v16, s[2:3], 0, v16, s[2:3]
	v_addc_co_u32_e64 v28, s[2:3], 0, v28, s[6:7]
	;; [unrolled: 1-line block ×3, first 2 shown]
	v_cmp_eq_u64_e64 s[2:3], 0, v[29:30]
	s_or_b64 s[20:21], s[2:3], s[20:21]
	s_waitcnt vmcnt(3)
	v_subrev_u32_e32 v45, s16, v45
	v_lshlrev_b32_e32 v45, 2, v45
	v_ashrrev_i32_e32 v46, 31, v45
	v_lshlrev_b64 v[45:46], 3, v[45:46]
	v_add_co_u32_e32 v49, vcc, s10, v45
	v_addc_co_u32_e32 v50, vcc, v32, v46, vcc
	global_load_dwordx4 v[45:48], v[49:50], off
	s_waitcnt vmcnt(0)
	v_fma_f64 v[23:24], v[37:38], v[45:46], v[23:24]
	v_fma_f64 v[19:20], v[33:34], v[45:46], v[19:20]
	;; [unrolled: 1-line block ×3, first 2 shown]
	global_load_dwordx4 v[37:40], v[13:14], off offset:96
	v_fma_f64 v[51:52], v[35:36], v[47:48], v[19:20]
	v_fma_f64 v[19:20], v[41:42], v[45:46], v[21:22]
	global_load_dwordx4 v[33:36], v[13:14], off offset:48
	v_fma_f64 v[53:54], v[43:44], v[47:48], v[19:20]
	global_load_dwordx4 v[19:22], v[13:14], off offset:16
	s_waitcnt vmcnt(2)
	v_fma_f64 v[17:18], v[37:38], v[45:46], v[17:18]
	v_fma_f64 v[17:18], v[39:40], v[47:48], v[17:18]
	global_load_dwordx4 v[37:40], v[13:14], off offset:80
	global_load_dwordx4 v[41:44], v[13:14], off offset:112
	;; [unrolled: 1-line block ×3, first 2 shown]
	v_add_co_u32_e32 v13, vcc, s17, v13
	v_addc_co_u32_e32 v14, vcc, 0, v14, vcc
	s_waitcnt vmcnt(0)
	v_fma_f64 v[19:20], v[19:20], v[45:46], v[23:24]
	v_fma_f64 v[33:34], v[33:34], v[45:46], v[51:52]
	;; [unrolled: 1-line block ×8, first 2 shown]
	s_andn2_b64 exec, exec, s[20:21]
	s_cbranch_execnz .LBB26_17
; %bb.18:
	s_or_b64 exec, exec, s[20:21]
.LBB26_19:
	s_or_b64 exec, exec, s[18:19]
	v_cmp_lt_u64_e32 vcc, 23, v[25:26]
	s_and_saveexec_b64 s[2:3], vcc
	s_cbranch_execz .LBB26_23
; %bb.20:
	v_lshlrev_b64 v[25:26], 2, v[15:16]
	v_mov_b32_e32 v27, s13
	v_add_co_u32_e32 v25, vcc, s12, v25
	v_addc_co_u32_e32 v26, vcc, v27, v26, vcc
	v_add_co_u32_e32 v25, vcc, 64, v25
	v_addc_co_u32_e32 v26, vcc, 0, v26, vcc
	s_mov_b64 s[6:7], 0
	s_waitcnt lgkmcnt(0)
	v_mov_b32_e32 v27, s11
	s_movk_i32 s8, 0x1000
.LBB26_21:                              ; =>This Inner Loop Header: Depth=1
	global_load_dword v28, v[25:26], off offset:-64
	global_load_dwordx4 v[32:35], v[13:14], off offset:48
	global_load_dwordx4 v[36:39], v[13:14], off offset:32
	;; [unrolled: 1-line block ×3, first 2 shown]
	global_load_dwordx4 v[44:47], v[13:14], off
	s_waitcnt vmcnt(4)
	v_subrev_u32_e32 v28, s16, v28
	v_lshlrev_b32_e32 v28, 2, v28
	v_ashrrev_i32_e32 v29, 31, v28
	v_lshlrev_b64 v[28:29], 3, v[28:29]
	v_add_co_u32_e32 v28, vcc, s10, v28
	v_addc_co_u32_e32 v29, vcc, v27, v29, vcc
	global_load_dwordx4 v[48:51], v[28:29], off offset:16
	global_load_dwordx4 v[52:55], v[28:29], off
	s_waitcnt vmcnt(0)
	v_fma_f64 v[23:24], v[44:45], v[52:53], v[23:24]
	v_fma_f64 v[19:20], v[36:37], v[52:53], v[19:20]
	;; [unrolled: 1-line block ×8, first 2 shown]
	global_load_dwordx4 v[32:35], v[13:14], off offset:112
	global_load_dwordx4 v[36:39], v[13:14], off offset:96
	;; [unrolled: 1-line block ×4, first 2 shown]
	s_waitcnt vmcnt(2)
	v_fma_f64 v[17:18], v[36:37], v[52:53], v[17:18]
	s_waitcnt vmcnt(0)
	v_fma_f64 v[19:20], v[44:45], v[52:53], v[21:22]
	v_fma_f64 v[17:18], v[38:39], v[54:55], v[17:18]
	;; [unrolled: 1-line block ×6, first 2 shown]
	global_load_dword v17, v[25:26], off offset:-32
	v_fma_f64 v[58:59], v[42:43], v[50:51], v[19:20]
	s_waitcnt vmcnt(0)
	v_subrev_u32_e32 v17, s16, v17
	v_lshlrev_b32_e32 v40, 2, v17
	v_ashrrev_i32_e32 v41, 31, v40
	v_lshlrev_b64 v[40:41], 3, v[40:41]
	global_load_dwordx4 v[17:20], v[13:14], off offset:1072
	global_load_dwordx4 v[21:24], v[13:14], off offset:1056
	;; [unrolled: 1-line block ×4, first 2 shown]
	v_add_co_u32_e32 v50, vcc, s10, v40
	v_addc_co_u32_e32 v51, vcc, v27, v41, vcc
	global_load_dwordx4 v[40:43], v[50:51], off offset:16
	global_load_dwordx4 v[44:47], v[50:51], off
	s_waitcnt vmcnt(0)
	v_fma_f64 v[28:29], v[36:37], v[44:45], v[28:29]
	v_fma_f64 v[21:22], v[21:22], v[44:45], v[56:57]
	;; [unrolled: 1-line block ×8, first 2 shown]
	global_load_dwordx4 v[17:20], v[13:14], off offset:1136
	global_load_dwordx4 v[21:24], v[13:14], off offset:1120
	;; [unrolled: 1-line block ×4, first 2 shown]
	s_waitcnt vmcnt(2)
	v_fma_f64 v[21:22], v[21:22], v[44:45], v[48:49]
	s_waitcnt vmcnt(0)
	v_fma_f64 v[36:37], v[36:37], v[44:45], v[58:59]
	v_fma_f64 v[21:22], v[23:24], v[46:47], v[21:22]
	;; [unrolled: 1-line block ×6, first 2 shown]
	global_load_dword v17, v[25:26], off
	v_fma_f64 v[52:53], v[34:35], v[42:43], v[32:33]
	s_waitcnt vmcnt(0)
	v_subrev_u32_e32 v17, s16, v17
	v_lshlrev_b32_e32 v40, 2, v17
	v_ashrrev_i32_e32 v41, 31, v40
	v_lshlrev_b64 v[40:41], 3, v[40:41]
	global_load_dwordx4 v[17:20], v[13:14], off offset:2096
	global_load_dwordx4 v[21:24], v[13:14], off offset:2080
	;; [unrolled: 1-line block ×4, first 2 shown]
	v_add_co_u32_e32 v54, vcc, s10, v40
	v_addc_co_u32_e32 v55, vcc, v27, v41, vcc
	global_load_dwordx4 v[40:43], v[54:55], off offset:16
	global_load_dwordx4 v[44:47], v[54:55], off
	s_waitcnt vmcnt(0)
	v_fma_f64 v[28:29], v[36:37], v[44:45], v[28:29]
	v_fma_f64 v[21:22], v[21:22], v[44:45], v[50:51]
	;; [unrolled: 1-line block ×8, first 2 shown]
	global_load_dwordx4 v[17:20], v[13:14], off offset:2160
	global_load_dwordx4 v[21:24], v[13:14], off offset:2144
	global_load_dwordx4 v[32:35], v[13:14], off offset:2128
	global_load_dwordx4 v[36:39], v[13:14], off offset:2112
	s_waitcnt vmcnt(2)
	v_fma_f64 v[21:22], v[21:22], v[44:45], v[48:49]
	s_waitcnt vmcnt(0)
	v_fma_f64 v[36:37], v[36:37], v[44:45], v[52:53]
	v_fma_f64 v[21:22], v[23:24], v[46:47], v[21:22]
	;; [unrolled: 1-line block ×6, first 2 shown]
	global_load_dword v17, v[25:26], off offset:32
	v_fma_f64 v[56:57], v[34:35], v[42:43], v[32:33]
	s_waitcnt vmcnt(0)
	v_subrev_u32_e32 v17, s16, v17
	v_lshlrev_b32_e32 v40, 2, v17
	v_ashrrev_i32_e32 v41, 31, v40
	v_lshlrev_b64 v[40:41], 3, v[40:41]
	global_load_dwordx4 v[17:20], v[13:14], off offset:3120
	global_load_dwordx4 v[32:35], v[13:14], off offset:3104
	;; [unrolled: 1-line block ×4, first 2 shown]
	v_add_co_u32_e32 v48, vcc, s10, v40
	v_addc_co_u32_e32 v49, vcc, v27, v41, vcc
	global_load_dwordx4 v[40:43], v[48:49], off offset:16
	global_load_dwordx4 v[44:47], v[48:49], off
	s_waitcnt vmcnt(0)
	v_fma_f64 v[28:29], v[36:37], v[44:45], v[28:29]
	v_fma_f64 v[28:29], v[38:39], v[46:47], v[28:29]
	;; [unrolled: 1-line block ×6, first 2 shown]
	global_load_dwordx4 v[32:35], v[13:14], off offset:3184
	global_load_dwordx4 v[36:39], v[13:14], off offset:3168
	;; [unrolled: 1-line block ×4, first 2 shown]
	v_add_co_u32_e32 v13, vcc, s8, v13
	v_addc_co_u32_e32 v14, vcc, 0, v14, vcc
	v_add_co_u32_e32 v15, vcc, 32, v15
	v_fma_f64 v[17:18], v[17:18], v[40:41], v[21:22]
	v_addc_co_u32_e32 v16, vcc, 0, v16, vcc
	v_add_co_u32_e32 v25, vcc, 0x80, v25
	v_addc_co_u32_e32 v26, vcc, 0, v26, vcc
	v_cmp_ge_i64_e32 vcc, v[15:16], v[4:5]
	v_fma_f64 v[19:20], v[19:20], v[42:43], v[17:18]
	s_or_b64 s[6:7], vcc, s[6:7]
	s_waitcnt vmcnt(0)
	v_fma_f64 v[17:18], v[52:53], v[44:45], v[56:57]
	v_fma_f64 v[17:18], v[54:55], v[46:47], v[17:18]
	;; [unrolled: 1-line block ×8, first 2 shown]
	s_andn2_b64 exec, exec, s[6:7]
	s_cbranch_execnz .LBB26_21
; %bb.22:
	s_or_b64 exec, exec, s[6:7]
.LBB26_23:
	s_or_b64 exec, exec, s[2:3]
.LBB26_24:
	s_or_b64 exec, exec, s[14:15]
	s_cbranch_execz .LBB26_26
	s_branch .LBB26_37
.LBB26_25:
                                        ; implicit-def: $vgpr17_vgpr18
                                        ; implicit-def: $vgpr21_vgpr22
                                        ; implicit-def: $vgpr19_vgpr20
                                        ; implicit-def: $vgpr23_vgpr24
.LBB26_26:
	v_mov_b32_e32 v17, 0
	v_mov_b32_e32 v21, 0
	;; [unrolled: 1-line block ×8, first 2 shown]
	s_and_saveexec_b64 s[2:3], s[0:1]
	s_cbranch_execz .LBB26_36
; %bb.27:
	v_or_b32_e32 v13, 8, v31
	v_subrev_co_u32_e32 v13, vcc, s16, v13
	v_subb_co_u32_e64 v14, s[0:1], 0, 0, vcc
	v_add_co_u32_e32 v13, vcc, v13, v11
	v_addc_co_u32_e32 v14, vcc, v14, v12, vcc
	v_cmp_gt_i64_e32 vcc, v[13:14], v[4:5]
	v_not_b32_e32 v11, v11
	v_cndmask_b32_e32 v14, v5, v14, vcc
	v_cndmask_b32_e32 v13, v4, v13, vcc
	v_sub_co_u32_e32 v15, vcc, s16, v31
	v_not_b32_e32 v12, v12
	v_subb_co_u32_e64 v16, s[0:1], 0, 0, vcc
	v_add_co_u32_e32 v11, vcc, v15, v11
	v_addc_co_u32_e32 v12, vcc, v16, v12, vcc
	v_add_co_u32_e32 v11, vcc, v11, v13
	v_addc_co_u32_e32 v12, vcc, v12, v14, vcc
	v_and_b32_e32 v13, 24, v11
	v_mov_b32_e32 v14, 0
	v_cmp_ne_u64_e32 vcc, 24, v[13:14]
	v_mov_b32_e32 v23, 0
	v_mov_b32_e32 v19, 0
	;; [unrolled: 1-line block ×8, first 2 shown]
	s_and_saveexec_b64 s[0:1], vcc
	s_cbranch_execz .LBB26_31
; %bb.28:
	v_lshrrev_b32_e32 v13, 3, v11
	v_add_u32_e32 v13, 1, v13
	v_and_b32_e32 v15, 3, v13
	v_lshlrev_b64 v[13:14], 2, v[0:1]
	v_mov_b32_e32 v16, s13
	v_add_co_u32_e32 v13, vcc, s12, v13
	v_addc_co_u32_e32 v14, vcc, v16, v14, vcc
	v_sub_co_u32_e32 v15, vcc, 0, v15
	v_subb_co_u32_e64 v16, s[8:9], 0, 0, vcc
	v_mov_b32_e32 v17, 0
	v_mov_b32_e32 v21, 0
	;; [unrolled: 1-line block ×4, first 2 shown]
	s_mov_b64 s[6:7], 0
	v_mov_b32_e32 v18, 0
	s_movk_i32 s8, 0x400
	v_mov_b32_e32 v22, 0
	v_mov_b32_e32 v20, 0
	;; [unrolled: 1-line block ×3, first 2 shown]
	s_waitcnt lgkmcnt(0)
	v_mov_b32_e32 v25, s11
.LBB26_29:                              ; =>This Inner Loop Header: Depth=1
	global_load_dword v26, v[13:14], off
	s_waitcnt vmcnt(0)
	v_subrev_u32_e32 v26, s16, v26
	v_lshlrev_b32_e32 v44, 2, v26
	v_ashrrev_i32_e32 v45, 31, v44
	v_lshlrev_b64 v[44:45], 3, v[44:45]
	global_load_dwordx4 v[26:29], v[6:7], off offset:48
	global_load_dwordx4 v[32:35], v[6:7], off offset:32
	;; [unrolled: 1-line block ×3, first 2 shown]
	global_load_dwordx4 v[40:43], v[6:7], off
	v_add_co_u32_e32 v52, vcc, s10, v44
	v_addc_co_u32_e32 v53, vcc, v25, v45, vcc
	global_load_dwordx4 v[44:47], v[52:53], off offset:16
	global_load_dwordx4 v[48:51], v[52:53], off
	s_waitcnt vmcnt(0)
	v_fma_f64 v[23:24], v[40:41], v[48:49], v[23:24]
	v_fma_f64 v[19:20], v[42:43], v[48:49], v[19:20]
	;; [unrolled: 1-line block ×8, first 2 shown]
	global_load_dwordx4 v[26:29], v[6:7], off offset:112
	global_load_dwordx4 v[17:20], v[6:7], off offset:96
	;; [unrolled: 1-line block ×4, first 2 shown]
	v_add_co_u32_e32 v6, vcc, s8, v6
	v_addc_co_u32_e32 v7, vcc, 0, v7, vcc
	v_add_co_u32_e32 v0, vcc, 8, v0
	v_addc_co_u32_e32 v1, vcc, 0, v1, vcc
	;; [unrolled: 2-line block ×4, first 2 shown]
	v_cmp_eq_u64_e32 vcc, 0, v[15:16]
	s_or_b64 s[6:7], vcc, s[6:7]
	s_waitcnt vmcnt(1)
	v_fma_f64 v[21:22], v[21:22], v[44:45], v[40:41]
	s_waitcnt vmcnt(0)
	v_fma_f64 v[32:33], v[32:33], v[44:45], v[36:37]
	v_fma_f64 v[34:35], v[34:35], v[44:45], v[38:39]
	v_fma_f64 v[36:37], v[23:24], v[44:45], v[42:43]
	v_fma_f64 v[21:22], v[26:27], v[46:47], v[21:22]
	v_fma_f64 v[23:24], v[17:18], v[46:47], v[32:33]
	v_fma_f64 v[19:20], v[19:20], v[46:47], v[34:35]
	v_fma_f64 v[17:18], v[28:29], v[46:47], v[36:37]
	s_andn2_b64 exec, exec, s[6:7]
	s_cbranch_execnz .LBB26_29
; %bb.30:
	s_or_b64 exec, exec, s[6:7]
.LBB26_31:
	s_or_b64 exec, exec, s[0:1]
	v_cmp_lt_u64_e32 vcc, 23, v[11:12]
	s_and_saveexec_b64 s[0:1], vcc
	s_cbranch_execz .LBB26_35
; %bb.32:
	v_lshlrev_b64 v[11:12], 2, v[0:1]
	v_mov_b32_e32 v13, s13
	v_add_co_u32_e32 v11, vcc, s12, v11
	v_addc_co_u32_e32 v12, vcc, v13, v12, vcc
	v_add_co_u32_e32 v11, vcc, 64, v11
	v_addc_co_u32_e32 v12, vcc, 0, v12, vcc
	s_mov_b64 s[6:7], 0
	s_waitcnt lgkmcnt(0)
	v_mov_b32_e32 v13, s11
	s_movk_i32 s8, 0x1000
.LBB26_33:                              ; =>This Inner Loop Header: Depth=1
	global_load_dword v14, v[11:12], off offset:-64
	global_load_dwordx4 v[25:28], v[6:7], off offset:48
	global_load_dwordx4 v[32:35], v[6:7], off offset:32
	;; [unrolled: 1-line block ×3, first 2 shown]
	global_load_dwordx4 v[40:43], v[6:7], off
	s_waitcnt vmcnt(4)
	v_subrev_u32_e32 v14, s16, v14
	v_lshlrev_b32_e32 v14, 2, v14
	v_ashrrev_i32_e32 v15, 31, v14
	v_lshlrev_b64 v[14:15], 3, v[14:15]
	v_add_co_u32_e32 v14, vcc, s10, v14
	v_addc_co_u32_e32 v15, vcc, v13, v15, vcc
	global_load_dwordx4 v[44:47], v[14:15], off offset:16
	global_load_dwordx4 v[48:51], v[14:15], off
	s_waitcnt vmcnt(0)
	v_fma_f64 v[14:15], v[40:41], v[48:49], v[23:24]
	v_fma_f64 v[19:20], v[42:43], v[48:49], v[19:20]
	;; [unrolled: 1-line block ×8, first 2 shown]
	global_load_dwordx4 v[14:17], v[6:7], off offset:112
	global_load_dwordx4 v[18:21], v[6:7], off offset:96
	global_load_dwordx4 v[22:25], v[6:7], off offset:80
	global_load_dwordx4 v[26:29], v[6:7], off offset:64
	s_waitcnt vmcnt(1)
	v_fma_f64 v[22:23], v[22:23], v[44:45], v[36:37]
	s_waitcnt vmcnt(0)
	v_fma_f64 v[26:27], v[26:27], v[44:45], v[32:33]
	v_fma_f64 v[28:29], v[28:29], v[44:45], v[34:35]
	;; [unrolled: 1-line block ×4, first 2 shown]
	global_load_dword v14, v[11:12], off offset:-32
	v_fma_f64 v[40:41], v[18:19], v[46:47], v[26:27]
	v_fma_f64 v[42:43], v[20:21], v[46:47], v[28:29]
	v_fma_f64 v[46:47], v[16:17], v[46:47], v[24:25]
	s_waitcnt vmcnt(0)
	v_subrev_u32_e32 v14, s16, v14
	v_lshlrev_b32_e32 v32, 2, v14
	v_ashrrev_i32_e32 v33, 31, v32
	v_lshlrev_b64 v[32:33], 3, v[32:33]
	global_load_dwordx4 v[14:17], v[6:7], off offset:1072
	global_load_dwordx4 v[18:21], v[6:7], off offset:1056
	;; [unrolled: 1-line block ×4, first 2 shown]
	v_add_co_u32_e32 v48, vcc, s10, v32
	v_addc_co_u32_e32 v49, vcc, v13, v33, vcc
	global_load_dwordx4 v[32:35], v[48:49], off offset:16
	global_load_dwordx4 v[36:39], v[48:49], off
	s_waitcnt vmcnt(0)
	v_fma_f64 v[26:27], v[26:27], v[36:37], v[40:41]
	v_fma_f64 v[28:29], v[28:29], v[36:37], v[42:43]
	;; [unrolled: 1-line block ×8, first 2 shown]
	global_load_dwordx4 v[14:17], v[6:7], off offset:1136
	global_load_dwordx4 v[18:21], v[6:7], off offset:1120
	;; [unrolled: 1-line block ×4, first 2 shown]
	s_waitcnt vmcnt(1)
	v_fma_f64 v[22:23], v[22:23], v[32:33], v[42:43]
	s_waitcnt vmcnt(0)
	v_fma_f64 v[26:27], v[26:27], v[32:33], v[36:37]
	v_fma_f64 v[28:29], v[28:29], v[32:33], v[40:41]
	;; [unrolled: 1-line block ×4, first 2 shown]
	global_load_dword v14, v[11:12], off
	v_fma_f64 v[40:41], v[18:19], v[34:35], v[26:27]
	v_fma_f64 v[42:43], v[20:21], v[34:35], v[28:29]
	;; [unrolled: 1-line block ×3, first 2 shown]
	s_waitcnt vmcnt(0)
	v_subrev_u32_e32 v14, s16, v14
	v_lshlrev_b32_e32 v32, 2, v14
	v_ashrrev_i32_e32 v33, 31, v32
	v_lshlrev_b64 v[32:33], 3, v[32:33]
	global_load_dwordx4 v[14:17], v[6:7], off offset:2096
	global_load_dwordx4 v[18:21], v[6:7], off offset:2080
	;; [unrolled: 1-line block ×4, first 2 shown]
	v_add_co_u32_e32 v48, vcc, s10, v32
	v_addc_co_u32_e32 v49, vcc, v13, v33, vcc
	global_load_dwordx4 v[32:35], v[48:49], off offset:16
	global_load_dwordx4 v[36:39], v[48:49], off
	s_waitcnt vmcnt(0)
	v_fma_f64 v[26:27], v[26:27], v[36:37], v[40:41]
	v_fma_f64 v[28:29], v[28:29], v[36:37], v[42:43]
	;; [unrolled: 1-line block ×8, first 2 shown]
	global_load_dwordx4 v[14:17], v[6:7], off offset:2160
	global_load_dwordx4 v[18:21], v[6:7], off offset:2144
	;; [unrolled: 1-line block ×4, first 2 shown]
	s_waitcnt vmcnt(1)
	v_fma_f64 v[22:23], v[22:23], v[32:33], v[42:43]
	s_waitcnt vmcnt(0)
	v_fma_f64 v[26:27], v[26:27], v[32:33], v[36:37]
	v_fma_f64 v[28:29], v[28:29], v[32:33], v[40:41]
	;; [unrolled: 1-line block ×4, first 2 shown]
	global_load_dword v14, v[11:12], off offset:32
	v_fma_f64 v[40:41], v[18:19], v[34:35], v[26:27]
	v_fma_f64 v[42:43], v[20:21], v[34:35], v[28:29]
	;; [unrolled: 1-line block ×3, first 2 shown]
	s_waitcnt vmcnt(0)
	v_subrev_u32_e32 v14, s16, v14
	v_lshlrev_b32_e32 v32, 2, v14
	v_ashrrev_i32_e32 v33, 31, v32
	v_lshlrev_b64 v[32:33], 3, v[32:33]
	global_load_dwordx4 v[14:17], v[6:7], off offset:3120
	global_load_dwordx4 v[18:21], v[6:7], off offset:3104
	global_load_dwordx4 v[22:25], v[6:7], off offset:3088
	global_load_dwordx4 v[26:29], v[6:7], off offset:3072
	v_add_co_u32_e32 v48, vcc, s10, v32
	v_addc_co_u32_e32 v49, vcc, v13, v33, vcc
	global_load_dwordx4 v[32:35], v[48:49], off offset:16
	global_load_dwordx4 v[36:39], v[48:49], off
	s_waitcnt vmcnt(0)
	v_fma_f64 v[26:27], v[26:27], v[36:37], v[40:41]
	v_fma_f64 v[28:29], v[28:29], v[36:37], v[42:43]
	;; [unrolled: 1-line block ×8, first 2 shown]
	global_load_dwordx4 v[14:17], v[6:7], off offset:3184
	global_load_dwordx4 v[18:21], v[6:7], off offset:3168
	global_load_dwordx4 v[22:25], v[6:7], off offset:3152
	global_load_dwordx4 v[26:29], v[6:7], off offset:3136
	v_add_co_u32_e32 v6, vcc, s8, v6
	v_addc_co_u32_e32 v7, vcc, 0, v7, vcc
	v_add_co_u32_e32 v0, vcc, 32, v0
	v_addc_co_u32_e32 v1, vcc, 0, v1, vcc
	;; [unrolled: 2-line block ×3, first 2 shown]
	v_cmp_ge_i64_e32 vcc, v[0:1], v[4:5]
	s_or_b64 s[6:7], vcc, s[6:7]
	s_waitcnt vmcnt(0)
	v_fma_f64 v[26:27], v[26:27], v[32:33], v[36:37]
	v_fma_f64 v[28:29], v[28:29], v[32:33], v[40:41]
	v_fma_f64 v[36:37], v[22:23], v[32:33], v[42:43]
	v_fma_f64 v[32:33], v[24:25], v[32:33], v[38:39]
	v_fma_f64 v[23:24], v[18:19], v[34:35], v[26:27]
	v_fma_f64 v[19:20], v[20:21], v[34:35], v[28:29]
	v_fma_f64 v[21:22], v[14:15], v[34:35], v[36:37]
	v_fma_f64 v[17:18], v[16:17], v[34:35], v[32:33]
	s_andn2_b64 exec, exec, s[6:7]
	s_cbranch_execnz .LBB26_33
; %bb.34:
	s_or_b64 exec, exec, s[6:7]
.LBB26_35:
	s_or_b64 exec, exec, s[0:1]
.LBB26_36:
	s_or_b64 exec, exec, s[2:3]
.LBB26_37:
	v_mov_b32_dpp v0, v23 row_shr:1 row_mask:0xf bank_mask:0xf
	v_mov_b32_dpp v1, v24 row_shr:1 row_mask:0xf bank_mask:0xf
	v_add_f64 v[0:1], v[23:24], v[0:1]
	v_mov_b32_dpp v4, v19 row_shr:1 row_mask:0xf bank_mask:0xf
	v_mov_b32_dpp v5, v20 row_shr:1 row_mask:0xf bank_mask:0xf
	;; [unrolled: 1-line block ×4, first 2 shown]
	v_add_f64 v[4:5], v[19:20], v[4:5]
	v_add_f64 v[6:7], v[21:22], v[6:7]
	v_mov_b32_dpp v13, v17 row_shr:1 row_mask:0xf bank_mask:0xf
	v_mov_b32_dpp v14, v18 row_shr:1 row_mask:0xf bank_mask:0xf
	v_add_f64 v[13:14], v[17:18], v[13:14]
	v_mov_b32_dpp v11, v0 row_shr:2 row_mask:0xf bank_mask:0xf
	v_mov_b32_dpp v12, v1 row_shr:2 row_mask:0xf bank_mask:0xf
	;; [unrolled: 3-line block ×6, first 2 shown]
	v_mov_b32_dpp v17, v4 row_shr:4 row_mask:0xf bank_mask:0xe
	v_mov_b32_dpp v18, v5 row_shr:4 row_mask:0xf bank_mask:0xe
	;; [unrolled: 1-line block ×4, first 2 shown]
	v_cmp_eq_u32_e32 vcc, 7, v31
	v_mov_b32_dpp v13, v11 row_shr:4 row_mask:0xf bank_mask:0xe
	v_mov_b32_dpp v14, v12 row_shr:4 row_mask:0xf bank_mask:0xe
	s_and_b64 exec, exec, vcc
	s_cbranch_execz .LBB26_10
; %bb.38:
	v_add_f64 v[0:1], v[0:1], v[19:20]
	v_add_f64 v[17:18], v[4:5], v[17:18]
	;; [unrolled: 1-line block ×4, first 2 shown]
	v_cmp_eq_f64_e32 vcc, 0, v[8:9]
	s_load_dwordx2 s[0:1], s[4:5], 0x50
	v_lshlrev_b32_e32 v10, 2, v10
	v_mul_f64 v[4:5], v[2:3], v[0:1]
	v_mul_f64 v[6:7], v[2:3], v[17:18]
	;; [unrolled: 1-line block ×4, first 2 shown]
	s_and_saveexec_b64 s[2:3], vcc
	s_xor_b64 s[2:3], exec, s[2:3]
	s_cbranch_execz .LBB26_40
; %bb.39:
	v_ashrrev_i32_e32 v11, 31, v10
	v_lshlrev_b64 v[8:9], 3, v[10:11]
	s_waitcnt lgkmcnt(0)
	v_mov_b32_e32 v10, s1
	v_add_co_u32_e32 v8, vcc, s0, v8
	v_addc_co_u32_e32 v9, vcc, v10, v9, vcc
	global_store_dwordx4 v[8:9], v[4:7], off
	global_store_dwordx4 v[8:9], v[0:3], off offset:16
                                        ; implicit-def: $vgpr10
                                        ; implicit-def: $vgpr8_vgpr9
                                        ; implicit-def: $vgpr4_vgpr5
                                        ; implicit-def: $vgpr0_vgpr1
.LBB26_40:
	s_andn2_saveexec_b64 s[2:3], s[2:3]
	s_cbranch_execz .LBB26_10
; %bb.41:
	v_ashrrev_i32_e32 v11, 31, v10
	v_lshlrev_b64 v[10:11], 3, v[10:11]
	s_waitcnt lgkmcnt(0)
	v_mov_b32_e32 v12, s1
	v_add_co_u32_e32 v18, vcc, s0, v10
	v_addc_co_u32_e32 v19, vcc, v12, v11, vcc
	global_load_dwordx4 v[10:13], v[18:19], off
	global_load_dwordx4 v[14:17], v[18:19], off offset:16
	s_waitcnt vmcnt(1)
	v_fma_f64 v[4:5], v[8:9], v[10:11], v[4:5]
	v_fma_f64 v[6:7], v[8:9], v[12:13], v[6:7]
	s_waitcnt vmcnt(0)
	v_fma_f64 v[0:1], v[8:9], v[14:15], v[0:1]
	v_fma_f64 v[2:3], v[8:9], v[16:17], v[2:3]
	global_store_dwordx4 v[18:19], v[4:7], off
	global_store_dwordx4 v[18:19], v[0:3], off offset:16
	s_endpgm
	.section	.rodata,"a",@progbits
	.p2align	6, 0x0
	.amdhsa_kernel _ZN9rocsparseL18bsrxmvn_4x4_kernelILj128ELj8EdlidddEEvT3_20rocsparse_direction_NS_24const_host_device_scalarIT1_EES1_PKS1_PKT2_SA_S7_PKT4_PKT5_S5_PT6_21rocsparse_index_base_b
		.amdhsa_group_segment_fixed_size 0
		.amdhsa_private_segment_fixed_size 0
		.amdhsa_kernarg_size 96
		.amdhsa_user_sgpr_count 6
		.amdhsa_user_sgpr_private_segment_buffer 1
		.amdhsa_user_sgpr_dispatch_ptr 0
		.amdhsa_user_sgpr_queue_ptr 0
		.amdhsa_user_sgpr_kernarg_segment_ptr 1
		.amdhsa_user_sgpr_dispatch_id 0
		.amdhsa_user_sgpr_flat_scratch_init 0
		.amdhsa_user_sgpr_private_segment_size 0
		.amdhsa_uses_dynamic_stack 0
		.amdhsa_system_sgpr_private_segment_wavefront_offset 0
		.amdhsa_system_sgpr_workgroup_id_x 1
		.amdhsa_system_sgpr_workgroup_id_y 0
		.amdhsa_system_sgpr_workgroup_id_z 0
		.amdhsa_system_sgpr_workgroup_info 0
		.amdhsa_system_vgpr_workitem_id 0
		.amdhsa_next_free_vgpr 60
		.amdhsa_next_free_sgpr 22
		.amdhsa_reserve_vcc 1
		.amdhsa_reserve_flat_scratch 0
		.amdhsa_float_round_mode_32 0
		.amdhsa_float_round_mode_16_64 0
		.amdhsa_float_denorm_mode_32 3
		.amdhsa_float_denorm_mode_16_64 3
		.amdhsa_dx10_clamp 1
		.amdhsa_ieee_mode 1
		.amdhsa_fp16_overflow 0
		.amdhsa_exception_fp_ieee_invalid_op 0
		.amdhsa_exception_fp_denorm_src 0
		.amdhsa_exception_fp_ieee_div_zero 0
		.amdhsa_exception_fp_ieee_overflow 0
		.amdhsa_exception_fp_ieee_underflow 0
		.amdhsa_exception_fp_ieee_inexact 0
		.amdhsa_exception_int_div_zero 0
	.end_amdhsa_kernel
	.section	.text._ZN9rocsparseL18bsrxmvn_4x4_kernelILj128ELj8EdlidddEEvT3_20rocsparse_direction_NS_24const_host_device_scalarIT1_EES1_PKS1_PKT2_SA_S7_PKT4_PKT5_S5_PT6_21rocsparse_index_base_b,"axG",@progbits,_ZN9rocsparseL18bsrxmvn_4x4_kernelILj128ELj8EdlidddEEvT3_20rocsparse_direction_NS_24const_host_device_scalarIT1_EES1_PKS1_PKT2_SA_S7_PKT4_PKT5_S5_PT6_21rocsparse_index_base_b,comdat
.Lfunc_end26:
	.size	_ZN9rocsparseL18bsrxmvn_4x4_kernelILj128ELj8EdlidddEEvT3_20rocsparse_direction_NS_24const_host_device_scalarIT1_EES1_PKS1_PKT2_SA_S7_PKT4_PKT5_S5_PT6_21rocsparse_index_base_b, .Lfunc_end26-_ZN9rocsparseL18bsrxmvn_4x4_kernelILj128ELj8EdlidddEEvT3_20rocsparse_direction_NS_24const_host_device_scalarIT1_EES1_PKS1_PKT2_SA_S7_PKT4_PKT5_S5_PT6_21rocsparse_index_base_b
                                        ; -- End function
	.set _ZN9rocsparseL18bsrxmvn_4x4_kernelILj128ELj8EdlidddEEvT3_20rocsparse_direction_NS_24const_host_device_scalarIT1_EES1_PKS1_PKT2_SA_S7_PKT4_PKT5_S5_PT6_21rocsparse_index_base_b.num_vgpr, 60
	.set _ZN9rocsparseL18bsrxmvn_4x4_kernelILj128ELj8EdlidddEEvT3_20rocsparse_direction_NS_24const_host_device_scalarIT1_EES1_PKS1_PKT2_SA_S7_PKT4_PKT5_S5_PT6_21rocsparse_index_base_b.num_agpr, 0
	.set _ZN9rocsparseL18bsrxmvn_4x4_kernelILj128ELj8EdlidddEEvT3_20rocsparse_direction_NS_24const_host_device_scalarIT1_EES1_PKS1_PKT2_SA_S7_PKT4_PKT5_S5_PT6_21rocsparse_index_base_b.numbered_sgpr, 22
	.set _ZN9rocsparseL18bsrxmvn_4x4_kernelILj128ELj8EdlidddEEvT3_20rocsparse_direction_NS_24const_host_device_scalarIT1_EES1_PKS1_PKT2_SA_S7_PKT4_PKT5_S5_PT6_21rocsparse_index_base_b.num_named_barrier, 0
	.set _ZN9rocsparseL18bsrxmvn_4x4_kernelILj128ELj8EdlidddEEvT3_20rocsparse_direction_NS_24const_host_device_scalarIT1_EES1_PKS1_PKT2_SA_S7_PKT4_PKT5_S5_PT6_21rocsparse_index_base_b.private_seg_size, 0
	.set _ZN9rocsparseL18bsrxmvn_4x4_kernelILj128ELj8EdlidddEEvT3_20rocsparse_direction_NS_24const_host_device_scalarIT1_EES1_PKS1_PKT2_SA_S7_PKT4_PKT5_S5_PT6_21rocsparse_index_base_b.uses_vcc, 1
	.set _ZN9rocsparseL18bsrxmvn_4x4_kernelILj128ELj8EdlidddEEvT3_20rocsparse_direction_NS_24const_host_device_scalarIT1_EES1_PKS1_PKT2_SA_S7_PKT4_PKT5_S5_PT6_21rocsparse_index_base_b.uses_flat_scratch, 0
	.set _ZN9rocsparseL18bsrxmvn_4x4_kernelILj128ELj8EdlidddEEvT3_20rocsparse_direction_NS_24const_host_device_scalarIT1_EES1_PKS1_PKT2_SA_S7_PKT4_PKT5_S5_PT6_21rocsparse_index_base_b.has_dyn_sized_stack, 0
	.set _ZN9rocsparseL18bsrxmvn_4x4_kernelILj128ELj8EdlidddEEvT3_20rocsparse_direction_NS_24const_host_device_scalarIT1_EES1_PKS1_PKT2_SA_S7_PKT4_PKT5_S5_PT6_21rocsparse_index_base_b.has_recursion, 0
	.set _ZN9rocsparseL18bsrxmvn_4x4_kernelILj128ELj8EdlidddEEvT3_20rocsparse_direction_NS_24const_host_device_scalarIT1_EES1_PKS1_PKT2_SA_S7_PKT4_PKT5_S5_PT6_21rocsparse_index_base_b.has_indirect_call, 0
	.section	.AMDGPU.csdata,"",@progbits
; Kernel info:
; codeLenInByte = 4500
; TotalNumSgprs: 26
; NumVgprs: 60
; ScratchSize: 0
; MemoryBound: 1
; FloatMode: 240
; IeeeMode: 1
; LDSByteSize: 0 bytes/workgroup (compile time only)
; SGPRBlocks: 3
; VGPRBlocks: 14
; NumSGPRsForWavesPerEU: 26
; NumVGPRsForWavesPerEU: 60
; Occupancy: 4
; WaveLimiterHint : 1
; COMPUTE_PGM_RSRC2:SCRATCH_EN: 0
; COMPUTE_PGM_RSRC2:USER_SGPR: 6
; COMPUTE_PGM_RSRC2:TRAP_HANDLER: 0
; COMPUTE_PGM_RSRC2:TGID_X_EN: 1
; COMPUTE_PGM_RSRC2:TGID_Y_EN: 0
; COMPUTE_PGM_RSRC2:TGID_Z_EN: 0
; COMPUTE_PGM_RSRC2:TIDIG_COMP_CNT: 0
	.section	.text._ZN9rocsparseL18bsrxmvn_4x4_kernelILj128ELj16EdlidddEEvT3_20rocsparse_direction_NS_24const_host_device_scalarIT1_EES1_PKS1_PKT2_SA_S7_PKT4_PKT5_S5_PT6_21rocsparse_index_base_b,"axG",@progbits,_ZN9rocsparseL18bsrxmvn_4x4_kernelILj128ELj16EdlidddEEvT3_20rocsparse_direction_NS_24const_host_device_scalarIT1_EES1_PKS1_PKT2_SA_S7_PKT4_PKT5_S5_PT6_21rocsparse_index_base_b,comdat
	.globl	_ZN9rocsparseL18bsrxmvn_4x4_kernelILj128ELj16EdlidddEEvT3_20rocsparse_direction_NS_24const_host_device_scalarIT1_EES1_PKS1_PKT2_SA_S7_PKT4_PKT5_S5_PT6_21rocsparse_index_base_b ; -- Begin function _ZN9rocsparseL18bsrxmvn_4x4_kernelILj128ELj16EdlidddEEvT3_20rocsparse_direction_NS_24const_host_device_scalarIT1_EES1_PKS1_PKT2_SA_S7_PKT4_PKT5_S5_PT6_21rocsparse_index_base_b
	.p2align	8
	.type	_ZN9rocsparseL18bsrxmvn_4x4_kernelILj128ELj16EdlidddEEvT3_20rocsparse_direction_NS_24const_host_device_scalarIT1_EES1_PKS1_PKT2_SA_S7_PKT4_PKT5_S5_PT6_21rocsparse_index_base_b,@function
_ZN9rocsparseL18bsrxmvn_4x4_kernelILj128ELj16EdlidddEEvT3_20rocsparse_direction_NS_24const_host_device_scalarIT1_EES1_PKS1_PKT2_SA_S7_PKT4_PKT5_S5_PT6_21rocsparse_index_base_b: ; @_ZN9rocsparseL18bsrxmvn_4x4_kernelILj128ELj16EdlidddEEvT3_20rocsparse_direction_NS_24const_host_device_scalarIT1_EES1_PKS1_PKT2_SA_S7_PKT4_PKT5_S5_PT6_21rocsparse_index_base_b
; %bb.0:
	s_load_dwordx2 s[16:17], s[4:5], 0x58
	s_load_dwordx2 s[8:9], s[4:5], 0x8
	;; [unrolled: 1-line block ×3, first 2 shown]
	s_waitcnt lgkmcnt(0)
	s_bitcmp1_b32 s17, 0
	s_cselect_b64 s[10:11], -1, 0
	v_mov_b32_e32 v2, s8
	s_xor_b64 s[2:3], s[10:11], -1
	s_and_b64 vcc, exec, s[10:11]
	v_mov_b32_e32 v3, s9
	s_cbranch_vccnz .LBB27_2
; %bb.1:
	v_mov_b32_e32 v1, s8
	v_mov_b32_e32 v2, s9
	flat_load_dwordx2 v[2:3], v[1:2]
.LBB27_2:
	v_mov_b32_e32 v9, s1
	s_andn2_b64 vcc, exec, s[2:3]
	v_mov_b32_e32 v8, s0
	s_cbranch_vccnz .LBB27_4
; %bb.3:
	v_mov_b32_e32 v5, s1
	v_mov_b32_e32 v4, s0
	flat_load_dwordx2 v[8:9], v[4:5]
.LBB27_4:
	s_waitcnt vmcnt(0) lgkmcnt(0)
	v_cmp_neq_f64_e32 vcc, 0, v[2:3]
	v_cmp_neq_f64_e64 s[0:1], 1.0, v[8:9]
	s_mov_b64 s[2:3], 0
	s_or_b64 s[0:1], vcc, s[0:1]
	s_and_saveexec_b64 s[8:9], s[0:1]
	s_cbranch_execz .LBB27_10
; %bb.5:
	s_load_dwordx2 s[8:9], s[4:5], 0x18
	s_load_dwordx2 s[0:1], s[4:5], 0x0
	v_lshrrev_b32_e32 v1, 4, v0
	v_lshl_or_b32 v10, s6, 3, v1
	s_mov_b64 s[6:7], 0
	s_waitcnt lgkmcnt(0)
	s_cmp_lg_u64 s[8:9], 0
	s_cbranch_scc0 .LBB27_11
; %bb.6:
	s_load_dword s2, s[4:5], 0x10
                                        ; implicit-def: $vgpr1
	s_waitcnt lgkmcnt(0)
	v_cmp_gt_i32_e32 vcc, s2, v10
	s_and_saveexec_b64 s[2:3], vcc
	s_xor_b64 s[2:3], exec, s[2:3]
	s_cbranch_execz .LBB27_8
; %bb.7:
	v_ashrrev_i32_e32 v11, 31, v10
	v_lshlrev_b64 v[4:5], 2, v[10:11]
	v_mov_b32_e32 v1, s9
	v_add_co_u32_e32 v4, vcc, s8, v4
	v_addc_co_u32_e32 v5, vcc, v1, v5, vcc
	global_load_dword v1, v[4:5], off
	s_mov_b64 s[6:7], exec
	s_waitcnt vmcnt(0)
	v_subrev_u32_e32 v1, s16, v1
.LBB27_8:
	s_or_b64 exec, exec, s[2:3]
	s_mov_b64 s[2:3], s[6:7]
	s_branch .LBB27_12
.LBB27_9:
	v_cmp_gt_i32_e32 vcc, s0, v10
	s_andn2_b64 s[2:3], s[2:3], exec
	s_and_b64 s[6:7], vcc, exec
	s_or_b64 s[2:3], s[2:3], s[6:7]
	s_and_b64 exec, exec, s[2:3]
	s_cbranch_execnz .LBB27_13
.LBB27_10:
	s_endpgm
.LBB27_11:
                                        ; implicit-def: $vgpr1
	s_cbranch_execnz .LBB27_9
.LBB27_12:
	v_mov_b32_e32 v10, v1
	s_and_b64 exec, exec, s[2:3]
	s_cbranch_execz .LBB27_10
.LBB27_13:
	s_load_dwordx8 s[8:15], s[4:5], 0x20
	v_ashrrev_i32_e32 v11, 31, v10
	v_lshlrev_b64 v[4:5], 3, v[10:11]
	v_and_b32_e32 v31, 15, v0
	s_waitcnt lgkmcnt(0)
	v_mov_b32_e32 v1, s9
	v_add_co_u32_e32 v6, vcc, s8, v4
	v_addc_co_u32_e32 v7, vcc, v1, v5, vcc
	v_add_co_u32_e32 v1, vcc, 8, v6
	global_load_dwordx2 v[11:12], v[6:7], off
	v_addc_co_u32_e32 v6, vcc, 0, v7, vcc
	v_mov_b32_e32 v7, s11
	v_add_co_u32_e32 v4, vcc, s10, v4
	s_cmp_eq_u64 s[10:11], 0
	v_addc_co_u32_e32 v5, vcc, v7, v5, vcc
	s_cselect_b64 vcc, -1, 0
	v_cndmask_b32_e32 v5, v5, v6, vcc
	v_cndmask_b32_e32 v4, v4, v1, vcc
	global_load_dwordx2 v[4:5], v[4:5], off
	s_load_dwordx2 s[10:11], s[4:5], 0x40
	v_mov_b32_e32 v13, s15
	s_cmp_eq_u32 s1, 1
	s_waitcnt vmcnt(1)
	v_subrev_co_u32_e32 v0, vcc, s16, v11
	v_subbrev_co_u32_e32 v1, vcc, 0, v12, vcc
	v_add_co_u32_e32 v0, vcc, v0, v31
	v_addc_co_u32_e32 v1, vcc, 0, v1, vcc
	v_lshlrev_b64 v[6:7], 7, v[0:1]
	s_waitcnt vmcnt(0)
	v_subrev_co_u32_e32 v4, vcc, s16, v4
	v_subbrev_co_u32_e32 v5, vcc, 0, v5, vcc
	v_cmp_lt_i64_e64 s[0:1], v[0:1], v[4:5]
	v_add_co_u32_e32 v6, vcc, s14, v6
	v_addc_co_u32_e32 v7, vcc, v13, v7, vcc
	s_cbranch_scc1 .LBB27_25
; %bb.14:
	v_mov_b32_e32 v17, 0
	v_mov_b32_e32 v19, 0
	v_mov_b32_e32 v21, 0
	v_mov_b32_e32 v23, 0
	v_mov_b32_e32 v18, 0
	v_mov_b32_e32 v20, 0
	v_mov_b32_e32 v22, 0
	v_mov_b32_e32 v24, 0
	s_and_saveexec_b64 s[14:15], s[0:1]
	s_cbranch_execz .LBB27_24
; %bb.15:
	v_or_b32_e32 v13, 16, v31
	v_subrev_co_u32_e32 v13, vcc, s16, v13
	v_subb_co_u32_e64 v14, s[2:3], 0, 0, vcc
	v_add_co_u32_e32 v13, vcc, v13, v11
	v_addc_co_u32_e32 v14, vcc, v14, v12, vcc
	v_cmp_gt_i64_e32 vcc, v[13:14], v[4:5]
	v_not_b32_e32 v16, v11
	v_cndmask_b32_e32 v14, v5, v14, vcc
	v_cndmask_b32_e32 v13, v4, v13, vcc
	v_sub_co_u32_e32 v17, vcc, s16, v31
	v_not_b32_e32 v15, v12
	v_subb_co_u32_e64 v18, s[2:3], 0, 0, vcc
	v_add_co_u32_e32 v16, vcc, v17, v16
	v_addc_co_u32_e32 v15, vcc, v18, v15, vcc
	v_add_co_u32_e32 v25, vcc, v16, v13
	v_addc_co_u32_e32 v26, vcc, v15, v14, vcc
	v_and_b32_e32 v13, 48, v25
	v_mov_b32_e32 v14, 0
	v_cmp_ne_u64_e32 vcc, 48, v[13:14]
	v_mov_b32_e32 v23, 0
	v_mov_b32_e32 v21, 0
	;; [unrolled: 1-line block ×12, first 2 shown]
	s_and_saveexec_b64 s[18:19], vcc
	s_cbranch_execz .LBB27_19
; %bb.16:
	v_lshrrev_b32_e32 v13, 4, v25
	v_add_u32_e32 v13, 1, v13
	v_and_b32_e32 v15, 3, v13
	v_lshlrev_b64 v[13:14], 2, v[0:1]
	v_mov_b32_e32 v16, s13
	v_add_co_u32_e32 v27, vcc, s12, v13
	v_addc_co_u32_e32 v28, vcc, v16, v14, vcc
	v_sub_co_u32_e32 v29, vcc, 0, v15
	v_mov_b32_e32 v17, 0
	v_mov_b32_e32 v14, v7
	;; [unrolled: 1-line block ×6, first 2 shown]
	s_mov_b64 s[20:21], 0
	v_subb_co_u32_e64 v30, s[2:3], 0, 0, vcc
	v_mov_b32_e32 v18, 0
	s_movk_i32 s17, 0x800
	s_waitcnt lgkmcnt(0)
	v_mov_b32_e32 v32, s11
	v_mov_b32_e32 v13, v6
	;; [unrolled: 1-line block ×6, first 2 shown]
.LBB27_17:                              ; =>This Inner Loop Header: Depth=1
	global_load_dword v45, v[27:28], off
	global_load_dwordx4 v[33:36], v[13:14], off offset:32
	global_load_dwordx4 v[37:40], v[13:14], off
	global_load_dwordx4 v[41:44], v[13:14], off offset:64
	v_add_co_u32_e64 v15, s[2:3], 16, v15
	v_add_co_u32_e64 v27, s[6:7], 64, v27
	;; [unrolled: 1-line block ×3, first 2 shown]
	v_addc_co_u32_e64 v16, s[2:3], 0, v16, s[2:3]
	v_addc_co_u32_e64 v28, s[2:3], 0, v28, s[6:7]
	v_addc_co_u32_e64 v30, s[2:3], 0, v30, s[8:9]
	v_cmp_eq_u64_e64 s[2:3], 0, v[29:30]
	s_or_b64 s[20:21], s[2:3], s[20:21]
	s_waitcnt vmcnt(3)
	v_subrev_u32_e32 v45, s16, v45
	v_lshlrev_b32_e32 v45, 2, v45
	v_ashrrev_i32_e32 v46, 31, v45
	v_lshlrev_b64 v[45:46], 3, v[45:46]
	v_add_co_u32_e32 v49, vcc, s10, v45
	v_addc_co_u32_e32 v50, vcc, v32, v46, vcc
	global_load_dwordx4 v[45:48], v[49:50], off
	s_waitcnt vmcnt(0)
	v_fma_f64 v[23:24], v[37:38], v[45:46], v[23:24]
	v_fma_f64 v[21:22], v[33:34], v[45:46], v[21:22]
	;; [unrolled: 1-line block ×4, first 2 shown]
	global_load_dwordx4 v[37:40], v[13:14], off offset:96
	v_fma_f64 v[51:52], v[35:36], v[47:48], v[21:22]
	global_load_dwordx4 v[33:36], v[13:14], off offset:48
	v_fma_f64 v[53:54], v[43:44], v[47:48], v[19:20]
	global_load_dwordx4 v[19:22], v[13:14], off offset:16
	s_waitcnt vmcnt(2)
	v_fma_f64 v[17:18], v[37:38], v[45:46], v[17:18]
	v_fma_f64 v[17:18], v[39:40], v[47:48], v[17:18]
	global_load_dwordx4 v[37:40], v[13:14], off offset:80
	global_load_dwordx4 v[41:44], v[13:14], off offset:112
	;; [unrolled: 1-line block ×3, first 2 shown]
	v_add_co_u32_e32 v13, vcc, s17, v13
	v_addc_co_u32_e32 v14, vcc, 0, v14, vcc
	s_waitcnt vmcnt(0)
	v_fma_f64 v[19:20], v[19:20], v[45:46], v[23:24]
	v_fma_f64 v[33:34], v[33:34], v[45:46], v[51:52]
	;; [unrolled: 1-line block ×8, first 2 shown]
	s_andn2_b64 exec, exec, s[20:21]
	s_cbranch_execnz .LBB27_17
; %bb.18:
	s_or_b64 exec, exec, s[20:21]
.LBB27_19:
	s_or_b64 exec, exec, s[18:19]
	v_cmp_lt_u64_e32 vcc, 47, v[25:26]
	s_and_saveexec_b64 s[6:7], vcc
	s_cbranch_execz .LBB27_23
; %bb.20:
	v_lshlrev_b64 v[25:26], 2, v[15:16]
	v_mov_b32_e32 v27, s13
	v_add_co_u32_e32 v25, vcc, s12, v25
	v_addc_co_u32_e32 v26, vcc, v27, v26, vcc
	v_add_co_u32_e32 v25, vcc, 0x80, v25
	v_addc_co_u32_e32 v26, vcc, 0, v26, vcc
	s_mov_b64 s[8:9], 0
	s_waitcnt lgkmcnt(0)
	v_mov_b32_e32 v27, s11
	s_movk_i32 s17, 0x1000
.LBB27_21:                              ; =>This Inner Loop Header: Depth=1
	global_load_dword v28, v[25:26], off offset:-128
	global_load_dwordx4 v[32:35], v[13:14], off offset:48
	global_load_dwordx4 v[36:39], v[13:14], off offset:32
	;; [unrolled: 1-line block ×3, first 2 shown]
	global_load_dwordx4 v[44:47], v[13:14], off
	s_waitcnt vmcnt(4)
	v_subrev_u32_e32 v28, s16, v28
	v_lshlrev_b32_e32 v28, 2, v28
	v_ashrrev_i32_e32 v29, 31, v28
	v_lshlrev_b64 v[28:29], 3, v[28:29]
	v_add_co_u32_e32 v28, vcc, s10, v28
	v_addc_co_u32_e32 v29, vcc, v27, v29, vcc
	global_load_dwordx4 v[48:51], v[28:29], off offset:16
	global_load_dwordx4 v[52:55], v[28:29], off
	s_waitcnt vmcnt(0)
	v_fma_f64 v[23:24], v[44:45], v[52:53], v[23:24]
	v_fma_f64 v[21:22], v[36:37], v[52:53], v[21:22]
	;; [unrolled: 1-line block ×8, first 2 shown]
	global_load_dwordx4 v[21:24], v[13:14], off offset:112
	global_load_dwordx4 v[32:35], v[13:14], off offset:96
	;; [unrolled: 1-line block ×4, first 2 shown]
	s_waitcnt vmcnt(2)
	v_fma_f64 v[17:18], v[32:33], v[52:53], v[17:18]
	s_waitcnt vmcnt(0)
	v_fma_f64 v[19:20], v[40:41], v[52:53], v[19:20]
	v_fma_f64 v[17:18], v[34:35], v[54:55], v[17:18]
	;; [unrolled: 1-line block ×6, first 2 shown]
	global_load_dword v17, v[25:26], off offset:-64
	v_fma_f64 v[58:59], v[38:39], v[50:51], v[19:20]
	s_waitcnt vmcnt(0)
	v_subrev_u32_e32 v17, s16, v17
	v_lshlrev_b32_e32 v40, 2, v17
	v_ashrrev_i32_e32 v41, 31, v40
	v_lshlrev_b64 v[40:41], 3, v[40:41]
	global_load_dwordx4 v[17:20], v[13:14], off offset:2096
	global_load_dwordx4 v[21:24], v[13:14], off offset:2080
	global_load_dwordx4 v[32:35], v[13:14], off offset:2064
	global_load_dwordx4 v[36:39], v[13:14], off offset:2048
	v_add_co_u32_e32 v50, vcc, s10, v40
	v_addc_co_u32_e32 v51, vcc, v27, v41, vcc
	global_load_dwordx4 v[40:43], v[50:51], off offset:16
	global_load_dwordx4 v[44:47], v[50:51], off
	s_waitcnt vmcnt(0)
	v_fma_f64 v[28:29], v[36:37], v[44:45], v[28:29]
	v_fma_f64 v[21:22], v[21:22], v[44:45], v[56:57]
	;; [unrolled: 1-line block ×8, first 2 shown]
	global_load_dwordx4 v[17:20], v[13:14], off offset:2160
	global_load_dwordx4 v[21:24], v[13:14], off offset:2144
	;; [unrolled: 1-line block ×4, first 2 shown]
	s_waitcnt vmcnt(2)
	v_fma_f64 v[21:22], v[21:22], v[44:45], v[48:49]
	s_waitcnt vmcnt(0)
	v_fma_f64 v[36:37], v[36:37], v[44:45], v[58:59]
	v_fma_f64 v[21:22], v[23:24], v[46:47], v[21:22]
	;; [unrolled: 1-line block ×6, first 2 shown]
	global_load_dword v19, v[25:26], off
	v_add_co_u32_e32 v17, vcc, s17, v13
	v_addc_co_u32_e32 v18, vcc, 0, v14, vcc
	v_fma_f64 v[54:55], v[34:35], v[42:43], v[32:33]
	s_waitcnt vmcnt(0)
	v_subrev_u32_e32 v19, s16, v19
	v_lshlrev_b32_e32 v44, 2, v19
	v_ashrrev_i32_e32 v45, 31, v44
	v_lshlrev_b64 v[44:45], 3, v[44:45]
	global_load_dwordx4 v[19:22], v[17:18], off
	global_load_dwordx4 v[32:35], v[17:18], off offset:48
	global_load_dwordx4 v[36:39], v[17:18], off offset:32
	;; [unrolled: 1-line block ×3, first 2 shown]
	v_add_co_u32_e32 v56, vcc, s10, v44
	v_addc_co_u32_e32 v57, vcc, v27, v45, vcc
	global_load_dwordx4 v[44:47], v[56:57], off offset:16
	global_load_dwordx4 v[48:51], v[56:57], off
	s_waitcnt vmcnt(0)
	v_fma_f64 v[19:20], v[19:20], v[48:49], v[28:29]
	v_fma_f64 v[19:20], v[21:22], v[50:51], v[19:20]
	;; [unrolled: 1-line block ×8, first 2 shown]
	global_load_dwordx4 v[19:22], v[17:18], off offset:112
	global_load_dwordx4 v[32:35], v[17:18], off offset:96
	;; [unrolled: 1-line block ×4, first 2 shown]
	s_waitcnt vmcnt(2)
	v_fma_f64 v[23:24], v[32:33], v[48:49], v[23:24]
	s_waitcnt vmcnt(0)
	v_fma_f64 v[40:41], v[40:41], v[48:49], v[54:55]
	v_fma_f64 v[23:24], v[34:35], v[50:51], v[23:24]
	;; [unrolled: 1-line block ×6, first 2 shown]
	global_load_dword v19, v[25:26], off offset:64
	v_fma_f64 v[56:57], v[38:39], v[46:47], v[36:37]
	s_waitcnt vmcnt(0)
	v_subrev_u32_e32 v19, s16, v19
	v_lshlrev_b32_e32 v23, 2, v19
	v_ashrrev_i32_e32 v24, 31, v23
	v_lshlrev_b64 v[23:24], 3, v[23:24]
	global_load_dwordx4 v[19:22], v[17:18], off offset:2096
	global_load_dwordx4 v[32:35], v[17:18], off offset:2080
	;; [unrolled: 1-line block ×4, first 2 shown]
	v_add_co_u32_e32 v23, vcc, s10, v23
	v_addc_co_u32_e32 v24, vcc, v27, v24, vcc
	global_load_dwordx4 v[44:47], v[23:24], off offset:16
	global_load_dwordx4 v[48:51], v[23:24], off
	v_add_co_u32_e32 v15, vcc, 64, v15
	v_addc_co_u32_e32 v16, vcc, 0, v16, vcc
	v_add_co_u32_e32 v25, vcc, 0x100, v25
	v_addc_co_u32_e32 v26, vcc, 0, v26, vcc
	v_cmp_ge_i64_e64 s[2:3], v[15:16], v[4:5]
	v_add_co_u32_e32 v13, vcc, 0x2000, v13
	v_addc_co_u32_e32 v14, vcc, 0, v14, vcc
	s_or_b64 s[8:9], s[2:3], s[8:9]
	s_waitcnt vmcnt(0)
	v_fma_f64 v[23:24], v[40:41], v[48:49], v[28:29]
	v_fma_f64 v[28:29], v[32:33], v[48:49], v[52:53]
	;; [unrolled: 1-line block ×7, first 2 shown]
	global_load_dwordx4 v[32:35], v[17:18], off offset:2160
	global_load_dwordx4 v[36:39], v[17:18], off offset:2144
	;; [unrolled: 1-line block ×4, first 2 shown]
	v_fma_f64 v[21:22], v[21:22], v[46:47], v[19:20]
	s_waitcnt vmcnt(0)
	v_fma_f64 v[17:18], v[52:53], v[48:49], v[56:57]
	v_fma_f64 v[17:18], v[54:55], v[50:51], v[17:18]
	;; [unrolled: 1-line block ×8, first 2 shown]
	s_andn2_b64 exec, exec, s[8:9]
	s_cbranch_execnz .LBB27_21
; %bb.22:
	s_or_b64 exec, exec, s[8:9]
.LBB27_23:
	s_or_b64 exec, exec, s[6:7]
.LBB27_24:
	s_or_b64 exec, exec, s[14:15]
	s_cbranch_execz .LBB27_26
	s_branch .LBB27_37
.LBB27_25:
                                        ; implicit-def: $vgpr17_vgpr18
                                        ; implicit-def: $vgpr19_vgpr20
                                        ; implicit-def: $vgpr21_vgpr22
                                        ; implicit-def: $vgpr23_vgpr24
.LBB27_26:
	v_mov_b32_e32 v17, 0
	v_mov_b32_e32 v19, 0
	v_mov_b32_e32 v21, 0
	v_mov_b32_e32 v23, 0
	v_mov_b32_e32 v18, 0
	v_mov_b32_e32 v20, 0
	v_mov_b32_e32 v22, 0
	v_mov_b32_e32 v24, 0
	s_and_saveexec_b64 s[2:3], s[0:1]
	s_cbranch_execz .LBB27_36
; %bb.27:
	v_or_b32_e32 v13, 16, v31
	v_subrev_co_u32_e32 v13, vcc, s16, v13
	v_subb_co_u32_e64 v14, s[0:1], 0, 0, vcc
	v_add_co_u32_e32 v13, vcc, v13, v11
	v_addc_co_u32_e32 v14, vcc, v14, v12, vcc
	v_cmp_gt_i64_e32 vcc, v[13:14], v[4:5]
	v_not_b32_e32 v11, v11
	v_cndmask_b32_e32 v14, v5, v14, vcc
	v_cndmask_b32_e32 v13, v4, v13, vcc
	v_sub_co_u32_e32 v15, vcc, s16, v31
	v_not_b32_e32 v12, v12
	v_subb_co_u32_e64 v16, s[0:1], 0, 0, vcc
	v_add_co_u32_e32 v11, vcc, v15, v11
	v_addc_co_u32_e32 v12, vcc, v16, v12, vcc
	v_add_co_u32_e32 v11, vcc, v11, v13
	v_addc_co_u32_e32 v12, vcc, v12, v14, vcc
	v_and_b32_e32 v13, 48, v11
	v_mov_b32_e32 v14, 0
	v_cmp_ne_u64_e32 vcc, 48, v[13:14]
	v_mov_b32_e32 v23, 0
	v_mov_b32_e32 v21, 0
	;; [unrolled: 1-line block ×8, first 2 shown]
	s_and_saveexec_b64 s[0:1], vcc
	s_cbranch_execz .LBB27_31
; %bb.28:
	v_lshrrev_b32_e32 v13, 4, v11
	v_add_u32_e32 v13, 1, v13
	v_and_b32_e32 v15, 3, v13
	v_lshlrev_b64 v[13:14], 2, v[0:1]
	v_mov_b32_e32 v16, s13
	v_add_co_u32_e32 v13, vcc, s12, v13
	v_addc_co_u32_e32 v14, vcc, v16, v14, vcc
	v_sub_co_u32_e32 v15, vcc, 0, v15
	v_subb_co_u32_e64 v16, s[8:9], 0, 0, vcc
	v_mov_b32_e32 v17, 0
	v_mov_b32_e32 v19, 0
	;; [unrolled: 1-line block ×4, first 2 shown]
	s_mov_b64 s[6:7], 0
	v_mov_b32_e32 v18, 0
	s_movk_i32 s8, 0x800
	v_mov_b32_e32 v20, 0
	v_mov_b32_e32 v22, 0
	;; [unrolled: 1-line block ×3, first 2 shown]
	s_waitcnt lgkmcnt(0)
	v_mov_b32_e32 v25, s11
.LBB27_29:                              ; =>This Inner Loop Header: Depth=1
	global_load_dword v26, v[13:14], off
	s_waitcnt vmcnt(0)
	v_subrev_u32_e32 v26, s16, v26
	v_lshlrev_b32_e32 v44, 2, v26
	v_ashrrev_i32_e32 v45, 31, v44
	v_lshlrev_b64 v[44:45], 3, v[44:45]
	global_load_dwordx4 v[26:29], v[6:7], off offset:48
	global_load_dwordx4 v[32:35], v[6:7], off offset:32
	;; [unrolled: 1-line block ×3, first 2 shown]
	global_load_dwordx4 v[40:43], v[6:7], off
	v_add_co_u32_e32 v52, vcc, s10, v44
	v_addc_co_u32_e32 v53, vcc, v25, v45, vcc
	global_load_dwordx4 v[44:47], v[52:53], off offset:16
	global_load_dwordx4 v[48:51], v[52:53], off
	s_waitcnt vmcnt(0)
	v_fma_f64 v[23:24], v[40:41], v[48:49], v[23:24]
	v_fma_f64 v[21:22], v[42:43], v[48:49], v[21:22]
	;; [unrolled: 1-line block ×8, first 2 shown]
	global_load_dwordx4 v[26:29], v[6:7], off offset:112
	global_load_dwordx4 v[17:20], v[6:7], off offset:96
	;; [unrolled: 1-line block ×4, first 2 shown]
	v_add_co_u32_e32 v6, vcc, s8, v6
	v_addc_co_u32_e32 v7, vcc, 0, v7, vcc
	v_add_co_u32_e32 v0, vcc, 16, v0
	v_addc_co_u32_e32 v1, vcc, 0, v1, vcc
	;; [unrolled: 2-line block ×4, first 2 shown]
	v_cmp_eq_u64_e32 vcc, 0, v[15:16]
	s_or_b64 s[6:7], vcc, s[6:7]
	s_waitcnt vmcnt(0)
	v_fma_f64 v[32:33], v[32:33], v[44:45], v[36:37]
	v_fma_f64 v[34:35], v[34:35], v[44:45], v[38:39]
	;; [unrolled: 1-line block ×8, first 2 shown]
	s_andn2_b64 exec, exec, s[6:7]
	s_cbranch_execnz .LBB27_29
; %bb.30:
	s_or_b64 exec, exec, s[6:7]
.LBB27_31:
	s_or_b64 exec, exec, s[0:1]
	v_cmp_lt_u64_e32 vcc, 47, v[11:12]
	s_and_saveexec_b64 s[6:7], vcc
	s_cbranch_execz .LBB27_35
; %bb.32:
	v_lshlrev_b64 v[11:12], 2, v[0:1]
	v_mov_b32_e32 v13, s13
	v_add_co_u32_e32 v11, vcc, s12, v11
	v_addc_co_u32_e32 v12, vcc, v13, v12, vcc
	v_add_co_u32_e32 v11, vcc, 0x80, v11
	v_addc_co_u32_e32 v12, vcc, 0, v12, vcc
	s_mov_b64 s[8:9], 0
	s_waitcnt lgkmcnt(0)
	v_mov_b32_e32 v15, s11
	s_movk_i32 s11, 0x1000
.LBB27_33:                              ; =>This Inner Loop Header: Depth=1
	global_load_dword v13, v[11:12], off offset:-128
	global_load_dwordx4 v[25:28], v[6:7], off offset:48
	global_load_dwordx4 v[32:35], v[6:7], off offset:32
	;; [unrolled: 1-line block ×3, first 2 shown]
	global_load_dwordx4 v[40:43], v[6:7], off
	s_waitcnt vmcnt(4)
	v_subrev_u32_e32 v13, s16, v13
	v_lshlrev_b32_e32 v13, 2, v13
	v_ashrrev_i32_e32 v14, 31, v13
	v_lshlrev_b64 v[13:14], 3, v[13:14]
	v_add_co_u32_e32 v13, vcc, s10, v13
	v_addc_co_u32_e32 v14, vcc, v15, v14, vcc
	global_load_dwordx4 v[44:47], v[13:14], off offset:16
	global_load_dwordx4 v[48:51], v[13:14], off
	s_waitcnt vmcnt(0)
	v_fma_f64 v[13:14], v[40:41], v[48:49], v[23:24]
	v_fma_f64 v[21:22], v[42:43], v[48:49], v[21:22]
	;; [unrolled: 1-line block ×8, first 2 shown]
	global_load_dwordx4 v[16:19], v[6:7], off offset:112
	global_load_dwordx4 v[20:23], v[6:7], off offset:96
	;; [unrolled: 1-line block ×4, first 2 shown]
	s_waitcnt vmcnt(1)
	v_fma_f64 v[24:25], v[24:25], v[44:45], v[36:37]
	s_waitcnt vmcnt(0)
	v_fma_f64 v[13:14], v[32:33], v[44:45], v[13:14]
	v_fma_f64 v[28:29], v[34:35], v[44:45], v[29:30]
	;; [unrolled: 1-line block ×4, first 2 shown]
	global_load_dword v16, v[11:12], off offset:-64
	v_fma_f64 v[13:14], v[20:21], v[46:47], v[13:14]
	v_fma_f64 v[28:29], v[22:23], v[46:47], v[28:29]
	;; [unrolled: 1-line block ×3, first 2 shown]
	s_waitcnt vmcnt(0)
	v_subrev_u32_e32 v16, s16, v16
	v_lshlrev_b32_e32 v36, 2, v16
	v_ashrrev_i32_e32 v37, 31, v36
	v_lshlrev_b64 v[36:37], 3, v[36:37]
	global_load_dwordx4 v[16:19], v[6:7], off offset:2096
	global_load_dwordx4 v[20:23], v[6:7], off offset:2080
	;; [unrolled: 1-line block ×4, first 2 shown]
	v_add_co_u32_e32 v48, vcc, s10, v36
	v_addc_co_u32_e32 v49, vcc, v15, v37, vcc
	global_load_dwordx4 v[36:39], v[48:49], off offset:16
	global_load_dwordx4 v[40:43], v[48:49], off
	s_waitcnt vmcnt(0)
	v_fma_f64 v[13:14], v[32:33], v[40:41], v[13:14]
	v_fma_f64 v[28:29], v[34:35], v[40:41], v[28:29]
	;; [unrolled: 1-line block ×8, first 2 shown]
	global_load_dwordx4 v[16:19], v[6:7], off offset:2160
	global_load_dwordx4 v[20:23], v[6:7], off offset:2144
	global_load_dwordx4 v[24:27], v[6:7], off offset:2128
	global_load_dwordx4 v[32:35], v[6:7], off offset:2112
	s_waitcnt vmcnt(1)
	v_fma_f64 v[24:25], v[24:25], v[36:37], v[40:41]
	s_waitcnt vmcnt(0)
	v_fma_f64 v[13:14], v[32:33], v[36:37], v[13:14]
	v_fma_f64 v[28:29], v[34:35], v[36:37], v[28:29]
	;; [unrolled: 1-line block ×4, first 2 shown]
	global_load_dword v16, v[11:12], off
	v_fma_f64 v[44:45], v[20:21], v[38:39], v[13:14]
	v_add_co_u32_e32 v13, vcc, s11, v6
	v_addc_co_u32_e32 v14, vcc, 0, v7, vcc
	v_fma_f64 v[28:29], v[22:23], v[38:39], v[28:29]
	v_fma_f64 v[48:49], v[18:19], v[38:39], v[26:27]
	s_waitcnt vmcnt(0)
	v_subrev_u32_e32 v16, s16, v16
	v_lshlrev_b32_e32 v36, 2, v16
	v_ashrrev_i32_e32 v37, 31, v36
	v_lshlrev_b64 v[36:37], 3, v[36:37]
	global_load_dwordx4 v[16:19], v[13:14], off
	global_load_dwordx4 v[20:23], v[13:14], off offset:48
	global_load_dwordx4 v[24:27], v[13:14], off offset:32
	;; [unrolled: 1-line block ×3, first 2 shown]
	v_add_co_u32_e32 v50, vcc, s10, v36
	v_addc_co_u32_e32 v51, vcc, v15, v37, vcc
	global_load_dwordx4 v[36:39], v[50:51], off offset:16
	global_load_dwordx4 v[40:43], v[50:51], off
	s_waitcnt vmcnt(0)
	v_fma_f64 v[16:17], v[16:17], v[40:41], v[44:45]
	v_fma_f64 v[18:19], v[18:19], v[40:41], v[28:29]
	;; [unrolled: 1-line block ×8, first 2 shown]
	global_load_dwordx4 v[16:19], v[13:14], off offset:112
	global_load_dwordx4 v[20:23], v[13:14], off offset:96
	;; [unrolled: 1-line block ×4, first 2 shown]
	s_waitcnt vmcnt(1)
	v_fma_f64 v[24:25], v[24:25], v[36:37], v[28:29]
	s_waitcnt vmcnt(0)
	v_fma_f64 v[32:33], v[32:33], v[36:37], v[40:41]
	v_fma_f64 v[34:35], v[34:35], v[36:37], v[44:45]
	;; [unrolled: 1-line block ×4, first 2 shown]
	global_load_dword v16, v[11:12], off offset:64
	v_fma_f64 v[28:29], v[20:21], v[38:39], v[32:33]
	v_fma_f64 v[44:45], v[22:23], v[38:39], v[34:35]
	;; [unrolled: 1-line block ×3, first 2 shown]
	s_waitcnt vmcnt(0)
	v_subrev_u32_e32 v16, s16, v16
	v_lshlrev_b32_e32 v36, 2, v16
	v_ashrrev_i32_e32 v37, 31, v36
	v_lshlrev_b64 v[36:37], 3, v[36:37]
	global_load_dwordx4 v[16:19], v[13:14], off offset:2096
	global_load_dwordx4 v[20:23], v[13:14], off offset:2080
	;; [unrolled: 1-line block ×4, first 2 shown]
	v_add_co_u32_e32 v50, vcc, s10, v36
	v_addc_co_u32_e32 v51, vcc, v15, v37, vcc
	global_load_dwordx4 v[36:39], v[50:51], off offset:16
	global_load_dwordx4 v[40:43], v[50:51], off
	v_add_co_u32_e32 v0, vcc, 64, v0
	v_addc_co_u32_e32 v1, vcc, 0, v1, vcc
	v_add_co_u32_e32 v11, vcc, 0x100, v11
	v_addc_co_u32_e32 v12, vcc, 0, v12, vcc
	v_cmp_ge_i64_e64 s[0:1], v[0:1], v[4:5]
	v_add_co_u32_e32 v6, vcc, 0x2000, v6
	v_addc_co_u32_e32 v7, vcc, 0, v7, vcc
	s_or_b64 s[8:9], s[0:1], s[8:9]
	s_waitcnt vmcnt(0)
	v_fma_f64 v[28:29], v[32:33], v[40:41], v[28:29]
	v_fma_f64 v[32:33], v[34:35], v[40:41], v[44:45]
	;; [unrolled: 1-line block ×8, first 2 shown]
	global_load_dwordx4 v[25:28], v[13:14], off offset:2160
	global_load_dwordx4 v[16:19], v[13:14], off offset:2144
	;; [unrolled: 1-line block ×4, first 2 shown]
	s_waitcnt vmcnt(0)
	v_fma_f64 v[13:14], v[32:33], v[36:37], v[29:30]
	v_fma_f64 v[29:30], v[34:35], v[36:37], v[40:41]
	;; [unrolled: 1-line block ×8, first 2 shown]
	s_andn2_b64 exec, exec, s[8:9]
	s_cbranch_execnz .LBB27_33
; %bb.34:
	s_or_b64 exec, exec, s[8:9]
.LBB27_35:
	s_or_b64 exec, exec, s[6:7]
.LBB27_36:
	s_or_b64 exec, exec, s[2:3]
.LBB27_37:
	v_mov_b32_dpp v0, v23 row_shr:1 row_mask:0xf bank_mask:0xf
	v_mov_b32_dpp v1, v24 row_shr:1 row_mask:0xf bank_mask:0xf
	v_add_f64 v[0:1], v[23:24], v[0:1]
	v_mov_b32_dpp v4, v21 row_shr:1 row_mask:0xf bank_mask:0xf
	v_mov_b32_dpp v5, v22 row_shr:1 row_mask:0xf bank_mask:0xf
	;; [unrolled: 1-line block ×3, first 2 shown]
	v_add_f64 v[4:5], v[21:22], v[4:5]
	v_mov_b32_dpp v7, v20 row_shr:1 row_mask:0xf bank_mask:0xf
	v_add_f64 v[6:7], v[19:20], v[6:7]
	v_cmp_eq_u32_e32 vcc, 15, v31
	v_mov_b32_dpp v11, v0 row_shr:2 row_mask:0xf bank_mask:0xf
	v_mov_b32_dpp v12, v1 row_shr:2 row_mask:0xf bank_mask:0xf
	v_add_f64 v[0:1], v[0:1], v[11:12]
	v_mov_b32_dpp v11, v17 row_shr:1 row_mask:0xf bank_mask:0xf
	v_mov_b32_dpp v12, v18 row_shr:1 row_mask:0xf bank_mask:0xf
	v_add_f64 v[11:12], v[17:18], v[11:12]
	;; [unrolled: 3-line block ×4, first 2 shown]
	v_mov_b32_dpp v15, v0 row_shr:4 row_mask:0xf bank_mask:0xe
	v_mov_b32_dpp v13, v11 row_shr:2 row_mask:0xf bank_mask:0xf
	;; [unrolled: 1-line block ×3, first 2 shown]
	v_add_f64 v[11:12], v[11:12], v[13:14]
	v_mov_b32_dpp v13, v4 row_shr:4 row_mask:0xf bank_mask:0xe
	v_mov_b32_dpp v14, v5 row_shr:4 row_mask:0xf bank_mask:0xe
	v_add_f64 v[4:5], v[4:5], v[13:14]
	v_mov_b32_dpp v13, v6 row_shr:4 row_mask:0xf bank_mask:0xe
	v_mov_b32_dpp v14, v7 row_shr:4 row_mask:0xf bank_mask:0xe
	;; [unrolled: 1-line block ×3, first 2 shown]
	v_add_f64 v[6:7], v[6:7], v[13:14]
	v_mov_b32_dpp v13, v11 row_shr:4 row_mask:0xf bank_mask:0xe
	v_mov_b32_dpp v14, v12 row_shr:4 row_mask:0xf bank_mask:0xe
	v_add_f64 v[0:1], v[0:1], v[15:16]
	v_add_f64 v[11:12], v[11:12], v[13:14]
	v_mov_b32_dpp v17, v4 row_shr:8 row_mask:0xf bank_mask:0xc
	v_mov_b32_dpp v18, v5 row_shr:8 row_mask:0xf bank_mask:0xc
	;; [unrolled: 1-line block ×8, first 2 shown]
	s_and_b64 exec, exec, vcc
	s_cbranch_execz .LBB27_10
; %bb.38:
	v_add_f64 v[0:1], v[0:1], v[19:20]
	v_add_f64 v[17:18], v[4:5], v[17:18]
	;; [unrolled: 1-line block ×4, first 2 shown]
	v_cmp_eq_f64_e32 vcc, 0, v[8:9]
	s_load_dwordx2 s[0:1], s[4:5], 0x50
	v_lshlrev_b32_e32 v10, 2, v10
	v_mul_f64 v[4:5], v[2:3], v[0:1]
	v_mul_f64 v[6:7], v[2:3], v[17:18]
	;; [unrolled: 1-line block ×4, first 2 shown]
	s_and_saveexec_b64 s[2:3], vcc
	s_xor_b64 s[2:3], exec, s[2:3]
	s_cbranch_execz .LBB27_40
; %bb.39:
	v_ashrrev_i32_e32 v11, 31, v10
	v_lshlrev_b64 v[8:9], 3, v[10:11]
	s_waitcnt lgkmcnt(0)
	v_mov_b32_e32 v10, s1
	v_add_co_u32_e32 v8, vcc, s0, v8
	v_addc_co_u32_e32 v9, vcc, v10, v9, vcc
	global_store_dwordx4 v[8:9], v[4:7], off
	global_store_dwordx4 v[8:9], v[0:3], off offset:16
                                        ; implicit-def: $vgpr10
                                        ; implicit-def: $vgpr8_vgpr9
                                        ; implicit-def: $vgpr4_vgpr5
                                        ; implicit-def: $vgpr0_vgpr1
.LBB27_40:
	s_andn2_saveexec_b64 s[2:3], s[2:3]
	s_cbranch_execz .LBB27_10
; %bb.41:
	v_ashrrev_i32_e32 v11, 31, v10
	v_lshlrev_b64 v[10:11], 3, v[10:11]
	s_waitcnt lgkmcnt(0)
	v_mov_b32_e32 v12, s1
	v_add_co_u32_e32 v18, vcc, s0, v10
	v_addc_co_u32_e32 v19, vcc, v12, v11, vcc
	global_load_dwordx4 v[10:13], v[18:19], off
	global_load_dwordx4 v[14:17], v[18:19], off offset:16
	s_waitcnt vmcnt(1)
	v_fma_f64 v[4:5], v[8:9], v[10:11], v[4:5]
	v_fma_f64 v[6:7], v[8:9], v[12:13], v[6:7]
	s_waitcnt vmcnt(0)
	v_fma_f64 v[0:1], v[8:9], v[14:15], v[0:1]
	v_fma_f64 v[2:3], v[8:9], v[16:17], v[2:3]
	global_store_dwordx4 v[18:19], v[4:7], off
	global_store_dwordx4 v[18:19], v[0:3], off offset:16
	s_endpgm
	.section	.rodata,"a",@progbits
	.p2align	6, 0x0
	.amdhsa_kernel _ZN9rocsparseL18bsrxmvn_4x4_kernelILj128ELj16EdlidddEEvT3_20rocsparse_direction_NS_24const_host_device_scalarIT1_EES1_PKS1_PKT2_SA_S7_PKT4_PKT5_S5_PT6_21rocsparse_index_base_b
		.amdhsa_group_segment_fixed_size 0
		.amdhsa_private_segment_fixed_size 0
		.amdhsa_kernarg_size 96
		.amdhsa_user_sgpr_count 6
		.amdhsa_user_sgpr_private_segment_buffer 1
		.amdhsa_user_sgpr_dispatch_ptr 0
		.amdhsa_user_sgpr_queue_ptr 0
		.amdhsa_user_sgpr_kernarg_segment_ptr 1
		.amdhsa_user_sgpr_dispatch_id 0
		.amdhsa_user_sgpr_flat_scratch_init 0
		.amdhsa_user_sgpr_private_segment_size 0
		.amdhsa_uses_dynamic_stack 0
		.amdhsa_system_sgpr_private_segment_wavefront_offset 0
		.amdhsa_system_sgpr_workgroup_id_x 1
		.amdhsa_system_sgpr_workgroup_id_y 0
		.amdhsa_system_sgpr_workgroup_id_z 0
		.amdhsa_system_sgpr_workgroup_info 0
		.amdhsa_system_vgpr_workitem_id 0
		.amdhsa_next_free_vgpr 60
		.amdhsa_next_free_sgpr 22
		.amdhsa_reserve_vcc 1
		.amdhsa_reserve_flat_scratch 0
		.amdhsa_float_round_mode_32 0
		.amdhsa_float_round_mode_16_64 0
		.amdhsa_float_denorm_mode_32 3
		.amdhsa_float_denorm_mode_16_64 3
		.amdhsa_dx10_clamp 1
		.amdhsa_ieee_mode 1
		.amdhsa_fp16_overflow 0
		.amdhsa_exception_fp_ieee_invalid_op 0
		.amdhsa_exception_fp_denorm_src 0
		.amdhsa_exception_fp_ieee_div_zero 0
		.amdhsa_exception_fp_ieee_overflow 0
		.amdhsa_exception_fp_ieee_underflow 0
		.amdhsa_exception_fp_ieee_inexact 0
		.amdhsa_exception_int_div_zero 0
	.end_amdhsa_kernel
	.section	.text._ZN9rocsparseL18bsrxmvn_4x4_kernelILj128ELj16EdlidddEEvT3_20rocsparse_direction_NS_24const_host_device_scalarIT1_EES1_PKS1_PKT2_SA_S7_PKT4_PKT5_S5_PT6_21rocsparse_index_base_b,"axG",@progbits,_ZN9rocsparseL18bsrxmvn_4x4_kernelILj128ELj16EdlidddEEvT3_20rocsparse_direction_NS_24const_host_device_scalarIT1_EES1_PKS1_PKT2_SA_S7_PKT4_PKT5_S5_PT6_21rocsparse_index_base_b,comdat
.Lfunc_end27:
	.size	_ZN9rocsparseL18bsrxmvn_4x4_kernelILj128ELj16EdlidddEEvT3_20rocsparse_direction_NS_24const_host_device_scalarIT1_EES1_PKS1_PKT2_SA_S7_PKT4_PKT5_S5_PT6_21rocsparse_index_base_b, .Lfunc_end27-_ZN9rocsparseL18bsrxmvn_4x4_kernelILj128ELj16EdlidddEEvT3_20rocsparse_direction_NS_24const_host_device_scalarIT1_EES1_PKS1_PKT2_SA_S7_PKT4_PKT5_S5_PT6_21rocsparse_index_base_b
                                        ; -- End function
	.set _ZN9rocsparseL18bsrxmvn_4x4_kernelILj128ELj16EdlidddEEvT3_20rocsparse_direction_NS_24const_host_device_scalarIT1_EES1_PKS1_PKT2_SA_S7_PKT4_PKT5_S5_PT6_21rocsparse_index_base_b.num_vgpr, 60
	.set _ZN9rocsparseL18bsrxmvn_4x4_kernelILj128ELj16EdlidddEEvT3_20rocsparse_direction_NS_24const_host_device_scalarIT1_EES1_PKS1_PKT2_SA_S7_PKT4_PKT5_S5_PT6_21rocsparse_index_base_b.num_agpr, 0
	.set _ZN9rocsparseL18bsrxmvn_4x4_kernelILj128ELj16EdlidddEEvT3_20rocsparse_direction_NS_24const_host_device_scalarIT1_EES1_PKS1_PKT2_SA_S7_PKT4_PKT5_S5_PT6_21rocsparse_index_base_b.numbered_sgpr, 22
	.set _ZN9rocsparseL18bsrxmvn_4x4_kernelILj128ELj16EdlidddEEvT3_20rocsparse_direction_NS_24const_host_device_scalarIT1_EES1_PKS1_PKT2_SA_S7_PKT4_PKT5_S5_PT6_21rocsparse_index_base_b.num_named_barrier, 0
	.set _ZN9rocsparseL18bsrxmvn_4x4_kernelILj128ELj16EdlidddEEvT3_20rocsparse_direction_NS_24const_host_device_scalarIT1_EES1_PKS1_PKT2_SA_S7_PKT4_PKT5_S5_PT6_21rocsparse_index_base_b.private_seg_size, 0
	.set _ZN9rocsparseL18bsrxmvn_4x4_kernelILj128ELj16EdlidddEEvT3_20rocsparse_direction_NS_24const_host_device_scalarIT1_EES1_PKS1_PKT2_SA_S7_PKT4_PKT5_S5_PT6_21rocsparse_index_base_b.uses_vcc, 1
	.set _ZN9rocsparseL18bsrxmvn_4x4_kernelILj128ELj16EdlidddEEvT3_20rocsparse_direction_NS_24const_host_device_scalarIT1_EES1_PKS1_PKT2_SA_S7_PKT4_PKT5_S5_PT6_21rocsparse_index_base_b.uses_flat_scratch, 0
	.set _ZN9rocsparseL18bsrxmvn_4x4_kernelILj128ELj16EdlidddEEvT3_20rocsparse_direction_NS_24const_host_device_scalarIT1_EES1_PKS1_PKT2_SA_S7_PKT4_PKT5_S5_PT6_21rocsparse_index_base_b.has_dyn_sized_stack, 0
	.set _ZN9rocsparseL18bsrxmvn_4x4_kernelILj128ELj16EdlidddEEvT3_20rocsparse_direction_NS_24const_host_device_scalarIT1_EES1_PKS1_PKT2_SA_S7_PKT4_PKT5_S5_PT6_21rocsparse_index_base_b.has_recursion, 0
	.set _ZN9rocsparseL18bsrxmvn_4x4_kernelILj128ELj16EdlidddEEvT3_20rocsparse_direction_NS_24const_host_device_scalarIT1_EES1_PKS1_PKT2_SA_S7_PKT4_PKT5_S5_PT6_21rocsparse_index_base_b.has_indirect_call, 0
	.section	.AMDGPU.csdata,"",@progbits
; Kernel info:
; codeLenInByte = 4632
; TotalNumSgprs: 26
; NumVgprs: 60
; ScratchSize: 0
; MemoryBound: 1
; FloatMode: 240
; IeeeMode: 1
; LDSByteSize: 0 bytes/workgroup (compile time only)
; SGPRBlocks: 3
; VGPRBlocks: 14
; NumSGPRsForWavesPerEU: 26
; NumVGPRsForWavesPerEU: 60
; Occupancy: 4
; WaveLimiterHint : 1
; COMPUTE_PGM_RSRC2:SCRATCH_EN: 0
; COMPUTE_PGM_RSRC2:USER_SGPR: 6
; COMPUTE_PGM_RSRC2:TRAP_HANDLER: 0
; COMPUTE_PGM_RSRC2:TGID_X_EN: 1
; COMPUTE_PGM_RSRC2:TGID_Y_EN: 0
; COMPUTE_PGM_RSRC2:TGID_Z_EN: 0
; COMPUTE_PGM_RSRC2:TIDIG_COMP_CNT: 0
	.section	.text._ZN9rocsparseL18bsrxmvn_4x4_kernelILj128ELj32EdlidddEEvT3_20rocsparse_direction_NS_24const_host_device_scalarIT1_EES1_PKS1_PKT2_SA_S7_PKT4_PKT5_S5_PT6_21rocsparse_index_base_b,"axG",@progbits,_ZN9rocsparseL18bsrxmvn_4x4_kernelILj128ELj32EdlidddEEvT3_20rocsparse_direction_NS_24const_host_device_scalarIT1_EES1_PKS1_PKT2_SA_S7_PKT4_PKT5_S5_PT6_21rocsparse_index_base_b,comdat
	.globl	_ZN9rocsparseL18bsrxmvn_4x4_kernelILj128ELj32EdlidddEEvT3_20rocsparse_direction_NS_24const_host_device_scalarIT1_EES1_PKS1_PKT2_SA_S7_PKT4_PKT5_S5_PT6_21rocsparse_index_base_b ; -- Begin function _ZN9rocsparseL18bsrxmvn_4x4_kernelILj128ELj32EdlidddEEvT3_20rocsparse_direction_NS_24const_host_device_scalarIT1_EES1_PKS1_PKT2_SA_S7_PKT4_PKT5_S5_PT6_21rocsparse_index_base_b
	.p2align	8
	.type	_ZN9rocsparseL18bsrxmvn_4x4_kernelILj128ELj32EdlidddEEvT3_20rocsparse_direction_NS_24const_host_device_scalarIT1_EES1_PKS1_PKT2_SA_S7_PKT4_PKT5_S5_PT6_21rocsparse_index_base_b,@function
_ZN9rocsparseL18bsrxmvn_4x4_kernelILj128ELj32EdlidddEEvT3_20rocsparse_direction_NS_24const_host_device_scalarIT1_EES1_PKS1_PKT2_SA_S7_PKT4_PKT5_S5_PT6_21rocsparse_index_base_b: ; @_ZN9rocsparseL18bsrxmvn_4x4_kernelILj128ELj32EdlidddEEvT3_20rocsparse_direction_NS_24const_host_device_scalarIT1_EES1_PKS1_PKT2_SA_S7_PKT4_PKT5_S5_PT6_21rocsparse_index_base_b
; %bb.0:
	s_load_dwordx2 s[16:17], s[4:5], 0x58
	s_load_dwordx2 s[8:9], s[4:5], 0x8
	;; [unrolled: 1-line block ×3, first 2 shown]
	s_waitcnt lgkmcnt(0)
	s_bitcmp1_b32 s17, 0
	s_cselect_b64 s[10:11], -1, 0
	v_mov_b32_e32 v2, s8
	s_xor_b64 s[2:3], s[10:11], -1
	s_and_b64 vcc, exec, s[10:11]
	v_mov_b32_e32 v3, s9
	s_cbranch_vccnz .LBB28_2
; %bb.1:
	v_mov_b32_e32 v1, s8
	v_mov_b32_e32 v2, s9
	flat_load_dwordx2 v[2:3], v[1:2]
.LBB28_2:
	v_mov_b32_e32 v9, s1
	s_andn2_b64 vcc, exec, s[2:3]
	v_mov_b32_e32 v8, s0
	s_cbranch_vccnz .LBB28_4
; %bb.3:
	v_mov_b32_e32 v5, s1
	v_mov_b32_e32 v4, s0
	flat_load_dwordx2 v[8:9], v[4:5]
.LBB28_4:
	s_waitcnt vmcnt(0) lgkmcnt(0)
	v_cmp_neq_f64_e32 vcc, 0, v[2:3]
	v_cmp_neq_f64_e64 s[0:1], 1.0, v[8:9]
	s_mov_b64 s[2:3], 0
	s_or_b64 s[0:1], vcc, s[0:1]
	s_and_saveexec_b64 s[8:9], s[0:1]
	s_cbranch_execz .LBB28_10
; %bb.5:
	s_load_dwordx2 s[8:9], s[4:5], 0x18
	s_load_dwordx2 s[0:1], s[4:5], 0x0
	v_lshrrev_b32_e32 v1, 5, v0
	v_lshl_or_b32 v10, s6, 2, v1
	s_mov_b64 s[6:7], 0
	s_waitcnt lgkmcnt(0)
	s_cmp_lg_u64 s[8:9], 0
	s_cbranch_scc0 .LBB28_11
; %bb.6:
	s_load_dword s2, s[4:5], 0x10
                                        ; implicit-def: $vgpr1
	s_waitcnt lgkmcnt(0)
	v_cmp_gt_i32_e32 vcc, s2, v10
	s_and_saveexec_b64 s[2:3], vcc
	s_xor_b64 s[2:3], exec, s[2:3]
	s_cbranch_execz .LBB28_8
; %bb.7:
	v_ashrrev_i32_e32 v11, 31, v10
	v_lshlrev_b64 v[4:5], 2, v[10:11]
	v_mov_b32_e32 v1, s9
	v_add_co_u32_e32 v4, vcc, s8, v4
	v_addc_co_u32_e32 v5, vcc, v1, v5, vcc
	global_load_dword v1, v[4:5], off
	s_mov_b64 s[6:7], exec
	s_waitcnt vmcnt(0)
	v_subrev_u32_e32 v1, s16, v1
.LBB28_8:
	s_or_b64 exec, exec, s[2:3]
	s_mov_b64 s[2:3], s[6:7]
	s_branch .LBB28_12
.LBB28_9:
	v_cmp_gt_i32_e32 vcc, s0, v10
	s_andn2_b64 s[2:3], s[2:3], exec
	s_and_b64 s[6:7], vcc, exec
	s_or_b64 s[2:3], s[2:3], s[6:7]
	s_and_b64 exec, exec, s[2:3]
	s_cbranch_execnz .LBB28_13
.LBB28_10:
	s_endpgm
.LBB28_11:
                                        ; implicit-def: $vgpr1
	s_cbranch_execnz .LBB28_9
.LBB28_12:
	v_mov_b32_e32 v10, v1
	s_and_b64 exec, exec, s[2:3]
	s_cbranch_execz .LBB28_10
.LBB28_13:
	s_load_dwordx8 s[8:15], s[4:5], 0x20
	v_ashrrev_i32_e32 v11, 31, v10
	v_lshlrev_b64 v[4:5], 3, v[10:11]
	v_and_b32_e32 v31, 31, v0
	s_waitcnt lgkmcnt(0)
	v_mov_b32_e32 v1, s9
	v_add_co_u32_e32 v6, vcc, s8, v4
	v_addc_co_u32_e32 v7, vcc, v1, v5, vcc
	v_add_co_u32_e32 v1, vcc, 8, v6
	global_load_dwordx2 v[11:12], v[6:7], off
	v_addc_co_u32_e32 v6, vcc, 0, v7, vcc
	v_mov_b32_e32 v7, s11
	v_add_co_u32_e32 v4, vcc, s10, v4
	s_cmp_eq_u64 s[10:11], 0
	v_addc_co_u32_e32 v5, vcc, v7, v5, vcc
	s_cselect_b64 vcc, -1, 0
	v_cndmask_b32_e32 v5, v5, v6, vcc
	v_cndmask_b32_e32 v4, v4, v1, vcc
	global_load_dwordx2 v[4:5], v[4:5], off
	s_load_dwordx2 s[8:9], s[4:5], 0x40
	v_mov_b32_e32 v13, s15
	s_cmp_eq_u32 s1, 1
	s_waitcnt vmcnt(1)
	v_subrev_co_u32_e32 v0, vcc, s16, v11
	v_subbrev_co_u32_e32 v1, vcc, 0, v12, vcc
	v_add_co_u32_e32 v0, vcc, v0, v31
	v_addc_co_u32_e32 v1, vcc, 0, v1, vcc
	v_lshlrev_b64 v[6:7], 7, v[0:1]
	s_waitcnt vmcnt(0)
	v_subrev_co_u32_e32 v4, vcc, s16, v4
	v_subbrev_co_u32_e32 v5, vcc, 0, v5, vcc
	v_cmp_lt_i64_e64 s[0:1], v[0:1], v[4:5]
	v_add_co_u32_e32 v6, vcc, s14, v6
	v_addc_co_u32_e32 v7, vcc, v13, v7, vcc
	s_cbranch_scc1 .LBB28_25
; %bb.14:
	v_mov_b32_e32 v17, 0
	v_mov_b32_e32 v19, 0
	;; [unrolled: 1-line block ×8, first 2 shown]
	s_and_saveexec_b64 s[10:11], s[0:1]
	s_cbranch_execz .LBB28_24
; %bb.15:
	v_or_b32_e32 v13, 32, v31
	v_subrev_co_u32_e32 v13, vcc, s16, v13
	v_subb_co_u32_e64 v14, s[2:3], 0, 0, vcc
	v_add_co_u32_e32 v13, vcc, v13, v11
	v_addc_co_u32_e32 v14, vcc, v14, v12, vcc
	v_cmp_gt_i64_e32 vcc, v[13:14], v[4:5]
	v_not_b32_e32 v16, v11
	v_cndmask_b32_e32 v14, v5, v14, vcc
	v_cndmask_b32_e32 v13, v4, v13, vcc
	v_sub_co_u32_e32 v17, vcc, s16, v31
	v_not_b32_e32 v15, v12
	v_subb_co_u32_e64 v18, s[2:3], 0, 0, vcc
	v_add_co_u32_e32 v16, vcc, v17, v16
	v_addc_co_u32_e32 v15, vcc, v18, v15, vcc
	v_add_co_u32_e32 v25, vcc, v16, v13
	v_addc_co_u32_e32 v26, vcc, v15, v14, vcc
	v_and_b32_e32 v13, 0x60, v25
	v_mov_b32_e32 v14, 0
	s_mov_b64 s[2:3], 0x60
	v_cmp_ne_u64_e32 vcc, s[2:3], v[13:14]
	v_mov_b32_e32 v23, 0
	v_mov_b32_e32 v21, 0
	;; [unrolled: 1-line block ×12, first 2 shown]
	s_and_saveexec_b64 s[14:15], vcc
	s_cbranch_execz .LBB28_19
; %bb.16:
	v_lshrrev_b32_e32 v13, 5, v25
	v_add_u32_e32 v13, 1, v13
	v_and_b32_e32 v15, 3, v13
	v_lshlrev_b64 v[13:14], 2, v[0:1]
	v_mov_b32_e32 v16, s13
	v_add_co_u32_e32 v27, vcc, s12, v13
	v_addc_co_u32_e32 v28, vcc, v16, v14, vcc
	v_sub_co_u32_e32 v29, vcc, 0, v15
	v_mov_b32_e32 v17, 0
	v_mov_b32_e32 v14, v7
	;; [unrolled: 1-line block ×6, first 2 shown]
	s_mov_b64 s[18:19], 0
	v_subb_co_u32_e64 v30, s[2:3], 0, 0, vcc
	v_mov_b32_e32 v18, 0
	s_movk_i32 s17, 0x1000
	s_waitcnt lgkmcnt(0)
	v_mov_b32_e32 v32, s9
	v_mov_b32_e32 v13, v6
	;; [unrolled: 1-line block ×6, first 2 shown]
.LBB28_17:                              ; =>This Inner Loop Header: Depth=1
	global_load_dword v45, v[27:28], off
	global_load_dwordx4 v[33:36], v[13:14], off offset:32
	global_load_dwordx4 v[37:40], v[13:14], off
	global_load_dwordx4 v[41:44], v[13:14], off offset:64
	v_add_co_u32_e64 v29, s[6:7], 1, v29
	s_waitcnt vmcnt(3)
	v_subrev_u32_e32 v45, s16, v45
	v_lshlrev_b32_e32 v45, 2, v45
	v_ashrrev_i32_e32 v46, 31, v45
	v_lshlrev_b64 v[45:46], 3, v[45:46]
	v_add_co_u32_e32 v49, vcc, s8, v45
	v_addc_co_u32_e32 v50, vcc, v32, v46, vcc
	global_load_dwordx4 v[45:48], v[49:50], off
	s_waitcnt vmcnt(0)
	v_fma_f64 v[23:24], v[37:38], v[45:46], v[23:24]
	v_fma_f64 v[21:22], v[33:34], v[45:46], v[21:22]
	;; [unrolled: 1-line block ×4, first 2 shown]
	global_load_dwordx4 v[37:40], v[13:14], off offset:96
	v_fma_f64 v[51:52], v[35:36], v[47:48], v[21:22]
	global_load_dwordx4 v[33:36], v[13:14], off offset:48
	v_fma_f64 v[53:54], v[43:44], v[47:48], v[19:20]
	global_load_dwordx4 v[19:22], v[13:14], off offset:16
	s_waitcnt vmcnt(2)
	v_fma_f64 v[17:18], v[37:38], v[45:46], v[17:18]
	v_fma_f64 v[17:18], v[39:40], v[47:48], v[17:18]
	global_load_dwordx4 v[37:40], v[13:14], off offset:80
	global_load_dwordx4 v[41:44], v[13:14], off offset:112
	;; [unrolled: 1-line block ×3, first 2 shown]
	v_add_co_u32_e32 v13, vcc, s17, v13
	s_mov_b64 s[2:3], vcc
	v_add_co_u32_e32 v15, vcc, 32, v15
	v_addc_co_u32_e32 v16, vcc, 0, v16, vcc
	v_addc_co_u32_e64 v30, vcc, 0, v30, s[6:7]
	v_cmp_eq_u64_e64 s[6:7], 0, v[29:30]
	v_add_co_u32_e32 v27, vcc, 0x80, v27
	v_addc_co_u32_e64 v14, s[2:3], 0, v14, s[2:3]
	s_or_b64 s[18:19], s[6:7], s[18:19]
	v_addc_co_u32_e32 v28, vcc, 0, v28, vcc
	s_waitcnt vmcnt(0)
	v_fma_f64 v[19:20], v[19:20], v[45:46], v[23:24]
	v_fma_f64 v[33:34], v[33:34], v[45:46], v[51:52]
	;; [unrolled: 1-line block ×8, first 2 shown]
	s_andn2_b64 exec, exec, s[18:19]
	s_cbranch_execnz .LBB28_17
; %bb.18:
	s_or_b64 exec, exec, s[18:19]
.LBB28_19:
	s_or_b64 exec, exec, s[14:15]
	s_mov_b64 s[2:3], 0x5f
	v_cmp_lt_u64_e32 vcc, s[2:3], v[25:26]
	s_and_saveexec_b64 s[6:7], vcc
	s_cbranch_execz .LBB28_23
; %bb.20:
	v_lshlrev_b64 v[25:26], 2, v[15:16]
	v_mov_b32_e32 v27, s13
	v_add_co_u32_e32 v25, vcc, s12, v25
	v_addc_co_u32_e32 v26, vcc, v27, v26, vcc
	v_add_co_u32_e32 v25, vcc, 0x100, v25
	v_addc_co_u32_e32 v26, vcc, 0, v26, vcc
	s_mov_b64 s[14:15], 0
	s_waitcnt lgkmcnt(0)
	v_mov_b32_e32 v27, s9
	s_movk_i32 s17, 0x1000
	s_movk_i32 s18, 0x2000
	;; [unrolled: 1-line block ×3, first 2 shown]
.LBB28_21:                              ; =>This Inner Loop Header: Depth=1
	global_load_dword v28, v[25:26], off offset:-256
	global_load_dwordx4 v[32:35], v[13:14], off offset:48
	global_load_dwordx4 v[36:39], v[13:14], off offset:32
	;; [unrolled: 1-line block ×3, first 2 shown]
	global_load_dwordx4 v[44:47], v[13:14], off
	s_waitcnt vmcnt(4)
	v_subrev_u32_e32 v28, s16, v28
	v_lshlrev_b32_e32 v28, 2, v28
	v_ashrrev_i32_e32 v29, 31, v28
	v_lshlrev_b64 v[28:29], 3, v[28:29]
	v_add_co_u32_e32 v28, vcc, s8, v28
	v_addc_co_u32_e32 v29, vcc, v27, v29, vcc
	global_load_dwordx4 v[48:51], v[28:29], off offset:16
	global_load_dwordx4 v[52:55], v[28:29], off
	s_waitcnt vmcnt(0)
	v_fma_f64 v[23:24], v[44:45], v[52:53], v[23:24]
	v_fma_f64 v[21:22], v[36:37], v[52:53], v[21:22]
	v_fma_f64 v[23:24], v[46:47], v[54:55], v[23:24]
	v_fma_f64 v[21:22], v[38:39], v[54:55], v[21:22]
	v_fma_f64 v[23:24], v[40:41], v[48:49], v[23:24]
	v_fma_f64 v[21:22], v[32:33], v[48:49], v[21:22]
	v_fma_f64 v[28:29], v[42:43], v[50:51], v[23:24]
	v_fma_f64 v[56:57], v[34:35], v[50:51], v[21:22]
	global_load_dwordx4 v[21:24], v[13:14], off offset:112
	global_load_dwordx4 v[32:35], v[13:14], off offset:96
	;; [unrolled: 1-line block ×4, first 2 shown]
	s_waitcnt vmcnt(2)
	v_fma_f64 v[17:18], v[32:33], v[52:53], v[17:18]
	s_waitcnt vmcnt(0)
	v_fma_f64 v[19:20], v[40:41], v[52:53], v[19:20]
	v_fma_f64 v[17:18], v[34:35], v[54:55], v[17:18]
	;; [unrolled: 1-line block ×6, first 2 shown]
	global_load_dword v17, v[25:26], off offset:-128
	v_fma_f64 v[58:59], v[38:39], v[50:51], v[19:20]
	v_add_co_u32_e32 v50, vcc, s17, v13
	v_addc_co_u32_e32 v51, vcc, 0, v14, vcc
	v_add_co_u32_e32 v52, vcc, s18, v13
	v_addc_co_u32_e32 v53, vcc, 0, v14, vcc
	s_waitcnt vmcnt(0)
	v_subrev_u32_e32 v17, s16, v17
	v_lshlrev_b32_e32 v40, 2, v17
	v_ashrrev_i32_e32 v41, 31, v40
	v_lshlrev_b64 v[40:41], 3, v[40:41]
	global_load_dwordx4 v[17:20], v[52:53], off offset:-4096
	global_load_dwordx4 v[21:24], v[50:51], off offset:48
	global_load_dwordx4 v[32:35], v[50:51], off offset:32
	global_load_dwordx4 v[36:39], v[50:51], off offset:16
	v_add_co_u32_e32 v54, vcc, s8, v40
	v_addc_co_u32_e32 v55, vcc, v27, v41, vcc
	global_load_dwordx4 v[40:43], v[54:55], off offset:16
	global_load_dwordx4 v[44:47], v[54:55], off
	s_waitcnt vmcnt(0)
	v_fma_f64 v[17:18], v[17:18], v[44:45], v[28:29]
	v_fma_f64 v[17:18], v[19:20], v[46:47], v[17:18]
	;; [unrolled: 1-line block ×8, first 2 shown]
	global_load_dwordx4 v[17:20], v[50:51], off offset:112
	global_load_dwordx4 v[21:24], v[50:51], off offset:96
	;; [unrolled: 1-line block ×4, first 2 shown]
	s_waitcnt vmcnt(2)
	v_fma_f64 v[21:22], v[21:22], v[44:45], v[48:49]
	s_waitcnt vmcnt(0)
	v_fma_f64 v[36:37], v[36:37], v[44:45], v[58:59]
	v_fma_f64 v[21:22], v[23:24], v[46:47], v[21:22]
	;; [unrolled: 1-line block ×6, first 2 shown]
	global_load_dword v17, v[25:26], off
	v_fma_f64 v[50:51], v[34:35], v[42:43], v[32:33]
	s_waitcnt vmcnt(0)
	v_subrev_u32_e32 v17, s16, v17
	v_lshlrev_b32_e32 v40, 2, v17
	v_ashrrev_i32_e32 v41, 31, v40
	v_lshlrev_b64 v[40:41], 3, v[40:41]
	global_load_dwordx4 v[17:20], v[52:53], off
	global_load_dwordx4 v[21:24], v[52:53], off offset:48
	global_load_dwordx4 v[32:35], v[52:53], off offset:32
	;; [unrolled: 1-line block ×3, first 2 shown]
	v_add_co_u32_e32 v56, vcc, s8, v40
	v_addc_co_u32_e32 v57, vcc, v27, v41, vcc
	global_load_dwordx4 v[40:43], v[56:57], off offset:16
	global_load_dwordx4 v[44:47], v[56:57], off
	v_add_co_u32_e32 v58, vcc, s19, v13
	v_addc_co_u32_e32 v59, vcc, 0, v14, vcc
	s_waitcnt vmcnt(0)
	v_fma_f64 v[17:18], v[17:18], v[44:45], v[28:29]
	v_fma_f64 v[17:18], v[19:20], v[46:47], v[17:18]
	;; [unrolled: 1-line block ×8, first 2 shown]
	global_load_dwordx4 v[17:20], v[52:53], off offset:112
	global_load_dwordx4 v[21:24], v[52:53], off offset:96
	;; [unrolled: 1-line block ×4, first 2 shown]
	s_waitcnt vmcnt(2)
	v_fma_f64 v[21:22], v[21:22], v[44:45], v[48:49]
	s_waitcnt vmcnt(0)
	v_fma_f64 v[36:37], v[36:37], v[44:45], v[50:51]
	v_fma_f64 v[21:22], v[23:24], v[46:47], v[21:22]
	;; [unrolled: 1-line block ×6, first 2 shown]
	global_load_dword v17, v[25:26], off offset:128
	v_fma_f64 v[52:53], v[34:35], v[42:43], v[32:33]
	s_waitcnt vmcnt(0)
	v_subrev_u32_e32 v17, s16, v17
	v_lshlrev_b32_e32 v40, 2, v17
	v_ashrrev_i32_e32 v41, 31, v40
	v_lshlrev_b64 v[40:41], 3, v[40:41]
	global_load_dwordx4 v[17:20], v[58:59], off
	global_load_dwordx4 v[32:35], v[58:59], off offset:48
	global_load_dwordx4 v[36:39], v[58:59], off offset:32
	;; [unrolled: 1-line block ×3, first 2 shown]
	v_add_co_u32_e32 v48, vcc, s8, v40
	v_addc_co_u32_e32 v49, vcc, v27, v41, vcc
	global_load_dwordx4 v[40:43], v[48:49], off offset:16
	global_load_dwordx4 v[44:47], v[48:49], off
	v_add_co_u32_e32 v15, vcc, 0x80, v15
	v_addc_co_u32_e32 v16, vcc, 0, v16, vcc
	v_add_co_u32_e32 v25, vcc, 0x200, v25
	v_addc_co_u32_e32 v26, vcc, 0, v26, vcc
	v_cmp_ge_i64_e64 s[2:3], v[15:16], v[4:5]
	v_add_co_u32_e32 v13, vcc, 0x4000, v13
	v_addc_co_u32_e32 v14, vcc, 0, v14, vcc
	s_or_b64 s[14:15], s[2:3], s[14:15]
	s_waitcnt vmcnt(0)
	v_fma_f64 v[17:18], v[17:18], v[44:45], v[28:29]
	v_fma_f64 v[17:18], v[19:20], v[46:47], v[17:18]
	;; [unrolled: 1-line block ×8, first 2 shown]
	global_load_dwordx4 v[32:35], v[58:59], off offset:112
	global_load_dwordx4 v[36:39], v[58:59], off offset:96
	;; [unrolled: 1-line block ×4, first 2 shown]
	s_waitcnt vmcnt(0)
	v_fma_f64 v[28:29], v[48:49], v[44:45], v[52:53]
	v_fma_f64 v[28:29], v[50:51], v[46:47], v[28:29]
	v_fma_f64 v[17:18], v[17:18], v[40:41], v[28:29]
	v_fma_f64 v[19:20], v[19:20], v[42:43], v[17:18]
	v_fma_f64 v[17:18], v[36:37], v[44:45], v[56:57]
	v_fma_f64 v[17:18], v[38:39], v[46:47], v[17:18]
	v_fma_f64 v[17:18], v[32:33], v[40:41], v[17:18]
	v_fma_f64 v[17:18], v[34:35], v[42:43], v[17:18]
	s_andn2_b64 exec, exec, s[14:15]
	s_cbranch_execnz .LBB28_21
; %bb.22:
	s_or_b64 exec, exec, s[14:15]
.LBB28_23:
	s_or_b64 exec, exec, s[6:7]
.LBB28_24:
	s_or_b64 exec, exec, s[10:11]
	s_cbranch_execz .LBB28_26
	s_branch .LBB28_37
.LBB28_25:
                                        ; implicit-def: $vgpr17_vgpr18
                                        ; implicit-def: $vgpr19_vgpr20
                                        ; implicit-def: $vgpr21_vgpr22
                                        ; implicit-def: $vgpr23_vgpr24
.LBB28_26:
	v_mov_b32_e32 v17, 0
	v_mov_b32_e32 v19, 0
	;; [unrolled: 1-line block ×8, first 2 shown]
	s_and_saveexec_b64 s[2:3], s[0:1]
	s_cbranch_execz .LBB28_36
; %bb.27:
	v_or_b32_e32 v13, 32, v31
	v_subrev_co_u32_e32 v13, vcc, s16, v13
	v_subb_co_u32_e64 v14, s[0:1], 0, 0, vcc
	v_add_co_u32_e32 v13, vcc, v13, v11
	v_addc_co_u32_e32 v14, vcc, v14, v12, vcc
	v_cmp_gt_i64_e32 vcc, v[13:14], v[4:5]
	v_not_b32_e32 v11, v11
	v_cndmask_b32_e32 v14, v5, v14, vcc
	v_cndmask_b32_e32 v13, v4, v13, vcc
	v_sub_co_u32_e32 v15, vcc, s16, v31
	v_not_b32_e32 v12, v12
	v_subb_co_u32_e64 v16, s[0:1], 0, 0, vcc
	v_add_co_u32_e32 v11, vcc, v15, v11
	v_addc_co_u32_e32 v12, vcc, v16, v12, vcc
	v_add_co_u32_e32 v11, vcc, v11, v13
	v_addc_co_u32_e32 v12, vcc, v12, v14, vcc
	v_and_b32_e32 v13, 0x60, v11
	v_mov_b32_e32 v14, 0
	s_mov_b64 s[0:1], 0x60
	v_cmp_ne_u64_e32 vcc, s[0:1], v[13:14]
	v_mov_b32_e32 v23, 0
	v_mov_b32_e32 v21, 0
	;; [unrolled: 1-line block ×8, first 2 shown]
	s_and_saveexec_b64 s[0:1], vcc
	s_cbranch_execz .LBB28_31
; %bb.28:
	v_lshrrev_b32_e32 v13, 5, v11
	v_add_u32_e32 v13, 1, v13
	v_and_b32_e32 v15, 3, v13
	v_lshlrev_b64 v[13:14], 2, v[0:1]
	v_mov_b32_e32 v16, s13
	v_add_co_u32_e32 v13, vcc, s12, v13
	v_addc_co_u32_e32 v14, vcc, v16, v14, vcc
	v_sub_co_u32_e32 v15, vcc, 0, v15
	v_subb_co_u32_e64 v16, s[10:11], 0, 0, vcc
	v_mov_b32_e32 v17, 0
	v_mov_b32_e32 v19, 0
	v_mov_b32_e32 v21, 0
	v_mov_b32_e32 v23, 0
	s_mov_b64 s[6:7], 0
	v_mov_b32_e32 v18, 0
	s_movk_i32 s10, 0x1000
	v_mov_b32_e32 v20, 0
	v_mov_b32_e32 v22, 0
	;; [unrolled: 1-line block ×3, first 2 shown]
	s_waitcnt lgkmcnt(0)
	v_mov_b32_e32 v25, s9
.LBB28_29:                              ; =>This Inner Loop Header: Depth=1
	global_load_dword v26, v[13:14], off
	s_waitcnt vmcnt(0)
	v_subrev_u32_e32 v26, s16, v26
	v_lshlrev_b32_e32 v44, 2, v26
	v_ashrrev_i32_e32 v45, 31, v44
	v_lshlrev_b64 v[44:45], 3, v[44:45]
	global_load_dwordx4 v[26:29], v[6:7], off offset:48
	global_load_dwordx4 v[32:35], v[6:7], off offset:32
	;; [unrolled: 1-line block ×3, first 2 shown]
	global_load_dwordx4 v[40:43], v[6:7], off
	v_add_co_u32_e32 v52, vcc, s8, v44
	v_addc_co_u32_e32 v53, vcc, v25, v45, vcc
	global_load_dwordx4 v[44:47], v[52:53], off offset:16
	global_load_dwordx4 v[48:51], v[52:53], off
	s_waitcnt vmcnt(0)
	v_fma_f64 v[23:24], v[40:41], v[48:49], v[23:24]
	v_fma_f64 v[21:22], v[42:43], v[48:49], v[21:22]
	;; [unrolled: 1-line block ×8, first 2 shown]
	global_load_dwordx4 v[26:29], v[6:7], off offset:112
	global_load_dwordx4 v[17:20], v[6:7], off offset:96
	;; [unrolled: 1-line block ×4, first 2 shown]
	v_add_co_u32_e32 v6, vcc, s10, v6
	v_addc_co_u32_e32 v7, vcc, 0, v7, vcc
	v_add_co_u32_e32 v0, vcc, 32, v0
	v_addc_co_u32_e32 v1, vcc, 0, v1, vcc
	;; [unrolled: 2-line block ×4, first 2 shown]
	v_cmp_eq_u64_e32 vcc, 0, v[15:16]
	s_or_b64 s[6:7], vcc, s[6:7]
	s_waitcnt vmcnt(0)
	v_fma_f64 v[32:33], v[32:33], v[44:45], v[36:37]
	v_fma_f64 v[34:35], v[34:35], v[44:45], v[38:39]
	;; [unrolled: 1-line block ×8, first 2 shown]
	s_andn2_b64 exec, exec, s[6:7]
	s_cbranch_execnz .LBB28_29
; %bb.30:
	s_or_b64 exec, exec, s[6:7]
.LBB28_31:
	s_or_b64 exec, exec, s[0:1]
	s_mov_b64 s[0:1], 0x5f
	v_cmp_lt_u64_e32 vcc, s[0:1], v[11:12]
	s_and_saveexec_b64 s[6:7], vcc
	s_cbranch_execz .LBB28_35
; %bb.32:
	v_lshlrev_b64 v[11:12], 2, v[0:1]
	v_mov_b32_e32 v13, s13
	v_add_co_u32_e32 v11, vcc, s12, v11
	v_addc_co_u32_e32 v12, vcc, v13, v12, vcc
	v_add_co_u32_e32 v11, vcc, 0x100, v11
	v_addc_co_u32_e32 v12, vcc, 0, v12, vcc
	s_mov_b64 s[10:11], 0
	s_waitcnt lgkmcnt(0)
	v_mov_b32_e32 v13, s9
	s_movk_i32 s9, 0x1000
	s_movk_i32 s12, 0x2000
	;; [unrolled: 1-line block ×3, first 2 shown]
.LBB28_33:                              ; =>This Inner Loop Header: Depth=1
	global_load_dword v14, v[11:12], off offset:-256
	global_load_dwordx4 v[25:28], v[6:7], off offset:48
	global_load_dwordx4 v[32:35], v[6:7], off offset:32
	;; [unrolled: 1-line block ×3, first 2 shown]
	global_load_dwordx4 v[40:43], v[6:7], off
	s_waitcnt vmcnt(4)
	v_subrev_u32_e32 v14, s16, v14
	v_lshlrev_b32_e32 v14, 2, v14
	v_ashrrev_i32_e32 v15, 31, v14
	v_lshlrev_b64 v[14:15], 3, v[14:15]
	v_add_co_u32_e32 v14, vcc, s8, v14
	v_addc_co_u32_e32 v15, vcc, v13, v15, vcc
	global_load_dwordx4 v[44:47], v[14:15], off offset:16
	global_load_dwordx4 v[48:51], v[14:15], off
	s_waitcnt vmcnt(0)
	v_fma_f64 v[14:15], v[40:41], v[48:49], v[23:24]
	v_fma_f64 v[21:22], v[42:43], v[48:49], v[21:22]
	;; [unrolled: 1-line block ×4, first 2 shown]
	v_add_co_u32_e32 v48, vcc, s9, v6
	v_addc_co_u32_e32 v49, vcc, 0, v7, vcc
	v_fma_f64 v[32:33], v[32:33], v[50:51], v[14:15]
	v_fma_f64 v[34:35], v[34:35], v[50:51], v[21:22]
	v_fma_f64 v[36:37], v[25:26], v[50:51], v[19:20]
	v_fma_f64 v[38:39], v[27:28], v[50:51], v[16:17]
	global_load_dwordx4 v[14:17], v[6:7], off offset:112
	global_load_dwordx4 v[18:21], v[6:7], off offset:96
	;; [unrolled: 1-line block ×4, first 2 shown]
	v_add_co_u32_e32 v50, vcc, s12, v6
	v_addc_co_u32_e32 v51, vcc, 0, v7, vcc
	s_waitcnt vmcnt(1)
	v_fma_f64 v[22:23], v[22:23], v[44:45], v[36:37]
	s_waitcnt vmcnt(0)
	v_fma_f64 v[26:27], v[26:27], v[44:45], v[32:33]
	v_fma_f64 v[28:29], v[28:29], v[44:45], v[34:35]
	;; [unrolled: 1-line block ×4, first 2 shown]
	global_load_dword v14, v[11:12], off offset:-128
	v_fma_f64 v[40:41], v[18:19], v[46:47], v[26:27]
	v_fma_f64 v[42:43], v[20:21], v[46:47], v[28:29]
	;; [unrolled: 1-line block ×3, first 2 shown]
	s_waitcnt vmcnt(0)
	v_subrev_u32_e32 v14, s16, v14
	v_lshlrev_b32_e32 v32, 2, v14
	v_ashrrev_i32_e32 v33, 31, v32
	v_lshlrev_b64 v[32:33], 3, v[32:33]
	global_load_dwordx4 v[14:17], v[50:51], off offset:-4096
	global_load_dwordx4 v[18:21], v[48:49], off offset:48
	global_load_dwordx4 v[22:25], v[48:49], off offset:32
	;; [unrolled: 1-line block ×3, first 2 shown]
	v_add_co_u32_e32 v52, vcc, s8, v32
	v_addc_co_u32_e32 v53, vcc, v13, v33, vcc
	global_load_dwordx4 v[32:35], v[52:53], off offset:16
	global_load_dwordx4 v[36:39], v[52:53], off
	s_waitcnt vmcnt(0)
	v_fma_f64 v[14:15], v[14:15], v[36:37], v[40:41]
	v_fma_f64 v[16:17], v[16:17], v[36:37], v[42:43]
	;; [unrolled: 1-line block ×8, first 2 shown]
	global_load_dwordx4 v[14:17], v[48:49], off offset:112
	global_load_dwordx4 v[18:21], v[48:49], off offset:96
	;; [unrolled: 1-line block ×4, first 2 shown]
	s_waitcnt vmcnt(1)
	v_fma_f64 v[22:23], v[22:23], v[32:33], v[42:43]
	s_waitcnt vmcnt(0)
	v_fma_f64 v[26:27], v[26:27], v[32:33], v[36:37]
	v_fma_f64 v[28:29], v[28:29], v[32:33], v[40:41]
	;; [unrolled: 1-line block ×4, first 2 shown]
	global_load_dword v14, v[11:12], off
	v_fma_f64 v[40:41], v[18:19], v[34:35], v[26:27]
	v_fma_f64 v[42:43], v[20:21], v[34:35], v[28:29]
	;; [unrolled: 1-line block ×3, first 2 shown]
	s_waitcnt vmcnt(0)
	v_subrev_u32_e32 v14, s16, v14
	v_lshlrev_b32_e32 v32, 2, v14
	v_ashrrev_i32_e32 v33, 31, v32
	v_lshlrev_b64 v[32:33], 3, v[32:33]
	global_load_dwordx4 v[14:17], v[50:51], off
	global_load_dwordx4 v[18:21], v[50:51], off offset:48
	global_load_dwordx4 v[22:25], v[50:51], off offset:32
	;; [unrolled: 1-line block ×3, first 2 shown]
	v_add_co_u32_e32 v48, vcc, s8, v32
	v_addc_co_u32_e32 v49, vcc, v13, v33, vcc
	global_load_dwordx4 v[32:35], v[48:49], off offset:16
	global_load_dwordx4 v[36:39], v[48:49], off
	v_add_co_u32_e32 v48, vcc, s13, v6
	v_addc_co_u32_e32 v49, vcc, 0, v7, vcc
	s_waitcnt vmcnt(0)
	v_fma_f64 v[14:15], v[14:15], v[36:37], v[40:41]
	v_fma_f64 v[16:17], v[16:17], v[36:37], v[42:43]
	;; [unrolled: 1-line block ×8, first 2 shown]
	global_load_dwordx4 v[14:17], v[50:51], off offset:112
	global_load_dwordx4 v[18:21], v[50:51], off offset:96
	global_load_dwordx4 v[22:25], v[50:51], off offset:80
	global_load_dwordx4 v[26:29], v[50:51], off offset:64
	s_waitcnt vmcnt(1)
	v_fma_f64 v[22:23], v[22:23], v[32:33], v[42:43]
	s_waitcnt vmcnt(0)
	v_fma_f64 v[26:27], v[26:27], v[32:33], v[36:37]
	v_fma_f64 v[28:29], v[28:29], v[32:33], v[40:41]
	;; [unrolled: 1-line block ×4, first 2 shown]
	global_load_dword v14, v[11:12], off offset:128
	v_fma_f64 v[40:41], v[18:19], v[34:35], v[26:27]
	v_fma_f64 v[42:43], v[20:21], v[34:35], v[28:29]
	;; [unrolled: 1-line block ×3, first 2 shown]
	s_waitcnt vmcnt(0)
	v_subrev_u32_e32 v14, s16, v14
	v_lshlrev_b32_e32 v32, 2, v14
	v_ashrrev_i32_e32 v33, 31, v32
	v_lshlrev_b64 v[32:33], 3, v[32:33]
	global_load_dwordx4 v[14:17], v[48:49], off
	global_load_dwordx4 v[18:21], v[48:49], off offset:48
	global_load_dwordx4 v[22:25], v[48:49], off offset:32
	;; [unrolled: 1-line block ×3, first 2 shown]
	v_add_co_u32_e32 v50, vcc, s8, v32
	v_addc_co_u32_e32 v51, vcc, v13, v33, vcc
	global_load_dwordx4 v[32:35], v[50:51], off offset:16
	global_load_dwordx4 v[36:39], v[50:51], off
	v_add_co_u32_e32 v0, vcc, 0x80, v0
	v_addc_co_u32_e32 v1, vcc, 0, v1, vcc
	v_add_co_u32_e32 v11, vcc, 0x200, v11
	v_addc_co_u32_e32 v12, vcc, 0, v12, vcc
	v_cmp_ge_i64_e64 s[0:1], v[0:1], v[4:5]
	v_add_co_u32_e32 v6, vcc, 0x4000, v6
	v_addc_co_u32_e32 v7, vcc, 0, v7, vcc
	s_or_b64 s[10:11], s[0:1], s[10:11]
	s_waitcnt vmcnt(0)
	v_fma_f64 v[14:15], v[14:15], v[36:37], v[40:41]
	v_fma_f64 v[16:17], v[16:17], v[36:37], v[42:43]
	;; [unrolled: 1-line block ×8, first 2 shown]
	global_load_dwordx4 v[14:17], v[48:49], off offset:112
	global_load_dwordx4 v[18:21], v[48:49], off offset:96
	;; [unrolled: 1-line block ×4, first 2 shown]
	s_waitcnt vmcnt(0)
	v_fma_f64 v[26:27], v[26:27], v[32:33], v[36:37]
	v_fma_f64 v[28:29], v[28:29], v[32:33], v[40:41]
	;; [unrolled: 1-line block ×8, first 2 shown]
	s_andn2_b64 exec, exec, s[10:11]
	s_cbranch_execnz .LBB28_33
; %bb.34:
	s_or_b64 exec, exec, s[10:11]
.LBB28_35:
	s_or_b64 exec, exec, s[6:7]
.LBB28_36:
	s_or_b64 exec, exec, s[2:3]
.LBB28_37:
	v_mov_b32_dpp v0, v23 row_shr:1 row_mask:0xf bank_mask:0xf
	v_mov_b32_dpp v1, v24 row_shr:1 row_mask:0xf bank_mask:0xf
	v_add_f64 v[0:1], v[23:24], v[0:1]
	v_mov_b32_dpp v4, v21 row_shr:1 row_mask:0xf bank_mask:0xf
	v_mov_b32_dpp v5, v22 row_shr:1 row_mask:0xf bank_mask:0xf
	;; [unrolled: 1-line block ×3, first 2 shown]
	v_add_f64 v[4:5], v[21:22], v[4:5]
	v_mov_b32_dpp v7, v20 row_shr:1 row_mask:0xf bank_mask:0xf
	v_add_f64 v[6:7], v[19:20], v[6:7]
	v_cmp_eq_u32_e32 vcc, 31, v31
	v_mov_b32_dpp v11, v0 row_shr:2 row_mask:0xf bank_mask:0xf
	v_mov_b32_dpp v12, v1 row_shr:2 row_mask:0xf bank_mask:0xf
	v_add_f64 v[0:1], v[0:1], v[11:12]
	v_mov_b32_dpp v11, v17 row_shr:1 row_mask:0xf bank_mask:0xf
	v_mov_b32_dpp v12, v18 row_shr:1 row_mask:0xf bank_mask:0xf
	v_add_f64 v[11:12], v[17:18], v[11:12]
	v_mov_b32_dpp v13, v4 row_shr:2 row_mask:0xf bank_mask:0xf
	v_mov_b32_dpp v14, v5 row_shr:2 row_mask:0xf bank_mask:0xf
	v_add_f64 v[4:5], v[4:5], v[13:14]
	v_mov_b32_dpp v15, v0 row_shr:4 row_mask:0xf bank_mask:0xe
	v_mov_b32_dpp v16, v1 row_shr:4 row_mask:0xf bank_mask:0xe
	v_add_f64 v[0:1], v[0:1], v[15:16]
	v_mov_b32_dpp v15, v6 row_shr:2 row_mask:0xf bank_mask:0xf
	v_mov_b32_dpp v16, v7 row_shr:2 row_mask:0xf bank_mask:0xf
	;; [unrolled: 1-line block ×3, first 2 shown]
	v_add_f64 v[6:7], v[6:7], v[15:16]
	v_mov_b32_dpp v14, v12 row_shr:2 row_mask:0xf bank_mask:0xf
	v_add_f64 v[11:12], v[11:12], v[13:14]
	v_mov_b32_dpp v15, v4 row_shr:4 row_mask:0xf bank_mask:0xe
	v_mov_b32_dpp v16, v5 row_shr:4 row_mask:0xf bank_mask:0xe
	v_add_f64 v[4:5], v[4:5], v[15:16]
	v_mov_b32_dpp v13, v0 row_shr:8 row_mask:0xf bank_mask:0xc
	v_mov_b32_dpp v14, v1 row_shr:8 row_mask:0xf bank_mask:0xc
	;; [unrolled: 1-line block ×4, first 2 shown]
	v_add_f64 v[6:7], v[6:7], v[15:16]
	v_mov_b32_dpp v15, v11 row_shr:4 row_mask:0xf bank_mask:0xe
	v_mov_b32_dpp v16, v12 row_shr:4 row_mask:0xf bank_mask:0xe
	v_add_f64 v[11:12], v[11:12], v[15:16]
	v_add_f64 v[0:1], v[0:1], v[13:14]
	v_mov_b32_dpp v13, v4 row_shr:8 row_mask:0xf bank_mask:0xc
	v_mov_b32_dpp v14, v5 row_shr:8 row_mask:0xf bank_mask:0xc
	v_add_f64 v[4:5], v[4:5], v[13:14]
	v_mov_b32_dpp v13, v6 row_shr:8 row_mask:0xf bank_mask:0xc
	v_mov_b32_dpp v14, v7 row_shr:8 row_mask:0xf bank_mask:0xc
	;; [unrolled: 3-line block ×3, first 2 shown]
	v_add_f64 v[11:12], v[11:12], v[13:14]
	v_mov_b32_dpp v19, v0 row_bcast:15 row_mask:0xa bank_mask:0xf
	v_mov_b32_dpp v20, v1 row_bcast:15 row_mask:0xa bank_mask:0xf
	;; [unrolled: 1-line block ×8, first 2 shown]
	s_and_b64 exec, exec, vcc
	s_cbranch_execz .LBB28_10
; %bb.38:
	v_add_f64 v[0:1], v[0:1], v[19:20]
	v_add_f64 v[17:18], v[4:5], v[17:18]
	v_add_f64 v[15:16], v[6:7], v[15:16]
	v_add_f64 v[11:12], v[11:12], v[13:14]
	v_cmp_eq_f64_e32 vcc, 0, v[8:9]
	s_load_dwordx2 s[0:1], s[4:5], 0x50
	v_lshlrev_b32_e32 v10, 2, v10
	v_mul_f64 v[4:5], v[2:3], v[0:1]
	v_mul_f64 v[6:7], v[2:3], v[17:18]
	;; [unrolled: 1-line block ×4, first 2 shown]
	s_and_saveexec_b64 s[2:3], vcc
	s_xor_b64 s[2:3], exec, s[2:3]
	s_cbranch_execz .LBB28_40
; %bb.39:
	v_ashrrev_i32_e32 v11, 31, v10
	v_lshlrev_b64 v[8:9], 3, v[10:11]
	s_waitcnt lgkmcnt(0)
	v_mov_b32_e32 v10, s1
	v_add_co_u32_e32 v8, vcc, s0, v8
	v_addc_co_u32_e32 v9, vcc, v10, v9, vcc
	global_store_dwordx4 v[8:9], v[4:7], off
	global_store_dwordx4 v[8:9], v[0:3], off offset:16
                                        ; implicit-def: $vgpr10
                                        ; implicit-def: $vgpr8_vgpr9
                                        ; implicit-def: $vgpr4_vgpr5
                                        ; implicit-def: $vgpr0_vgpr1
.LBB28_40:
	s_andn2_saveexec_b64 s[2:3], s[2:3]
	s_cbranch_execz .LBB28_10
; %bb.41:
	v_ashrrev_i32_e32 v11, 31, v10
	v_lshlrev_b64 v[10:11], 3, v[10:11]
	s_waitcnt lgkmcnt(0)
	v_mov_b32_e32 v12, s1
	v_add_co_u32_e32 v18, vcc, s0, v10
	v_addc_co_u32_e32 v19, vcc, v12, v11, vcc
	global_load_dwordx4 v[10:13], v[18:19], off
	global_load_dwordx4 v[14:17], v[18:19], off offset:16
	s_waitcnt vmcnt(1)
	v_fma_f64 v[4:5], v[8:9], v[10:11], v[4:5]
	v_fma_f64 v[6:7], v[8:9], v[12:13], v[6:7]
	s_waitcnt vmcnt(0)
	v_fma_f64 v[0:1], v[8:9], v[14:15], v[0:1]
	v_fma_f64 v[2:3], v[8:9], v[16:17], v[2:3]
	global_store_dwordx4 v[18:19], v[4:7], off
	global_store_dwordx4 v[18:19], v[0:3], off offset:16
	s_endpgm
	.section	.rodata,"a",@progbits
	.p2align	6, 0x0
	.amdhsa_kernel _ZN9rocsparseL18bsrxmvn_4x4_kernelILj128ELj32EdlidddEEvT3_20rocsparse_direction_NS_24const_host_device_scalarIT1_EES1_PKS1_PKT2_SA_S7_PKT4_PKT5_S5_PT6_21rocsparse_index_base_b
		.amdhsa_group_segment_fixed_size 0
		.amdhsa_private_segment_fixed_size 0
		.amdhsa_kernarg_size 96
		.amdhsa_user_sgpr_count 6
		.amdhsa_user_sgpr_private_segment_buffer 1
		.amdhsa_user_sgpr_dispatch_ptr 0
		.amdhsa_user_sgpr_queue_ptr 0
		.amdhsa_user_sgpr_kernarg_segment_ptr 1
		.amdhsa_user_sgpr_dispatch_id 0
		.amdhsa_user_sgpr_flat_scratch_init 0
		.amdhsa_user_sgpr_private_segment_size 0
		.amdhsa_uses_dynamic_stack 0
		.amdhsa_system_sgpr_private_segment_wavefront_offset 0
		.amdhsa_system_sgpr_workgroup_id_x 1
		.amdhsa_system_sgpr_workgroup_id_y 0
		.amdhsa_system_sgpr_workgroup_id_z 0
		.amdhsa_system_sgpr_workgroup_info 0
		.amdhsa_system_vgpr_workitem_id 0
		.amdhsa_next_free_vgpr 60
		.amdhsa_next_free_sgpr 20
		.amdhsa_reserve_vcc 1
		.amdhsa_reserve_flat_scratch 0
		.amdhsa_float_round_mode_32 0
		.amdhsa_float_round_mode_16_64 0
		.amdhsa_float_denorm_mode_32 3
		.amdhsa_float_denorm_mode_16_64 3
		.amdhsa_dx10_clamp 1
		.amdhsa_ieee_mode 1
		.amdhsa_fp16_overflow 0
		.amdhsa_exception_fp_ieee_invalid_op 0
		.amdhsa_exception_fp_denorm_src 0
		.amdhsa_exception_fp_ieee_div_zero 0
		.amdhsa_exception_fp_ieee_overflow 0
		.amdhsa_exception_fp_ieee_underflow 0
		.amdhsa_exception_fp_ieee_inexact 0
		.amdhsa_exception_int_div_zero 0
	.end_amdhsa_kernel
	.section	.text._ZN9rocsparseL18bsrxmvn_4x4_kernelILj128ELj32EdlidddEEvT3_20rocsparse_direction_NS_24const_host_device_scalarIT1_EES1_PKS1_PKT2_SA_S7_PKT4_PKT5_S5_PT6_21rocsparse_index_base_b,"axG",@progbits,_ZN9rocsparseL18bsrxmvn_4x4_kernelILj128ELj32EdlidddEEvT3_20rocsparse_direction_NS_24const_host_device_scalarIT1_EES1_PKS1_PKT2_SA_S7_PKT4_PKT5_S5_PT6_21rocsparse_index_base_b,comdat
.Lfunc_end28:
	.size	_ZN9rocsparseL18bsrxmvn_4x4_kernelILj128ELj32EdlidddEEvT3_20rocsparse_direction_NS_24const_host_device_scalarIT1_EES1_PKS1_PKT2_SA_S7_PKT4_PKT5_S5_PT6_21rocsparse_index_base_b, .Lfunc_end28-_ZN9rocsparseL18bsrxmvn_4x4_kernelILj128ELj32EdlidddEEvT3_20rocsparse_direction_NS_24const_host_device_scalarIT1_EES1_PKS1_PKT2_SA_S7_PKT4_PKT5_S5_PT6_21rocsparse_index_base_b
                                        ; -- End function
	.set _ZN9rocsparseL18bsrxmvn_4x4_kernelILj128ELj32EdlidddEEvT3_20rocsparse_direction_NS_24const_host_device_scalarIT1_EES1_PKS1_PKT2_SA_S7_PKT4_PKT5_S5_PT6_21rocsparse_index_base_b.num_vgpr, 60
	.set _ZN9rocsparseL18bsrxmvn_4x4_kernelILj128ELj32EdlidddEEvT3_20rocsparse_direction_NS_24const_host_device_scalarIT1_EES1_PKS1_PKT2_SA_S7_PKT4_PKT5_S5_PT6_21rocsparse_index_base_b.num_agpr, 0
	.set _ZN9rocsparseL18bsrxmvn_4x4_kernelILj128ELj32EdlidddEEvT3_20rocsparse_direction_NS_24const_host_device_scalarIT1_EES1_PKS1_PKT2_SA_S7_PKT4_PKT5_S5_PT6_21rocsparse_index_base_b.numbered_sgpr, 20
	.set _ZN9rocsparseL18bsrxmvn_4x4_kernelILj128ELj32EdlidddEEvT3_20rocsparse_direction_NS_24const_host_device_scalarIT1_EES1_PKS1_PKT2_SA_S7_PKT4_PKT5_S5_PT6_21rocsparse_index_base_b.num_named_barrier, 0
	.set _ZN9rocsparseL18bsrxmvn_4x4_kernelILj128ELj32EdlidddEEvT3_20rocsparse_direction_NS_24const_host_device_scalarIT1_EES1_PKS1_PKT2_SA_S7_PKT4_PKT5_S5_PT6_21rocsparse_index_base_b.private_seg_size, 0
	.set _ZN9rocsparseL18bsrxmvn_4x4_kernelILj128ELj32EdlidddEEvT3_20rocsparse_direction_NS_24const_host_device_scalarIT1_EES1_PKS1_PKT2_SA_S7_PKT4_PKT5_S5_PT6_21rocsparse_index_base_b.uses_vcc, 1
	.set _ZN9rocsparseL18bsrxmvn_4x4_kernelILj128ELj32EdlidddEEvT3_20rocsparse_direction_NS_24const_host_device_scalarIT1_EES1_PKS1_PKT2_SA_S7_PKT4_PKT5_S5_PT6_21rocsparse_index_base_b.uses_flat_scratch, 0
	.set _ZN9rocsparseL18bsrxmvn_4x4_kernelILj128ELj32EdlidddEEvT3_20rocsparse_direction_NS_24const_host_device_scalarIT1_EES1_PKS1_PKT2_SA_S7_PKT4_PKT5_S5_PT6_21rocsparse_index_base_b.has_dyn_sized_stack, 0
	.set _ZN9rocsparseL18bsrxmvn_4x4_kernelILj128ELj32EdlidddEEvT3_20rocsparse_direction_NS_24const_host_device_scalarIT1_EES1_PKS1_PKT2_SA_S7_PKT4_PKT5_S5_PT6_21rocsparse_index_base_b.has_recursion, 0
	.set _ZN9rocsparseL18bsrxmvn_4x4_kernelILj128ELj32EdlidddEEvT3_20rocsparse_direction_NS_24const_host_device_scalarIT1_EES1_PKS1_PKT2_SA_S7_PKT4_PKT5_S5_PT6_21rocsparse_index_base_b.has_indirect_call, 0
	.section	.AMDGPU.csdata,"",@progbits
; Kernel info:
; codeLenInByte = 4824
; TotalNumSgprs: 24
; NumVgprs: 60
; ScratchSize: 0
; MemoryBound: 1
; FloatMode: 240
; IeeeMode: 1
; LDSByteSize: 0 bytes/workgroup (compile time only)
; SGPRBlocks: 2
; VGPRBlocks: 14
; NumSGPRsForWavesPerEU: 24
; NumVGPRsForWavesPerEU: 60
; Occupancy: 4
; WaveLimiterHint : 1
; COMPUTE_PGM_RSRC2:SCRATCH_EN: 0
; COMPUTE_PGM_RSRC2:USER_SGPR: 6
; COMPUTE_PGM_RSRC2:TRAP_HANDLER: 0
; COMPUTE_PGM_RSRC2:TGID_X_EN: 1
; COMPUTE_PGM_RSRC2:TGID_Y_EN: 0
; COMPUTE_PGM_RSRC2:TGID_Z_EN: 0
; COMPUTE_PGM_RSRC2:TIDIG_COMP_CNT: 0
	.section	.text._ZN9rocsparseL18bsrxmvn_4x4_kernelILj128ELj64EdlidddEEvT3_20rocsparse_direction_NS_24const_host_device_scalarIT1_EES1_PKS1_PKT2_SA_S7_PKT4_PKT5_S5_PT6_21rocsparse_index_base_b,"axG",@progbits,_ZN9rocsparseL18bsrxmvn_4x4_kernelILj128ELj64EdlidddEEvT3_20rocsparse_direction_NS_24const_host_device_scalarIT1_EES1_PKS1_PKT2_SA_S7_PKT4_PKT5_S5_PT6_21rocsparse_index_base_b,comdat
	.globl	_ZN9rocsparseL18bsrxmvn_4x4_kernelILj128ELj64EdlidddEEvT3_20rocsparse_direction_NS_24const_host_device_scalarIT1_EES1_PKS1_PKT2_SA_S7_PKT4_PKT5_S5_PT6_21rocsparse_index_base_b ; -- Begin function _ZN9rocsparseL18bsrxmvn_4x4_kernelILj128ELj64EdlidddEEvT3_20rocsparse_direction_NS_24const_host_device_scalarIT1_EES1_PKS1_PKT2_SA_S7_PKT4_PKT5_S5_PT6_21rocsparse_index_base_b
	.p2align	8
	.type	_ZN9rocsparseL18bsrxmvn_4x4_kernelILj128ELj64EdlidddEEvT3_20rocsparse_direction_NS_24const_host_device_scalarIT1_EES1_PKS1_PKT2_SA_S7_PKT4_PKT5_S5_PT6_21rocsparse_index_base_b,@function
_ZN9rocsparseL18bsrxmvn_4x4_kernelILj128ELj64EdlidddEEvT3_20rocsparse_direction_NS_24const_host_device_scalarIT1_EES1_PKS1_PKT2_SA_S7_PKT4_PKT5_S5_PT6_21rocsparse_index_base_b: ; @_ZN9rocsparseL18bsrxmvn_4x4_kernelILj128ELj64EdlidddEEvT3_20rocsparse_direction_NS_24const_host_device_scalarIT1_EES1_PKS1_PKT2_SA_S7_PKT4_PKT5_S5_PT6_21rocsparse_index_base_b
; %bb.0:
	s_load_dwordx2 s[16:17], s[4:5], 0x58
	s_load_dwordx2 s[8:9], s[4:5], 0x8
	;; [unrolled: 1-line block ×3, first 2 shown]
	s_waitcnt lgkmcnt(0)
	s_bitcmp1_b32 s17, 0
	s_cselect_b64 s[10:11], -1, 0
	v_mov_b32_e32 v2, s8
	s_xor_b64 s[2:3], s[10:11], -1
	s_and_b64 vcc, exec, s[10:11]
	v_mov_b32_e32 v3, s9
	s_cbranch_vccnz .LBB29_2
; %bb.1:
	v_mov_b32_e32 v1, s8
	v_mov_b32_e32 v2, s9
	flat_load_dwordx2 v[2:3], v[1:2]
.LBB29_2:
	v_mov_b32_e32 v9, s1
	s_andn2_b64 vcc, exec, s[2:3]
	v_mov_b32_e32 v8, s0
	s_cbranch_vccnz .LBB29_4
; %bb.3:
	v_mov_b32_e32 v5, s1
	v_mov_b32_e32 v4, s0
	flat_load_dwordx2 v[8:9], v[4:5]
.LBB29_4:
	s_waitcnt vmcnt(0) lgkmcnt(0)
	v_cmp_neq_f64_e32 vcc, 0, v[2:3]
	v_cmp_neq_f64_e64 s[0:1], 1.0, v[8:9]
	s_mov_b64 s[2:3], 0
	s_or_b64 s[0:1], vcc, s[0:1]
	s_and_saveexec_b64 s[8:9], s[0:1]
	s_cbranch_execz .LBB29_10
; %bb.5:
	s_load_dwordx2 s[8:9], s[4:5], 0x18
	s_load_dwordx2 s[0:1], s[4:5], 0x0
	v_lshrrev_b32_e32 v1, 6, v0
	v_lshl_or_b32 v10, s6, 1, v1
	s_mov_b64 s[6:7], 0
	s_waitcnt lgkmcnt(0)
	s_cmp_lg_u64 s[8:9], 0
	s_cbranch_scc0 .LBB29_11
; %bb.6:
	s_load_dword s2, s[4:5], 0x10
                                        ; implicit-def: $vgpr1
	s_waitcnt lgkmcnt(0)
	v_cmp_gt_i32_e32 vcc, s2, v10
	s_and_saveexec_b64 s[2:3], vcc
	s_xor_b64 s[2:3], exec, s[2:3]
	s_cbranch_execz .LBB29_8
; %bb.7:
	v_ashrrev_i32_e32 v11, 31, v10
	v_lshlrev_b64 v[4:5], 2, v[10:11]
	v_mov_b32_e32 v1, s9
	v_add_co_u32_e32 v4, vcc, s8, v4
	v_addc_co_u32_e32 v5, vcc, v1, v5, vcc
	global_load_dword v1, v[4:5], off
	s_mov_b64 s[6:7], exec
	s_waitcnt vmcnt(0)
	v_subrev_u32_e32 v1, s16, v1
.LBB29_8:
	s_or_b64 exec, exec, s[2:3]
	s_mov_b64 s[2:3], s[6:7]
	s_branch .LBB29_12
.LBB29_9:
	v_cmp_gt_i32_e32 vcc, s0, v10
	s_andn2_b64 s[2:3], s[2:3], exec
	s_and_b64 s[6:7], vcc, exec
	s_or_b64 s[2:3], s[2:3], s[6:7]
	s_and_b64 exec, exec, s[2:3]
	s_cbranch_execnz .LBB29_13
.LBB29_10:
	s_endpgm
.LBB29_11:
                                        ; implicit-def: $vgpr1
	s_cbranch_execnz .LBB29_9
.LBB29_12:
	v_mov_b32_e32 v10, v1
	s_and_b64 exec, exec, s[2:3]
	s_cbranch_execz .LBB29_10
.LBB29_13:
	s_load_dwordx8 s[8:15], s[4:5], 0x20
	v_ashrrev_i32_e32 v11, 31, v10
	v_lshlrev_b64 v[4:5], 3, v[10:11]
	v_and_b32_e32 v31, 63, v0
	s_waitcnt lgkmcnt(0)
	v_mov_b32_e32 v1, s9
	v_add_co_u32_e32 v6, vcc, s8, v4
	v_addc_co_u32_e32 v7, vcc, v1, v5, vcc
	v_add_co_u32_e32 v1, vcc, 8, v6
	global_load_dwordx2 v[11:12], v[6:7], off
	v_addc_co_u32_e32 v6, vcc, 0, v7, vcc
	v_mov_b32_e32 v7, s11
	v_add_co_u32_e32 v4, vcc, s10, v4
	s_cmp_eq_u64 s[10:11], 0
	v_addc_co_u32_e32 v5, vcc, v7, v5, vcc
	s_cselect_b64 vcc, -1, 0
	v_cndmask_b32_e32 v5, v5, v6, vcc
	v_cndmask_b32_e32 v4, v4, v1, vcc
	global_load_dwordx2 v[4:5], v[4:5], off
	s_load_dwordx2 s[8:9], s[4:5], 0x40
	v_mov_b32_e32 v13, s15
	s_cmp_eq_u32 s1, 1
	s_waitcnt vmcnt(1)
	v_subrev_co_u32_e32 v0, vcc, s16, v11
	v_subbrev_co_u32_e32 v1, vcc, 0, v12, vcc
	v_add_co_u32_e32 v0, vcc, v0, v31
	v_addc_co_u32_e32 v1, vcc, 0, v1, vcc
	v_lshlrev_b64 v[6:7], 7, v[0:1]
	s_waitcnt vmcnt(0)
	v_subrev_co_u32_e32 v4, vcc, s16, v4
	v_subbrev_co_u32_e32 v5, vcc, 0, v5, vcc
	v_cmp_lt_i64_e64 s[0:1], v[0:1], v[4:5]
	v_add_co_u32_e32 v6, vcc, s14, v6
	v_addc_co_u32_e32 v7, vcc, v13, v7, vcc
	s_cbranch_scc1 .LBB29_25
; %bb.14:
	v_mov_b32_e32 v17, 0
	v_mov_b32_e32 v19, 0
	;; [unrolled: 1-line block ×8, first 2 shown]
	s_and_saveexec_b64 s[10:11], s[0:1]
	s_cbranch_execz .LBB29_24
; %bb.15:
	v_or_b32_e32 v13, 64, v31
	v_subrev_co_u32_e32 v13, vcc, s16, v13
	v_subb_co_u32_e64 v14, s[2:3], 0, 0, vcc
	v_add_co_u32_e32 v13, vcc, v13, v11
	v_addc_co_u32_e32 v14, vcc, v14, v12, vcc
	v_cmp_gt_i64_e32 vcc, v[13:14], v[4:5]
	v_not_b32_e32 v16, v11
	v_cndmask_b32_e32 v14, v5, v14, vcc
	v_cndmask_b32_e32 v13, v4, v13, vcc
	v_sub_co_u32_e32 v17, vcc, s16, v31
	v_not_b32_e32 v15, v12
	v_subb_co_u32_e64 v18, s[2:3], 0, 0, vcc
	v_add_co_u32_e32 v16, vcc, v17, v16
	v_addc_co_u32_e32 v15, vcc, v18, v15, vcc
	v_add_co_u32_e32 v25, vcc, v16, v13
	v_addc_co_u32_e32 v26, vcc, v15, v14, vcc
	v_and_b32_e32 v13, 0xc0, v25
	v_mov_b32_e32 v14, 0
	s_mov_b64 s[2:3], 0xc0
	v_cmp_ne_u64_e32 vcc, s[2:3], v[13:14]
	v_mov_b32_e32 v23, 0
	v_mov_b32_e32 v21, 0
	;; [unrolled: 1-line block ×12, first 2 shown]
	s_and_saveexec_b64 s[14:15], vcc
	s_cbranch_execz .LBB29_19
; %bb.16:
	v_lshrrev_b32_e32 v13, 6, v25
	v_add_u32_e32 v13, 1, v13
	v_and_b32_e32 v15, 3, v13
	v_lshlrev_b64 v[13:14], 2, v[0:1]
	v_mov_b32_e32 v16, s13
	v_add_co_u32_e32 v27, vcc, s12, v13
	v_addc_co_u32_e32 v28, vcc, v16, v14, vcc
	v_sub_co_u32_e32 v29, vcc, 0, v15
	v_mov_b32_e32 v17, 0
	v_mov_b32_e32 v14, v7
	;; [unrolled: 1-line block ×6, first 2 shown]
	s_mov_b64 s[18:19], 0
	v_subb_co_u32_e64 v30, s[2:3], 0, 0, vcc
	v_mov_b32_e32 v18, 0
	s_movk_i32 s17, 0x2000
	s_waitcnt lgkmcnt(0)
	v_mov_b32_e32 v32, s9
	v_mov_b32_e32 v13, v6
	;; [unrolled: 1-line block ×6, first 2 shown]
.LBB29_17:                              ; =>This Inner Loop Header: Depth=1
	global_load_dword v45, v[27:28], off
	global_load_dwordx4 v[33:36], v[13:14], off offset:32
	global_load_dwordx4 v[37:40], v[13:14], off
	global_load_dwordx4 v[41:44], v[13:14], off offset:64
	v_add_co_u32_e64 v29, s[6:7], 1, v29
	s_waitcnt vmcnt(3)
	v_subrev_u32_e32 v45, s16, v45
	v_lshlrev_b32_e32 v45, 2, v45
	v_ashrrev_i32_e32 v46, 31, v45
	v_lshlrev_b64 v[45:46], 3, v[45:46]
	v_add_co_u32_e32 v49, vcc, s8, v45
	v_addc_co_u32_e32 v50, vcc, v32, v46, vcc
	global_load_dwordx4 v[45:48], v[49:50], off
	s_waitcnt vmcnt(0)
	v_fma_f64 v[23:24], v[37:38], v[45:46], v[23:24]
	v_fma_f64 v[21:22], v[33:34], v[45:46], v[21:22]
	v_fma_f64 v[19:20], v[41:42], v[45:46], v[19:20]
	v_fma_f64 v[23:24], v[39:40], v[47:48], v[23:24]
	global_load_dwordx4 v[37:40], v[13:14], off offset:96
	v_fma_f64 v[51:52], v[35:36], v[47:48], v[21:22]
	global_load_dwordx4 v[33:36], v[13:14], off offset:48
	v_fma_f64 v[53:54], v[43:44], v[47:48], v[19:20]
	global_load_dwordx4 v[19:22], v[13:14], off offset:16
	s_waitcnt vmcnt(2)
	v_fma_f64 v[17:18], v[37:38], v[45:46], v[17:18]
	v_fma_f64 v[17:18], v[39:40], v[47:48], v[17:18]
	global_load_dwordx4 v[37:40], v[13:14], off offset:80
	global_load_dwordx4 v[41:44], v[13:14], off offset:112
	;; [unrolled: 1-line block ×3, first 2 shown]
	v_add_co_u32_e32 v13, vcc, s17, v13
	s_mov_b64 s[2:3], vcc
	v_add_co_u32_e32 v15, vcc, 64, v15
	v_addc_co_u32_e32 v16, vcc, 0, v16, vcc
	v_addc_co_u32_e64 v30, vcc, 0, v30, s[6:7]
	v_cmp_eq_u64_e64 s[6:7], 0, v[29:30]
	v_add_co_u32_e32 v27, vcc, 0x100, v27
	v_addc_co_u32_e64 v14, s[2:3], 0, v14, s[2:3]
	s_or_b64 s[18:19], s[6:7], s[18:19]
	v_addc_co_u32_e32 v28, vcc, 0, v28, vcc
	s_waitcnt vmcnt(0)
	v_fma_f64 v[19:20], v[19:20], v[45:46], v[23:24]
	v_fma_f64 v[33:34], v[33:34], v[45:46], v[51:52]
	;; [unrolled: 1-line block ×8, first 2 shown]
	s_andn2_b64 exec, exec, s[18:19]
	s_cbranch_execnz .LBB29_17
; %bb.18:
	s_or_b64 exec, exec, s[18:19]
.LBB29_19:
	s_or_b64 exec, exec, s[14:15]
	s_mov_b64 s[2:3], 0xbf
	v_cmp_lt_u64_e32 vcc, s[2:3], v[25:26]
	s_and_saveexec_b64 s[6:7], vcc
	s_cbranch_execz .LBB29_23
; %bb.20:
	v_lshlrev_b64 v[25:26], 2, v[15:16]
	v_mov_b32_e32 v27, s13
	v_add_co_u32_e32 v25, vcc, s12, v25
	v_addc_co_u32_e32 v26, vcc, v27, v26, vcc
	v_add_co_u32_e32 v25, vcc, 0x200, v25
	v_addc_co_u32_e32 v26, vcc, 0, v26, vcc
	s_mov_b64 s[14:15], 0
	s_waitcnt lgkmcnt(0)
	v_mov_b32_e32 v27, s9
	s_movk_i32 s17, 0x2000
	s_movk_i32 s18, 0x4000
	;; [unrolled: 1-line block ×3, first 2 shown]
.LBB29_21:                              ; =>This Inner Loop Header: Depth=1
	global_load_dword v28, v[25:26], off offset:-512
	global_load_dwordx4 v[32:35], v[13:14], off offset:48
	global_load_dwordx4 v[36:39], v[13:14], off offset:32
	;; [unrolled: 1-line block ×3, first 2 shown]
	global_load_dwordx4 v[44:47], v[13:14], off
	s_waitcnt vmcnt(4)
	v_subrev_u32_e32 v28, s16, v28
	v_lshlrev_b32_e32 v28, 2, v28
	v_ashrrev_i32_e32 v29, 31, v28
	v_lshlrev_b64 v[28:29], 3, v[28:29]
	v_add_co_u32_e32 v28, vcc, s8, v28
	v_addc_co_u32_e32 v29, vcc, v27, v29, vcc
	global_load_dwordx4 v[48:51], v[28:29], off offset:16
	global_load_dwordx4 v[52:55], v[28:29], off
	s_waitcnt vmcnt(0)
	v_fma_f64 v[23:24], v[44:45], v[52:53], v[23:24]
	v_fma_f64 v[21:22], v[36:37], v[52:53], v[21:22]
	;; [unrolled: 1-line block ×8, first 2 shown]
	global_load_dwordx4 v[21:24], v[13:14], off offset:112
	global_load_dwordx4 v[32:35], v[13:14], off offset:96
	;; [unrolled: 1-line block ×4, first 2 shown]
	s_waitcnt vmcnt(2)
	v_fma_f64 v[17:18], v[32:33], v[52:53], v[17:18]
	s_waitcnt vmcnt(0)
	v_fma_f64 v[19:20], v[40:41], v[52:53], v[19:20]
	v_fma_f64 v[17:18], v[34:35], v[54:55], v[17:18]
	;; [unrolled: 1-line block ×6, first 2 shown]
	global_load_dword v17, v[25:26], off offset:-256
	v_fma_f64 v[58:59], v[38:39], v[50:51], v[19:20]
	v_add_co_u32_e32 v50, vcc, s17, v13
	v_addc_co_u32_e32 v51, vcc, 0, v14, vcc
	s_waitcnt vmcnt(0)
	v_subrev_u32_e32 v17, s16, v17
	v_lshlrev_b32_e32 v40, 2, v17
	v_ashrrev_i32_e32 v41, 31, v40
	v_lshlrev_b64 v[40:41], 3, v[40:41]
	global_load_dwordx4 v[17:20], v[50:51], off
	global_load_dwordx4 v[21:24], v[50:51], off offset:48
	global_load_dwordx4 v[32:35], v[50:51], off offset:32
	global_load_dwordx4 v[36:39], v[50:51], off offset:16
	v_add_co_u32_e32 v52, vcc, s8, v40
	v_addc_co_u32_e32 v53, vcc, v27, v41, vcc
	global_load_dwordx4 v[40:43], v[52:53], off offset:16
	global_load_dwordx4 v[44:47], v[52:53], off
	v_add_co_u32_e32 v54, vcc, s18, v13
	v_addc_co_u32_e32 v55, vcc, 0, v14, vcc
	s_waitcnt vmcnt(0)
	v_fma_f64 v[17:18], v[17:18], v[44:45], v[28:29]
	v_fma_f64 v[17:18], v[19:20], v[46:47], v[17:18]
	;; [unrolled: 1-line block ×8, first 2 shown]
	global_load_dwordx4 v[17:20], v[50:51], off offset:112
	global_load_dwordx4 v[21:24], v[50:51], off offset:96
	;; [unrolled: 1-line block ×4, first 2 shown]
	s_waitcnt vmcnt(2)
	v_fma_f64 v[21:22], v[21:22], v[44:45], v[48:49]
	s_waitcnt vmcnt(0)
	v_fma_f64 v[36:37], v[36:37], v[44:45], v[58:59]
	v_fma_f64 v[21:22], v[23:24], v[46:47], v[21:22]
	;; [unrolled: 1-line block ×6, first 2 shown]
	global_load_dword v17, v[25:26], off
	v_fma_f64 v[50:51], v[34:35], v[42:43], v[32:33]
	s_waitcnt vmcnt(0)
	v_subrev_u32_e32 v17, s16, v17
	v_lshlrev_b32_e32 v40, 2, v17
	v_ashrrev_i32_e32 v41, 31, v40
	v_lshlrev_b64 v[40:41], 3, v[40:41]
	global_load_dwordx4 v[17:20], v[54:55], off
	global_load_dwordx4 v[21:24], v[54:55], off offset:48
	global_load_dwordx4 v[32:35], v[54:55], off offset:32
	;; [unrolled: 1-line block ×3, first 2 shown]
	v_add_co_u32_e32 v56, vcc, s8, v40
	v_addc_co_u32_e32 v57, vcc, v27, v41, vcc
	global_load_dwordx4 v[40:43], v[56:57], off offset:16
	global_load_dwordx4 v[44:47], v[56:57], off
	v_add_co_u32_e32 v58, vcc, s19, v13
	v_addc_co_u32_e32 v59, vcc, 0, v14, vcc
	s_waitcnt vmcnt(0)
	v_fma_f64 v[17:18], v[17:18], v[44:45], v[28:29]
	v_fma_f64 v[17:18], v[19:20], v[46:47], v[17:18]
	;; [unrolled: 1-line block ×8, first 2 shown]
	global_load_dwordx4 v[17:20], v[54:55], off offset:112
	global_load_dwordx4 v[21:24], v[54:55], off offset:96
	global_load_dwordx4 v[32:35], v[54:55], off offset:80
	global_load_dwordx4 v[36:39], v[54:55], off offset:64
	s_waitcnt vmcnt(2)
	v_fma_f64 v[21:22], v[21:22], v[44:45], v[48:49]
	s_waitcnt vmcnt(0)
	v_fma_f64 v[36:37], v[36:37], v[44:45], v[50:51]
	v_fma_f64 v[21:22], v[23:24], v[46:47], v[21:22]
	;; [unrolled: 1-line block ×6, first 2 shown]
	global_load_dword v17, v[25:26], off offset:256
	v_fma_f64 v[54:55], v[34:35], v[42:43], v[32:33]
	s_waitcnt vmcnt(0)
	v_subrev_u32_e32 v17, s16, v17
	v_lshlrev_b32_e32 v40, 2, v17
	v_ashrrev_i32_e32 v41, 31, v40
	v_lshlrev_b64 v[40:41], 3, v[40:41]
	global_load_dwordx4 v[17:20], v[58:59], off
	global_load_dwordx4 v[32:35], v[58:59], off offset:48
	global_load_dwordx4 v[36:39], v[58:59], off offset:32
	;; [unrolled: 1-line block ×3, first 2 shown]
	v_add_co_u32_e32 v48, vcc, s8, v40
	v_addc_co_u32_e32 v49, vcc, v27, v41, vcc
	global_load_dwordx4 v[40:43], v[48:49], off offset:16
	global_load_dwordx4 v[44:47], v[48:49], off
	v_add_co_u32_e32 v15, vcc, 0x100, v15
	v_addc_co_u32_e32 v16, vcc, 0, v16, vcc
	v_add_co_u32_e32 v25, vcc, 0x400, v25
	v_addc_co_u32_e32 v26, vcc, 0, v26, vcc
	v_cmp_ge_i64_e64 s[2:3], v[15:16], v[4:5]
	v_add_co_u32_e32 v13, vcc, 0x8000, v13
	v_addc_co_u32_e32 v14, vcc, 0, v14, vcc
	s_or_b64 s[14:15], s[2:3], s[14:15]
	s_waitcnt vmcnt(0)
	v_fma_f64 v[17:18], v[17:18], v[44:45], v[28:29]
	v_fma_f64 v[17:18], v[19:20], v[46:47], v[17:18]
	;; [unrolled: 1-line block ×8, first 2 shown]
	global_load_dwordx4 v[32:35], v[58:59], off offset:112
	global_load_dwordx4 v[36:39], v[58:59], off offset:96
	;; [unrolled: 1-line block ×4, first 2 shown]
	s_waitcnt vmcnt(0)
	v_fma_f64 v[28:29], v[48:49], v[44:45], v[54:55]
	v_fma_f64 v[28:29], v[50:51], v[46:47], v[28:29]
	v_fma_f64 v[17:18], v[17:18], v[40:41], v[28:29]
	v_fma_f64 v[19:20], v[19:20], v[42:43], v[17:18]
	v_fma_f64 v[17:18], v[36:37], v[44:45], v[56:57]
	v_fma_f64 v[17:18], v[38:39], v[46:47], v[17:18]
	v_fma_f64 v[17:18], v[32:33], v[40:41], v[17:18]
	v_fma_f64 v[17:18], v[34:35], v[42:43], v[17:18]
	s_andn2_b64 exec, exec, s[14:15]
	s_cbranch_execnz .LBB29_21
; %bb.22:
	s_or_b64 exec, exec, s[14:15]
.LBB29_23:
	s_or_b64 exec, exec, s[6:7]
.LBB29_24:
	s_or_b64 exec, exec, s[10:11]
	s_cbranch_execz .LBB29_26
	s_branch .LBB29_37
.LBB29_25:
                                        ; implicit-def: $vgpr17_vgpr18
                                        ; implicit-def: $vgpr19_vgpr20
                                        ; implicit-def: $vgpr21_vgpr22
                                        ; implicit-def: $vgpr23_vgpr24
.LBB29_26:
	v_mov_b32_e32 v17, 0
	v_mov_b32_e32 v19, 0
	;; [unrolled: 1-line block ×8, first 2 shown]
	s_and_saveexec_b64 s[2:3], s[0:1]
	s_cbranch_execz .LBB29_36
; %bb.27:
	v_or_b32_e32 v13, 64, v31
	v_subrev_co_u32_e32 v13, vcc, s16, v13
	v_subb_co_u32_e64 v14, s[0:1], 0, 0, vcc
	v_add_co_u32_e32 v13, vcc, v13, v11
	v_addc_co_u32_e32 v14, vcc, v14, v12, vcc
	v_cmp_gt_i64_e32 vcc, v[13:14], v[4:5]
	v_not_b32_e32 v11, v11
	v_cndmask_b32_e32 v14, v5, v14, vcc
	v_cndmask_b32_e32 v13, v4, v13, vcc
	v_sub_co_u32_e32 v15, vcc, s16, v31
	v_not_b32_e32 v12, v12
	v_subb_co_u32_e64 v16, s[0:1], 0, 0, vcc
	v_add_co_u32_e32 v11, vcc, v15, v11
	v_addc_co_u32_e32 v12, vcc, v16, v12, vcc
	v_add_co_u32_e32 v11, vcc, v11, v13
	v_addc_co_u32_e32 v12, vcc, v12, v14, vcc
	v_and_b32_e32 v13, 0xc0, v11
	v_mov_b32_e32 v14, 0
	s_mov_b64 s[0:1], 0xc0
	v_cmp_ne_u64_e32 vcc, s[0:1], v[13:14]
	v_mov_b32_e32 v23, 0
	v_mov_b32_e32 v21, 0
	;; [unrolled: 1-line block ×8, first 2 shown]
	s_and_saveexec_b64 s[0:1], vcc
	s_cbranch_execz .LBB29_31
; %bb.28:
	v_lshrrev_b32_e32 v13, 6, v11
	v_add_u32_e32 v13, 1, v13
	v_and_b32_e32 v15, 3, v13
	v_lshlrev_b64 v[13:14], 2, v[0:1]
	v_mov_b32_e32 v16, s13
	v_add_co_u32_e32 v13, vcc, s12, v13
	v_addc_co_u32_e32 v14, vcc, v16, v14, vcc
	v_sub_co_u32_e32 v15, vcc, 0, v15
	v_subb_co_u32_e64 v16, s[10:11], 0, 0, vcc
	v_mov_b32_e32 v17, 0
	v_mov_b32_e32 v19, 0
	;; [unrolled: 1-line block ×4, first 2 shown]
	s_mov_b64 s[6:7], 0
	v_mov_b32_e32 v18, 0
	s_movk_i32 s10, 0x2000
	v_mov_b32_e32 v20, 0
	v_mov_b32_e32 v22, 0
	;; [unrolled: 1-line block ×3, first 2 shown]
	s_waitcnt lgkmcnt(0)
	v_mov_b32_e32 v25, s9
.LBB29_29:                              ; =>This Inner Loop Header: Depth=1
	global_load_dword v26, v[13:14], off
	s_waitcnt vmcnt(0)
	v_subrev_u32_e32 v26, s16, v26
	v_lshlrev_b32_e32 v44, 2, v26
	v_ashrrev_i32_e32 v45, 31, v44
	v_lshlrev_b64 v[44:45], 3, v[44:45]
	global_load_dwordx4 v[26:29], v[6:7], off offset:48
	global_load_dwordx4 v[32:35], v[6:7], off offset:32
	global_load_dwordx4 v[36:39], v[6:7], off offset:16
	global_load_dwordx4 v[40:43], v[6:7], off
	v_add_co_u32_e32 v52, vcc, s8, v44
	v_addc_co_u32_e32 v53, vcc, v25, v45, vcc
	global_load_dwordx4 v[44:47], v[52:53], off offset:16
	global_load_dwordx4 v[48:51], v[52:53], off
	s_waitcnt vmcnt(0)
	v_fma_f64 v[23:24], v[40:41], v[48:49], v[23:24]
	v_fma_f64 v[21:22], v[42:43], v[48:49], v[21:22]
	;; [unrolled: 1-line block ×8, first 2 shown]
	global_load_dwordx4 v[26:29], v[6:7], off offset:112
	global_load_dwordx4 v[17:20], v[6:7], off offset:96
	;; [unrolled: 1-line block ×4, first 2 shown]
	v_add_co_u32_e32 v6, vcc, s10, v6
	v_addc_co_u32_e32 v7, vcc, 0, v7, vcc
	v_add_co_u32_e32 v0, vcc, 64, v0
	v_addc_co_u32_e32 v1, vcc, 0, v1, vcc
	;; [unrolled: 2-line block ×4, first 2 shown]
	v_cmp_eq_u64_e32 vcc, 0, v[15:16]
	s_or_b64 s[6:7], vcc, s[6:7]
	s_waitcnt vmcnt(0)
	v_fma_f64 v[32:33], v[32:33], v[44:45], v[36:37]
	v_fma_f64 v[34:35], v[34:35], v[44:45], v[38:39]
	;; [unrolled: 1-line block ×8, first 2 shown]
	s_andn2_b64 exec, exec, s[6:7]
	s_cbranch_execnz .LBB29_29
; %bb.30:
	s_or_b64 exec, exec, s[6:7]
.LBB29_31:
	s_or_b64 exec, exec, s[0:1]
	s_mov_b64 s[0:1], 0xbf
	v_cmp_lt_u64_e32 vcc, s[0:1], v[11:12]
	s_and_saveexec_b64 s[6:7], vcc
	s_cbranch_execz .LBB29_35
; %bb.32:
	v_lshlrev_b64 v[11:12], 2, v[0:1]
	v_mov_b32_e32 v13, s13
	v_add_co_u32_e32 v11, vcc, s12, v11
	v_addc_co_u32_e32 v12, vcc, v13, v12, vcc
	v_add_co_u32_e32 v11, vcc, 0x200, v11
	v_addc_co_u32_e32 v12, vcc, 0, v12, vcc
	s_mov_b64 s[10:11], 0
	s_waitcnt lgkmcnt(0)
	v_mov_b32_e32 v13, s9
	s_movk_i32 s9, 0x2000
	s_movk_i32 s12, 0x4000
	;; [unrolled: 1-line block ×3, first 2 shown]
.LBB29_33:                              ; =>This Inner Loop Header: Depth=1
	global_load_dword v14, v[11:12], off offset:-512
	global_load_dwordx4 v[25:28], v[6:7], off offset:48
	global_load_dwordx4 v[32:35], v[6:7], off offset:32
	;; [unrolled: 1-line block ×3, first 2 shown]
	global_load_dwordx4 v[40:43], v[6:7], off
	s_waitcnt vmcnt(4)
	v_subrev_u32_e32 v14, s16, v14
	v_lshlrev_b32_e32 v14, 2, v14
	v_ashrrev_i32_e32 v15, 31, v14
	v_lshlrev_b64 v[14:15], 3, v[14:15]
	v_add_co_u32_e32 v14, vcc, s8, v14
	v_addc_co_u32_e32 v15, vcc, v13, v15, vcc
	global_load_dwordx4 v[44:47], v[14:15], off offset:16
	global_load_dwordx4 v[48:51], v[14:15], off
	s_waitcnt vmcnt(0)
	v_fma_f64 v[14:15], v[40:41], v[48:49], v[23:24]
	v_fma_f64 v[21:22], v[42:43], v[48:49], v[21:22]
	v_fma_f64 v[19:20], v[36:37], v[48:49], v[19:20]
	v_fma_f64 v[16:17], v[38:39], v[48:49], v[17:18]
	v_add_co_u32_e32 v48, vcc, s9, v6
	v_addc_co_u32_e32 v49, vcc, 0, v7, vcc
	v_fma_f64 v[32:33], v[32:33], v[50:51], v[14:15]
	v_fma_f64 v[34:35], v[34:35], v[50:51], v[21:22]
	;; [unrolled: 1-line block ×4, first 2 shown]
	global_load_dwordx4 v[14:17], v[6:7], off offset:112
	global_load_dwordx4 v[18:21], v[6:7], off offset:96
	;; [unrolled: 1-line block ×4, first 2 shown]
	s_waitcnt vmcnt(1)
	v_fma_f64 v[22:23], v[22:23], v[44:45], v[36:37]
	s_waitcnt vmcnt(0)
	v_fma_f64 v[26:27], v[26:27], v[44:45], v[32:33]
	v_fma_f64 v[28:29], v[28:29], v[44:45], v[34:35]
	;; [unrolled: 1-line block ×4, first 2 shown]
	global_load_dword v14, v[11:12], off offset:-256
	v_fma_f64 v[40:41], v[18:19], v[46:47], v[26:27]
	v_fma_f64 v[42:43], v[20:21], v[46:47], v[28:29]
	;; [unrolled: 1-line block ×3, first 2 shown]
	s_waitcnt vmcnt(0)
	v_subrev_u32_e32 v14, s16, v14
	v_lshlrev_b32_e32 v32, 2, v14
	v_ashrrev_i32_e32 v33, 31, v32
	v_lshlrev_b64 v[32:33], 3, v[32:33]
	global_load_dwordx4 v[14:17], v[48:49], off
	global_load_dwordx4 v[18:21], v[48:49], off offset:48
	global_load_dwordx4 v[22:25], v[48:49], off offset:32
	;; [unrolled: 1-line block ×3, first 2 shown]
	v_add_co_u32_e32 v50, vcc, s8, v32
	v_addc_co_u32_e32 v51, vcc, v13, v33, vcc
	global_load_dwordx4 v[32:35], v[50:51], off offset:16
	global_load_dwordx4 v[36:39], v[50:51], off
	s_waitcnt vmcnt(0)
	v_fma_f64 v[14:15], v[14:15], v[36:37], v[40:41]
	v_fma_f64 v[16:17], v[16:17], v[36:37], v[42:43]
	;; [unrolled: 1-line block ×8, first 2 shown]
	global_load_dwordx4 v[14:17], v[48:49], off offset:112
	global_load_dwordx4 v[18:21], v[48:49], off offset:96
	;; [unrolled: 1-line block ×4, first 2 shown]
	v_add_co_u32_e32 v48, vcc, s12, v6
	v_addc_co_u32_e32 v49, vcc, 0, v7, vcc
	s_waitcnt vmcnt(1)
	v_fma_f64 v[22:23], v[22:23], v[32:33], v[42:43]
	s_waitcnt vmcnt(0)
	v_fma_f64 v[26:27], v[26:27], v[32:33], v[36:37]
	v_fma_f64 v[28:29], v[28:29], v[32:33], v[40:41]
	;; [unrolled: 1-line block ×4, first 2 shown]
	global_load_dword v14, v[11:12], off
	v_fma_f64 v[40:41], v[18:19], v[34:35], v[26:27]
	v_fma_f64 v[42:43], v[20:21], v[34:35], v[28:29]
	;; [unrolled: 1-line block ×3, first 2 shown]
	s_waitcnt vmcnt(0)
	v_subrev_u32_e32 v14, s16, v14
	v_lshlrev_b32_e32 v32, 2, v14
	v_ashrrev_i32_e32 v33, 31, v32
	v_lshlrev_b64 v[32:33], 3, v[32:33]
	global_load_dwordx4 v[14:17], v[48:49], off
	global_load_dwordx4 v[18:21], v[48:49], off offset:48
	global_load_dwordx4 v[22:25], v[48:49], off offset:32
	;; [unrolled: 1-line block ×3, first 2 shown]
	v_add_co_u32_e32 v50, vcc, s8, v32
	v_addc_co_u32_e32 v51, vcc, v13, v33, vcc
	global_load_dwordx4 v[32:35], v[50:51], off offset:16
	global_load_dwordx4 v[36:39], v[50:51], off
	s_waitcnt vmcnt(0)
	v_fma_f64 v[14:15], v[14:15], v[36:37], v[40:41]
	v_fma_f64 v[16:17], v[16:17], v[36:37], v[42:43]
	;; [unrolled: 1-line block ×8, first 2 shown]
	global_load_dwordx4 v[14:17], v[48:49], off offset:112
	global_load_dwordx4 v[18:21], v[48:49], off offset:96
	;; [unrolled: 1-line block ×4, first 2 shown]
	v_add_co_u32_e32 v48, vcc, s13, v6
	v_addc_co_u32_e32 v49, vcc, 0, v7, vcc
	s_waitcnt vmcnt(1)
	v_fma_f64 v[22:23], v[22:23], v[32:33], v[42:43]
	s_waitcnt vmcnt(0)
	v_fma_f64 v[26:27], v[26:27], v[32:33], v[36:37]
	v_fma_f64 v[28:29], v[28:29], v[32:33], v[40:41]
	v_fma_f64 v[24:25], v[24:25], v[32:33], v[38:39]
	v_fma_f64 v[44:45], v[14:15], v[34:35], v[22:23]
	global_load_dword v14, v[11:12], off offset:256
	v_fma_f64 v[40:41], v[18:19], v[34:35], v[26:27]
	v_fma_f64 v[42:43], v[20:21], v[34:35], v[28:29]
	;; [unrolled: 1-line block ×3, first 2 shown]
	s_waitcnt vmcnt(0)
	v_subrev_u32_e32 v14, s16, v14
	v_lshlrev_b32_e32 v32, 2, v14
	v_ashrrev_i32_e32 v33, 31, v32
	v_lshlrev_b64 v[32:33], 3, v[32:33]
	global_load_dwordx4 v[14:17], v[48:49], off
	global_load_dwordx4 v[18:21], v[48:49], off offset:48
	global_load_dwordx4 v[22:25], v[48:49], off offset:32
	;; [unrolled: 1-line block ×3, first 2 shown]
	v_add_co_u32_e32 v50, vcc, s8, v32
	v_addc_co_u32_e32 v51, vcc, v13, v33, vcc
	global_load_dwordx4 v[32:35], v[50:51], off offset:16
	global_load_dwordx4 v[36:39], v[50:51], off
	v_add_co_u32_e32 v0, vcc, 0x100, v0
	v_addc_co_u32_e32 v1, vcc, 0, v1, vcc
	v_add_co_u32_e32 v11, vcc, 0x400, v11
	v_addc_co_u32_e32 v12, vcc, 0, v12, vcc
	v_cmp_ge_i64_e64 s[0:1], v[0:1], v[4:5]
	v_add_co_u32_e32 v6, vcc, 0x8000, v6
	v_addc_co_u32_e32 v7, vcc, 0, v7, vcc
	s_or_b64 s[10:11], s[0:1], s[10:11]
	s_waitcnt vmcnt(0)
	v_fma_f64 v[14:15], v[14:15], v[36:37], v[40:41]
	v_fma_f64 v[16:17], v[16:17], v[36:37], v[42:43]
	;; [unrolled: 1-line block ×8, first 2 shown]
	global_load_dwordx4 v[14:17], v[48:49], off offset:112
	global_load_dwordx4 v[18:21], v[48:49], off offset:96
	;; [unrolled: 1-line block ×4, first 2 shown]
	s_waitcnt vmcnt(0)
	v_fma_f64 v[26:27], v[26:27], v[32:33], v[36:37]
	v_fma_f64 v[28:29], v[28:29], v[32:33], v[40:41]
	;; [unrolled: 1-line block ×8, first 2 shown]
	s_andn2_b64 exec, exec, s[10:11]
	s_cbranch_execnz .LBB29_33
; %bb.34:
	s_or_b64 exec, exec, s[10:11]
.LBB29_35:
	s_or_b64 exec, exec, s[6:7]
.LBB29_36:
	s_or_b64 exec, exec, s[2:3]
.LBB29_37:
	v_mov_b32_dpp v0, v23 row_shr:1 row_mask:0xf bank_mask:0xf
	v_mov_b32_dpp v1, v24 row_shr:1 row_mask:0xf bank_mask:0xf
	v_add_f64 v[0:1], v[23:24], v[0:1]
	v_mov_b32_dpp v4, v21 row_shr:1 row_mask:0xf bank_mask:0xf
	v_mov_b32_dpp v5, v22 row_shr:1 row_mask:0xf bank_mask:0xf
	v_add_f64 v[4:5], v[21:22], v[4:5]
	;; [unrolled: 3-line block ×3, first 2 shown]
	v_cmp_eq_u32_e32 vcc, 63, v31
	v_mov_b32_dpp v6, v0 row_shr:2 row_mask:0xf bank_mask:0xf
	v_mov_b32_dpp v7, v1 row_shr:2 row_mask:0xf bank_mask:0xf
	v_add_f64 v[0:1], v[0:1], v[6:7]
	v_mov_b32_dpp v6, v19 row_shr:1 row_mask:0xf bank_mask:0xf
	v_mov_b32_dpp v7, v20 row_shr:1 row_mask:0xf bank_mask:0xf
	v_add_f64 v[6:7], v[19:20], v[6:7]
	v_mov_b32_dpp v13, v4 row_shr:2 row_mask:0xf bank_mask:0xf
	v_mov_b32_dpp v14, v0 row_shr:4 row_mask:0xf bank_mask:0xe
	v_mov_b32_dpp v15, v1 row_shr:4 row_mask:0xf bank_mask:0xe
	v_add_f64 v[0:1], v[0:1], v[14:15]
	v_mov_b32_dpp v14, v5 row_shr:2 row_mask:0xf bank_mask:0xf
	;; [unrolled: 4-line block ×3, first 2 shown]
	v_add_f64 v[6:7], v[6:7], v[15:16]
	v_mov_b32_dpp v14, v12 row_shr:2 row_mask:0xf bank_mask:0xf
	v_add_f64 v[11:12], v[11:12], v[13:14]
	v_mov_b32_dpp v15, v0 row_shr:8 row_mask:0xf bank_mask:0xc
	v_mov_b32_dpp v16, v1 row_shr:8 row_mask:0xf bank_mask:0xc
	v_add_f64 v[0:1], v[0:1], v[15:16]
	v_mov_b32_dpp v13, v4 row_shr:4 row_mask:0xf bank_mask:0xe
	v_mov_b32_dpp v14, v5 row_shr:4 row_mask:0xf bank_mask:0xe
	v_mov_b32_dpp v15, v6 row_shr:4 row_mask:0xf bank_mask:0xe
	v_add_f64 v[4:5], v[4:5], v[13:14]
	v_mov_b32_dpp v16, v7 row_shr:4 row_mask:0xf bank_mask:0xe
	v_add_f64 v[6:7], v[6:7], v[15:16]
	v_mov_b32_dpp v14, v11 row_shr:4 row_mask:0xf bank_mask:0xe
	v_mov_b32_dpp v15, v12 row_shr:4 row_mask:0xf bank_mask:0xe
	v_add_f64 v[11:12], v[11:12], v[14:15]
	v_mov_b32_dpp v13, v0 row_bcast:15 row_mask:0xa bank_mask:0xf
	v_mov_b32_dpp v14, v1 row_bcast:15 row_mask:0xa bank_mask:0xf
	v_mov_b32_dpp v15, v4 row_shr:8 row_mask:0xf bank_mask:0xc
	v_mov_b32_dpp v16, v5 row_shr:8 row_mask:0xf bank_mask:0xc
	v_add_f64 v[4:5], v[4:5], v[15:16]
	v_mov_b32_dpp v15, v6 row_shr:8 row_mask:0xf bank_mask:0xc
	v_mov_b32_dpp v16, v7 row_shr:8 row_mask:0xf bank_mask:0xc
	v_add_f64 v[6:7], v[6:7], v[15:16]
	;; [unrolled: 3-line block ×3, first 2 shown]
	v_add_f64 v[0:1], v[0:1], v[13:14]
	v_mov_b32_dpp v13, v4 row_bcast:15 row_mask:0xa bank_mask:0xf
	v_mov_b32_dpp v14, v5 row_bcast:15 row_mask:0xa bank_mask:0xf
	v_add_f64 v[4:5], v[4:5], v[13:14]
	v_mov_b32_dpp v13, v6 row_bcast:15 row_mask:0xa bank_mask:0xf
	v_mov_b32_dpp v14, v7 row_bcast:15 row_mask:0xa bank_mask:0xf
	;; [unrolled: 3-line block ×4, first 2 shown]
	v_mov_b32_dpp v17, v4 row_bcast:31 row_mask:0xc bank_mask:0xf
	v_mov_b32_dpp v18, v5 row_bcast:31 row_mask:0xc bank_mask:0xf
	;; [unrolled: 1-line block ×6, first 2 shown]
	s_and_b64 exec, exec, vcc
	s_cbranch_execz .LBB29_10
; %bb.38:
	v_add_f64 v[0:1], v[0:1], v[19:20]
	v_add_f64 v[17:18], v[4:5], v[17:18]
	;; [unrolled: 1-line block ×4, first 2 shown]
	v_cmp_eq_f64_e32 vcc, 0, v[8:9]
	s_load_dwordx2 s[0:1], s[4:5], 0x50
	v_lshlrev_b32_e32 v10, 2, v10
	v_mul_f64 v[4:5], v[2:3], v[0:1]
	v_mul_f64 v[6:7], v[2:3], v[17:18]
	;; [unrolled: 1-line block ×4, first 2 shown]
	s_and_saveexec_b64 s[2:3], vcc
	s_xor_b64 s[2:3], exec, s[2:3]
	s_cbranch_execz .LBB29_40
; %bb.39:
	v_ashrrev_i32_e32 v11, 31, v10
	v_lshlrev_b64 v[8:9], 3, v[10:11]
	s_waitcnt lgkmcnt(0)
	v_mov_b32_e32 v10, s1
	v_add_co_u32_e32 v8, vcc, s0, v8
	v_addc_co_u32_e32 v9, vcc, v10, v9, vcc
	global_store_dwordx4 v[8:9], v[4:7], off
	global_store_dwordx4 v[8:9], v[0:3], off offset:16
                                        ; implicit-def: $vgpr10
                                        ; implicit-def: $vgpr8_vgpr9
                                        ; implicit-def: $vgpr4_vgpr5
                                        ; implicit-def: $vgpr0_vgpr1
.LBB29_40:
	s_andn2_saveexec_b64 s[2:3], s[2:3]
	s_cbranch_execz .LBB29_10
; %bb.41:
	v_ashrrev_i32_e32 v11, 31, v10
	v_lshlrev_b64 v[10:11], 3, v[10:11]
	s_waitcnt lgkmcnt(0)
	v_mov_b32_e32 v12, s1
	v_add_co_u32_e32 v18, vcc, s0, v10
	v_addc_co_u32_e32 v19, vcc, v12, v11, vcc
	global_load_dwordx4 v[10:13], v[18:19], off
	global_load_dwordx4 v[14:17], v[18:19], off offset:16
	s_waitcnt vmcnt(1)
	v_fma_f64 v[4:5], v[8:9], v[10:11], v[4:5]
	v_fma_f64 v[6:7], v[8:9], v[12:13], v[6:7]
	s_waitcnt vmcnt(0)
	v_fma_f64 v[0:1], v[8:9], v[14:15], v[0:1]
	v_fma_f64 v[2:3], v[8:9], v[16:17], v[2:3]
	global_store_dwordx4 v[18:19], v[4:7], off
	global_store_dwordx4 v[18:19], v[0:3], off offset:16
	s_endpgm
	.section	.rodata,"a",@progbits
	.p2align	6, 0x0
	.amdhsa_kernel _ZN9rocsparseL18bsrxmvn_4x4_kernelILj128ELj64EdlidddEEvT3_20rocsparse_direction_NS_24const_host_device_scalarIT1_EES1_PKS1_PKT2_SA_S7_PKT4_PKT5_S5_PT6_21rocsparse_index_base_b
		.amdhsa_group_segment_fixed_size 0
		.amdhsa_private_segment_fixed_size 0
		.amdhsa_kernarg_size 96
		.amdhsa_user_sgpr_count 6
		.amdhsa_user_sgpr_private_segment_buffer 1
		.amdhsa_user_sgpr_dispatch_ptr 0
		.amdhsa_user_sgpr_queue_ptr 0
		.amdhsa_user_sgpr_kernarg_segment_ptr 1
		.amdhsa_user_sgpr_dispatch_id 0
		.amdhsa_user_sgpr_flat_scratch_init 0
		.amdhsa_user_sgpr_private_segment_size 0
		.amdhsa_uses_dynamic_stack 0
		.amdhsa_system_sgpr_private_segment_wavefront_offset 0
		.amdhsa_system_sgpr_workgroup_id_x 1
		.amdhsa_system_sgpr_workgroup_id_y 0
		.amdhsa_system_sgpr_workgroup_id_z 0
		.amdhsa_system_sgpr_workgroup_info 0
		.amdhsa_system_vgpr_workitem_id 0
		.amdhsa_next_free_vgpr 60
		.amdhsa_next_free_sgpr 20
		.amdhsa_reserve_vcc 1
		.amdhsa_reserve_flat_scratch 0
		.amdhsa_float_round_mode_32 0
		.amdhsa_float_round_mode_16_64 0
		.amdhsa_float_denorm_mode_32 3
		.amdhsa_float_denorm_mode_16_64 3
		.amdhsa_dx10_clamp 1
		.amdhsa_ieee_mode 1
		.amdhsa_fp16_overflow 0
		.amdhsa_exception_fp_ieee_invalid_op 0
		.amdhsa_exception_fp_denorm_src 0
		.amdhsa_exception_fp_ieee_div_zero 0
		.amdhsa_exception_fp_ieee_overflow 0
		.amdhsa_exception_fp_ieee_underflow 0
		.amdhsa_exception_fp_ieee_inexact 0
		.amdhsa_exception_int_div_zero 0
	.end_amdhsa_kernel
	.section	.text._ZN9rocsparseL18bsrxmvn_4x4_kernelILj128ELj64EdlidddEEvT3_20rocsparse_direction_NS_24const_host_device_scalarIT1_EES1_PKS1_PKT2_SA_S7_PKT4_PKT5_S5_PT6_21rocsparse_index_base_b,"axG",@progbits,_ZN9rocsparseL18bsrxmvn_4x4_kernelILj128ELj64EdlidddEEvT3_20rocsparse_direction_NS_24const_host_device_scalarIT1_EES1_PKS1_PKT2_SA_S7_PKT4_PKT5_S5_PT6_21rocsparse_index_base_b,comdat
.Lfunc_end29:
	.size	_ZN9rocsparseL18bsrxmvn_4x4_kernelILj128ELj64EdlidddEEvT3_20rocsparse_direction_NS_24const_host_device_scalarIT1_EES1_PKS1_PKT2_SA_S7_PKT4_PKT5_S5_PT6_21rocsparse_index_base_b, .Lfunc_end29-_ZN9rocsparseL18bsrxmvn_4x4_kernelILj128ELj64EdlidddEEvT3_20rocsparse_direction_NS_24const_host_device_scalarIT1_EES1_PKS1_PKT2_SA_S7_PKT4_PKT5_S5_PT6_21rocsparse_index_base_b
                                        ; -- End function
	.set _ZN9rocsparseL18bsrxmvn_4x4_kernelILj128ELj64EdlidddEEvT3_20rocsparse_direction_NS_24const_host_device_scalarIT1_EES1_PKS1_PKT2_SA_S7_PKT4_PKT5_S5_PT6_21rocsparse_index_base_b.num_vgpr, 60
	.set _ZN9rocsparseL18bsrxmvn_4x4_kernelILj128ELj64EdlidddEEvT3_20rocsparse_direction_NS_24const_host_device_scalarIT1_EES1_PKS1_PKT2_SA_S7_PKT4_PKT5_S5_PT6_21rocsparse_index_base_b.num_agpr, 0
	.set _ZN9rocsparseL18bsrxmvn_4x4_kernelILj128ELj64EdlidddEEvT3_20rocsparse_direction_NS_24const_host_device_scalarIT1_EES1_PKS1_PKT2_SA_S7_PKT4_PKT5_S5_PT6_21rocsparse_index_base_b.numbered_sgpr, 20
	.set _ZN9rocsparseL18bsrxmvn_4x4_kernelILj128ELj64EdlidddEEvT3_20rocsparse_direction_NS_24const_host_device_scalarIT1_EES1_PKS1_PKT2_SA_S7_PKT4_PKT5_S5_PT6_21rocsparse_index_base_b.num_named_barrier, 0
	.set _ZN9rocsparseL18bsrxmvn_4x4_kernelILj128ELj64EdlidddEEvT3_20rocsparse_direction_NS_24const_host_device_scalarIT1_EES1_PKS1_PKT2_SA_S7_PKT4_PKT5_S5_PT6_21rocsparse_index_base_b.private_seg_size, 0
	.set _ZN9rocsparseL18bsrxmvn_4x4_kernelILj128ELj64EdlidddEEvT3_20rocsparse_direction_NS_24const_host_device_scalarIT1_EES1_PKS1_PKT2_SA_S7_PKT4_PKT5_S5_PT6_21rocsparse_index_base_b.uses_vcc, 1
	.set _ZN9rocsparseL18bsrxmvn_4x4_kernelILj128ELj64EdlidddEEvT3_20rocsparse_direction_NS_24const_host_device_scalarIT1_EES1_PKS1_PKT2_SA_S7_PKT4_PKT5_S5_PT6_21rocsparse_index_base_b.uses_flat_scratch, 0
	.set _ZN9rocsparseL18bsrxmvn_4x4_kernelILj128ELj64EdlidddEEvT3_20rocsparse_direction_NS_24const_host_device_scalarIT1_EES1_PKS1_PKT2_SA_S7_PKT4_PKT5_S5_PT6_21rocsparse_index_base_b.has_dyn_sized_stack, 0
	.set _ZN9rocsparseL18bsrxmvn_4x4_kernelILj128ELj64EdlidddEEvT3_20rocsparse_direction_NS_24const_host_device_scalarIT1_EES1_PKS1_PKT2_SA_S7_PKT4_PKT5_S5_PT6_21rocsparse_index_base_b.has_recursion, 0
	.set _ZN9rocsparseL18bsrxmvn_4x4_kernelILj128ELj64EdlidddEEvT3_20rocsparse_direction_NS_24const_host_device_scalarIT1_EES1_PKS1_PKT2_SA_S7_PKT4_PKT5_S5_PT6_21rocsparse_index_base_b.has_indirect_call, 0
	.section	.AMDGPU.csdata,"",@progbits
; Kernel info:
; codeLenInByte = 4920
; TotalNumSgprs: 24
; NumVgprs: 60
; ScratchSize: 0
; MemoryBound: 1
; FloatMode: 240
; IeeeMode: 1
; LDSByteSize: 0 bytes/workgroup (compile time only)
; SGPRBlocks: 2
; VGPRBlocks: 14
; NumSGPRsForWavesPerEU: 24
; NumVGPRsForWavesPerEU: 60
; Occupancy: 4
; WaveLimiterHint : 1
; COMPUTE_PGM_RSRC2:SCRATCH_EN: 0
; COMPUTE_PGM_RSRC2:USER_SGPR: 6
; COMPUTE_PGM_RSRC2:TRAP_HANDLER: 0
; COMPUTE_PGM_RSRC2:TGID_X_EN: 1
; COMPUTE_PGM_RSRC2:TGID_Y_EN: 0
; COMPUTE_PGM_RSRC2:TGID_Z_EN: 0
; COMPUTE_PGM_RSRC2:TIDIG_COMP_CNT: 0
	.section	.text._ZN9rocsparseL18bsrxmvn_4x4_kernelILj128ELj4E21rocsparse_complex_numIfEliS2_S2_S2_EEvT3_20rocsparse_direction_NS_24const_host_device_scalarIT1_EES3_PKS3_PKT2_SC_S9_PKT4_PKT5_S7_PT6_21rocsparse_index_base_b,"axG",@progbits,_ZN9rocsparseL18bsrxmvn_4x4_kernelILj128ELj4E21rocsparse_complex_numIfEliS2_S2_S2_EEvT3_20rocsparse_direction_NS_24const_host_device_scalarIT1_EES3_PKS3_PKT2_SC_S9_PKT4_PKT5_S7_PT6_21rocsparse_index_base_b,comdat
	.globl	_ZN9rocsparseL18bsrxmvn_4x4_kernelILj128ELj4E21rocsparse_complex_numIfEliS2_S2_S2_EEvT3_20rocsparse_direction_NS_24const_host_device_scalarIT1_EES3_PKS3_PKT2_SC_S9_PKT4_PKT5_S7_PT6_21rocsparse_index_base_b ; -- Begin function _ZN9rocsparseL18bsrxmvn_4x4_kernelILj128ELj4E21rocsparse_complex_numIfEliS2_S2_S2_EEvT3_20rocsparse_direction_NS_24const_host_device_scalarIT1_EES3_PKS3_PKT2_SC_S9_PKT4_PKT5_S7_PT6_21rocsparse_index_base_b
	.p2align	8
	.type	_ZN9rocsparseL18bsrxmvn_4x4_kernelILj128ELj4E21rocsparse_complex_numIfEliS2_S2_S2_EEvT3_20rocsparse_direction_NS_24const_host_device_scalarIT1_EES3_PKS3_PKT2_SC_S9_PKT4_PKT5_S7_PT6_21rocsparse_index_base_b,@function
_ZN9rocsparseL18bsrxmvn_4x4_kernelILj128ELj4E21rocsparse_complex_numIfEliS2_S2_S2_EEvT3_20rocsparse_direction_NS_24const_host_device_scalarIT1_EES3_PKS3_PKT2_SC_S9_PKT4_PKT5_S7_PT6_21rocsparse_index_base_b: ; @_ZN9rocsparseL18bsrxmvn_4x4_kernelILj128ELj4E21rocsparse_complex_numIfEliS2_S2_S2_EEvT3_20rocsparse_direction_NS_24const_host_device_scalarIT1_EES3_PKS3_PKT2_SC_S9_PKT4_PKT5_S7_PT6_21rocsparse_index_base_b
; %bb.0:
	s_load_dwordx2 s[0:1], s[4:5], 0x8
	s_load_dwordx2 s[16:17], s[4:5], 0x58
	s_add_u32 s7, s4, 8
	s_addc_u32 s8, s5, 0
	s_add_u32 s9, s4, 0x48
	s_load_dwordx2 s[2:3], s[4:5], 0x48
	s_addc_u32 s10, s5, 0
	s_waitcnt lgkmcnt(0)
	s_bitcmp1_b32 s17, 0
	s_cselect_b32 s1, s8, s1
	s_cselect_b32 s0, s7, s0
	v_mov_b32_e32 v1, s0
	v_mov_b32_e32 v2, s1
	flat_load_dwordx2 v[14:15], v[1:2]
	s_cselect_b32 s0, s10, s3
	s_cselect_b32 s1, s9, s2
	v_mov_b32_e32 v1, s1
	v_mov_b32_e32 v2, s0
	flat_load_dwordx2 v[12:13], v[1:2]
	s_waitcnt vmcnt(0) lgkmcnt(0)
	v_cmp_eq_f32_e32 vcc, 0, v14
	v_cmp_eq_f32_e64 s[0:1], 0, v15
	s_and_b64 s[8:9], vcc, s[0:1]
	s_mov_b64 s[0:1], -1
	s_and_saveexec_b64 s[2:3], s[8:9]
; %bb.1:
	v_cmp_neq_f32_e32 vcc, 1.0, v12
	v_cmp_neq_f32_e64 s[0:1], 0, v13
	s_or_b64 s[0:1], vcc, s[0:1]
	s_orn2_b64 s[0:1], s[0:1], exec
; %bb.2:
	s_or_b64 exec, exec, s[2:3]
	s_and_saveexec_b64 s[2:3], s[0:1]
	s_cbranch_execz .LBB30_8
; %bb.3:
	s_load_dwordx2 s[8:9], s[4:5], 0x18
	s_load_dwordx2 s[0:1], s[4:5], 0x0
	v_lshrrev_b32_e32 v1, 2, v0
	v_lshl_or_b32 v16, s6, 5, v1
	s_mov_b64 s[2:3], 0
	s_waitcnt lgkmcnt(0)
	s_cmp_lg_u64 s[8:9], 0
	s_cbranch_scc0 .LBB30_9
; %bb.4:
	s_load_dword s6, s[4:5], 0x10
                                        ; implicit-def: $vgpr1
	s_waitcnt lgkmcnt(0)
	v_cmp_gt_i32_e32 vcc, s6, v16
	s_and_saveexec_b64 s[6:7], vcc
	s_xor_b64 s[6:7], exec, s[6:7]
	s_cbranch_execz .LBB30_6
; %bb.5:
	v_ashrrev_i32_e32 v17, 31, v16
	v_lshlrev_b64 v[1:2], 2, v[16:17]
	v_mov_b32_e32 v3, s9
	v_add_co_u32_e32 v1, vcc, s8, v1
	v_addc_co_u32_e32 v2, vcc, v3, v2, vcc
	global_load_dword v1, v[1:2], off
	s_mov_b64 s[2:3], exec
	s_waitcnt vmcnt(0)
	v_subrev_u32_e32 v1, s16, v1
.LBB30_6:
	s_or_b64 exec, exec, s[6:7]
	s_branch .LBB30_10
.LBB30_7:
	v_cmp_gt_i32_e32 vcc, s0, v16
	s_andn2_b64 s[2:3], s[2:3], exec
	s_and_b64 s[6:7], vcc, exec
	s_or_b64 s[2:3], s[2:3], s[6:7]
	s_and_b64 exec, exec, s[2:3]
	s_cbranch_execnz .LBB30_11
.LBB30_8:
	s_endpgm
.LBB30_9:
                                        ; implicit-def: $vgpr1
	s_cbranch_execnz .LBB30_7
.LBB30_10:
	v_mov_b32_e32 v16, v1
	s_and_b64 exec, exec, s[2:3]
	s_cbranch_execz .LBB30_8
.LBB30_11:
	s_load_dwordx8 s[8:15], s[4:5], 0x20
	v_ashrrev_i32_e32 v17, 31, v16
	v_lshlrev_b64 v[1:2], 3, v[16:17]
	v_and_b32_e32 v33, 3, v0
	v_mov_b32_e32 v23, 0
	s_waitcnt lgkmcnt(0)
	v_mov_b32_e32 v4, s9
	v_add_co_u32_e32 v3, vcc, s8, v1
	v_addc_co_u32_e32 v4, vcc, v4, v2, vcc
	global_load_dwordx2 v[25:26], v[3:4], off
	v_add_co_u32_e32 v3, vcc, 8, v3
	v_addc_co_u32_e32 v4, vcc, 0, v4, vcc
	v_mov_b32_e32 v5, s11
	v_add_co_u32_e32 v1, vcc, s10, v1
	s_cmp_eq_u64 s[10:11], 0
	v_addc_co_u32_e32 v2, vcc, v5, v2, vcc
	s_cselect_b64 vcc, -1, 0
	v_cndmask_b32_e32 v2, v2, v4, vcc
	v_cndmask_b32_e32 v1, v1, v3, vcc
	global_load_dwordx2 v[1:2], v[1:2], off
	s_load_dwordx2 s[8:9], s[4:5], 0x40
	v_mov_b32_e32 v3, s15
	s_cmp_eq_u32 s1, 1
	s_waitcnt vmcnt(1)
	v_subrev_co_u32_e32 v0, vcc, s16, v25
	v_subbrev_co_u32_e32 v4, vcc, 0, v26, vcc
	v_add_co_u32_e32 v17, vcc, v0, v33
	v_addc_co_u32_e32 v18, vcc, 0, v4, vcc
	s_waitcnt vmcnt(0)
	v_subrev_co_u32_e32 v19, vcc, s16, v1
	v_lshlrev_b64 v[0:1], 7, v[17:18]
	v_subbrev_co_u32_e32 v20, vcc, 0, v2, vcc
	v_cmp_lt_i64_e64 s[0:1], v[17:18], v[19:20]
	v_add_co_u32_e32 v21, vcc, s14, v0
	v_addc_co_u32_e32 v22, vcc, v3, v1, vcc
	s_cbranch_scc1 .LBB30_23
; %bb.12:
	v_mov_b32_e32 v8, 0
	v_mov_b32_e32 v6, 0
	;; [unrolled: 1-line block ×7, first 2 shown]
	s_and_saveexec_b64 s[10:11], s[0:1]
	s_cbranch_execz .LBB30_22
; %bb.13:
	v_or_b32_e32 v0, 4, v33
	v_subrev_co_u32_e32 v0, vcc, s16, v0
	v_subb_co_u32_e64 v1, s[2:3], 0, 0, vcc
	v_add_co_u32_e32 v0, vcc, v0, v25
	v_addc_co_u32_e32 v1, vcc, v1, v26, vcc
	v_cmp_gt_i64_e32 vcc, v[0:1], v[19:20]
	v_not_b32_e32 v3, v25
	v_cndmask_b32_e32 v1, v20, v1, vcc
	v_cndmask_b32_e32 v0, v19, v0, vcc
	v_sub_co_u32_e32 v4, vcc, s16, v33
	v_not_b32_e32 v2, v26
	v_subb_co_u32_e64 v5, s[2:3], 0, 0, vcc
	v_add_co_u32_e32 v3, vcc, v4, v3
	v_addc_co_u32_e32 v2, vcc, v5, v2, vcc
	v_add_co_u32_e32 v0, vcc, v3, v0
	v_addc_co_u32_e32 v1, vcc, v2, v1, vcc
	v_and_b32_e32 v23, 12, v0
	v_mov_b32_e32 v24, 0
	v_cmp_ne_u64_e32 vcc, 12, v[23:24]
	v_mov_b32_e32 v28, v22
	v_mov_b32_e32 v30, v18
	;; [unrolled: 1-line block ×11, first 2 shown]
	s_and_saveexec_b64 s[6:7], vcc
	s_cbranch_execz .LBB30_17
; %bb.14:
	v_lshrrev_b32_e32 v2, 2, v0
	v_add_u32_e32 v2, 1, v2
	v_and_b32_e32 v4, 3, v2
	v_lshlrev_b64 v[2:3], 2, v[17:18]
	v_mov_b32_e32 v5, s13
	v_add_co_u32_e32 v2, vcc, s12, v2
	v_addc_co_u32_e32 v3, vcc, v5, v3, vcc
	v_sub_co_u32_e32 v4, vcc, 0, v4
	v_mov_b32_e32 v30, v18
	v_mov_b32_e32 v28, v22
	;; [unrolled: 1-line block ×3, first 2 shown]
	s_mov_b64 s[14:15], 0
	v_subb_co_u32_e64 v5, s[2:3], 0, 0, vcc
	s_movk_i32 s17, 0x200
	s_waitcnt lgkmcnt(0)
	v_mov_b32_e32 v10, s9
	v_mov_b32_e32 v29, v17
	v_mov_b32_e32 v27, v21
	v_mov_b32_e32 v8, 0
	v_mov_b32_e32 v6, 0
	v_mov_b32_e32 v34, 0
	v_mov_b32_e32 v7, 0
	v_mov_b32_e32 v35, 0
	v_mov_b32_e32 v9, 0
	v_mov_b32_e32 v24, 0
.LBB30_15:                              ; =>This Inner Loop Header: Depth=1
	global_load_dword v11, v[2:3], off
	global_load_dwordx4 v[36:39], v[27:28], off offset:32
	global_load_dwordx4 v[40:43], v[27:28], off offset:64
	global_load_dwordx4 v[44:47], v[27:28], off
	global_load_dwordx4 v[48:51], v[27:28], off offset:16
	v_add_co_u32_e64 v29, s[2:3], 4, v29
	v_addc_co_u32_e64 v30, s[2:3], 0, v30, s[2:3]
	v_add_co_u32_e64 v2, s[2:3], 16, v2
	v_addc_co_u32_e64 v3, s[2:3], 0, v3, s[2:3]
	;; [unrolled: 2-line block ×3, first 2 shown]
	v_cmp_eq_u64_e64 s[2:3], 0, v[4:5]
	s_or_b64 s[14:15], s[2:3], s[14:15]
	s_waitcnt vmcnt(4)
	v_subrev_u32_e32 v11, s16, v11
	v_lshlrev_b32_e32 v31, 2, v11
	v_ashrrev_i32_e32 v32, 31, v31
	v_lshlrev_b64 v[31:32], 3, v[31:32]
	v_add_co_u32_e32 v31, vcc, s8, v31
	v_addc_co_u32_e32 v32, vcc, v10, v32, vcc
	global_load_dwordx4 v[52:55], v[31:32], off
	global_load_dwordx4 v[56:59], v[31:32], off offset:16
	s_waitcnt vmcnt(1)
	v_fmac_f32_e32 v8, v44, v52
	v_fmac_f32_e32 v23, v45, v52
	;; [unrolled: 1-line block ×6, first 2 shown]
	v_fma_f32 v8, -v45, v53, v8
	v_fmac_f32_e32 v23, v44, v53
	v_fma_f32 v9, -v37, v53, v9
	v_fmac_f32_e32 v24, v36, v53
	;; [unrolled: 2-line block ×3, first 2 shown]
	v_fmac_f32_e32 v8, v46, v54
	v_fmac_f32_e32 v23, v47, v54
	;; [unrolled: 1-line block ×6, first 2 shown]
	v_fma_f32 v8, -v47, v55, v8
	v_fmac_f32_e32 v23, v46, v55
	global_load_dwordx4 v[44:47], v[27:28], off offset:48
	v_fma_f32 v9, -v39, v55, v9
	v_fmac_f32_e32 v24, v38, v55
	global_load_dwordx4 v[36:39], v[27:28], off offset:80
	;; [unrolled: 3-line block ×3, first 2 shown]
	global_load_dwordx4 v[60:63], v[27:28], off offset:112
	s_waitcnt vmcnt(4)
	v_fmac_f32_e32 v8, v48, v56
	v_fmac_f32_e32 v23, v49, v56
	v_fma_f32 v8, -v49, v57, v8
	v_fmac_f32_e32 v23, v48, v57
	v_add_co_u32_e32 v27, vcc, s17, v27
	v_fmac_f32_e32 v8, v50, v58
	v_fmac_f32_e32 v23, v51, v58
	v_addc_co_u32_e32 v28, vcc, 0, v28, vcc
	v_fma_f32 v8, -v51, v59, v8
	v_fmac_f32_e32 v23, v50, v59
	s_waitcnt vmcnt(3)
	v_fmac_f32_e32 v9, v44, v56
	v_fmac_f32_e32 v24, v45, v56
	v_fma_f32 v9, -v45, v57, v9
	s_waitcnt vmcnt(2)
	v_fmac_f32_e32 v7, v36, v56
	v_fmac_f32_e32 v35, v37, v56
	s_waitcnt vmcnt(1)
	v_fmac_f32_e32 v6, v40, v52
	v_fmac_f32_e32 v34, v41, v52
	v_fma_f32 v6, -v41, v53, v6
	v_fmac_f32_e32 v34, v40, v53
	v_fmac_f32_e32 v6, v42, v54
	;; [unrolled: 1-line block ×3, first 2 shown]
	v_fma_f32 v6, -v43, v55, v6
	v_fmac_f32_e32 v34, v42, v55
	s_waitcnt vmcnt(0)
	v_fmac_f32_e32 v6, v60, v56
	v_fmac_f32_e32 v34, v61, v56
	;; [unrolled: 1-line block ×3, first 2 shown]
	v_fma_f32 v7, -v37, v57, v7
	v_fmac_f32_e32 v35, v36, v57
	v_fma_f32 v6, -v61, v57, v6
	v_fmac_f32_e32 v34, v60, v57
	v_fmac_f32_e32 v9, v46, v58
	v_fmac_f32_e32 v24, v47, v58
	v_fmac_f32_e32 v7, v38, v58
	v_fmac_f32_e32 v35, v39, v58
	v_fmac_f32_e32 v6, v62, v58
	v_fmac_f32_e32 v34, v63, v58
	v_fma_f32 v9, -v47, v59, v9
	v_fmac_f32_e32 v24, v46, v59
	v_fma_f32 v7, -v39, v59, v7
	v_fmac_f32_e32 v35, v38, v59
	;; [unrolled: 2-line block ×3, first 2 shown]
	s_andn2_b64 exec, exec, s[14:15]
	s_cbranch_execnz .LBB30_15
; %bb.16:
	s_or_b64 exec, exec, s[14:15]
.LBB30_17:
	s_or_b64 exec, exec, s[6:7]
	v_cmp_lt_u64_e32 vcc, 11, v[0:1]
	s_and_saveexec_b64 s[14:15], vcc
	s_cbranch_execz .LBB30_21
; %bb.18:
	v_lshlrev_b64 v[0:1], 2, v[29:30]
	v_mov_b32_e32 v2, s13
	v_add_co_u32_e32 v0, vcc, s12, v0
	v_addc_co_u32_e32 v1, vcc, v2, v1, vcc
	v_add_co_u32_e32 v31, vcc, 32, v0
	v_addc_co_u32_e32 v32, vcc, 0, v1, vcc
	s_mov_b64 s[18:19], 0
	s_waitcnt lgkmcnt(0)
	v_mov_b32_e32 v36, s9
	s_movk_i32 s17, 0x800
.LBB30_19:                              ; =>This Inner Loop Header: Depth=1
	global_load_dword v4, v[31:32], off offset:-32
	global_load_dwordx4 v[0:3], v[27:28], off offset:32
	global_load_dwordx4 v[37:40], v[27:28], off
	global_load_dwordx4 v[41:44], v[27:28], off offset:64
	v_add_co_u32_e64 v29, s[2:3], 16, v29
	v_addc_co_u32_e64 v30, s[2:3], 0, v30, s[2:3]
	s_waitcnt vmcnt(3)
	v_subrev_u32_e32 v4, s16, v4
	v_lshlrev_b32_e32 v4, 2, v4
	v_ashrrev_i32_e32 v5, 31, v4
	v_lshlrev_b64 v[4:5], 3, v[4:5]
	v_add_co_u32_e32 v4, vcc, s8, v4
	v_addc_co_u32_e32 v5, vcc, v36, v5, vcc
	global_load_dwordx4 v[45:48], v[4:5], off
	s_waitcnt vmcnt(0)
	v_fmac_f32_e32 v8, v37, v45
	v_fmac_f32_e32 v23, v38, v45
	v_fma_f32 v8, -v38, v46, v8
	v_fmac_f32_e32 v23, v37, v46
	v_fmac_f32_e32 v8, v39, v47
	v_fmac_f32_e32 v23, v40, v47
	v_fma_f32 v11, -v40, v48, v8
	v_fmac_f32_e32 v23, v39, v48
	global_load_dwordx4 v[37:40], v[27:28], off offset:96
	v_fmac_f32_e32 v9, v0, v45
	v_fmac_f32_e32 v24, v1, v45
	;; [unrolled: 1-line block ×4, first 2 shown]
	v_fma_f32 v1, -v1, v46, v9
	v_fmac_f32_e32 v24, v0, v46
	v_fma_f32 v7, -v42, v46, v7
	v_fmac_f32_e32 v35, v41, v46
	v_fmac_f32_e32 v1, v2, v47
	;; [unrolled: 1-line block ×5, first 2 shown]
	v_fma_f32 v49, -v3, v48, v1
	v_fmac_f32_e32 v24, v2, v48
	global_load_dwordx4 v[0:3], v[27:28], off offset:48
	v_fma_f32 v50, -v44, v48, v7
	v_fmac_f32_e32 v35, v43, v48
	global_load_dwordx4 v[7:10], v[27:28], off offset:16
	s_waitcnt vmcnt(2)
	v_fmac_f32_e32 v6, v37, v45
	v_fmac_f32_e32 v34, v38, v45
	v_fma_f32 v6, -v38, v46, v6
	v_fmac_f32_e32 v34, v37, v46
	v_fmac_f32_e32 v6, v39, v47
	;; [unrolled: 1-line block ×3, first 2 shown]
	v_fma_f32 v45, -v40, v48, v6
	v_fmac_f32_e32 v34, v39, v48
	global_load_dwordx4 v[37:40], v[27:28], off offset:80
	global_load_dwordx4 v[41:44], v[4:5], off offset:16
	s_waitcnt vmcnt(0)
	v_fmac_f32_e32 v11, v7, v41
	v_fma_f32 v4, -v8, v42, v11
	v_fmac_f32_e32 v23, v8, v41
	v_fmac_f32_e32 v4, v9, v43
	;; [unrolled: 1-line block ×3, first 2 shown]
	v_fma_f32 v46, -v10, v44, v4
	global_load_dwordx4 v[4:7], v[27:28], off offset:112
	global_load_dword v47, v[31:32], off offset:-16
	v_fmac_f32_e32 v35, v38, v41
	v_fmac_f32_e32 v50, v37, v41
	;; [unrolled: 1-line block ×3, first 2 shown]
	v_fma_f32 v8, -v38, v42, v50
	v_fmac_f32_e32 v49, v0, v41
	v_fmac_f32_e32 v24, v1, v41
	v_fma_f32 v1, -v1, v42, v49
	v_fmac_f32_e32 v24, v0, v42
	v_fmac_f32_e32 v23, v10, v43
	;; [unrolled: 1-line block ×7, first 2 shown]
	v_fma_f32 v48, -v3, v44, v1
	v_fmac_f32_e32 v24, v2, v44
	global_load_dwordx4 v[0:3], v[27:28], off offset:544
	v_fma_f32 v49, -v40, v44, v8
	v_fmac_f32_e32 v35, v39, v44
	global_load_dwordx4 v[8:11], v[27:28], off offset:512
	s_waitcnt vmcnt(3)
	v_fmac_f32_e32 v45, v4, v41
	s_waitcnt vmcnt(2)
	v_subrev_u32_e32 v37, s16, v47
	v_lshlrev_b32_e32 v37, 2, v37
	v_ashrrev_i32_e32 v38, 31, v37
	v_lshlrev_b64 v[37:38], 3, v[37:38]
	v_fmac_f32_e32 v34, v5, v41
	v_add_co_u32_e32 v41, vcc, s8, v37
	v_fma_f32 v5, -v5, v42, v45
	v_fmac_f32_e32 v34, v4, v42
	v_addc_co_u32_e32 v42, vcc, v36, v38, vcc
	global_load_dwordx4 v[37:40], v[41:42], off
	v_fmac_f32_e32 v5, v6, v43
	v_fmac_f32_e32 v34, v7, v43
	v_fma_f32 v43, -v7, v44, v5
	v_fmac_f32_e32 v34, v6, v44
	global_load_dwordx4 v[4:7], v[27:28], off offset:576
	s_waitcnt vmcnt(1)
	v_fmac_f32_e32 v46, v8, v37
	v_fmac_f32_e32 v23, v9, v37
	v_fma_f32 v9, -v9, v38, v46
	v_fmac_f32_e32 v23, v8, v38
	v_fmac_f32_e32 v9, v10, v39
	;; [unrolled: 1-line block ×3, first 2 shown]
	v_fma_f32 v44, -v11, v40, v9
	v_fmac_f32_e32 v23, v10, v40
	global_load_dwordx4 v[8:11], v[27:28], off offset:608
	v_fmac_f32_e32 v48, v0, v37
	v_fmac_f32_e32 v24, v1, v37
	s_waitcnt vmcnt(1)
	v_fmac_f32_e32 v49, v4, v37
	v_fmac_f32_e32 v35, v5, v37
	v_fma_f32 v1, -v1, v38, v48
	v_fmac_f32_e32 v24, v0, v38
	v_fma_f32 v5, -v5, v38, v49
	v_fmac_f32_e32 v35, v4, v38
	v_fmac_f32_e32 v1, v2, v39
	;; [unrolled: 1-line block ×5, first 2 shown]
	v_fma_f32 v45, -v3, v40, v1
	v_fmac_f32_e32 v24, v2, v40
	global_load_dwordx4 v[0:3], v[27:28], off offset:560
	v_fma_f32 v46, -v7, v40, v5
	v_fmac_f32_e32 v35, v6, v40
	global_load_dwordx4 v[4:7], v[27:28], off offset:528
	s_waitcnt vmcnt(2)
	v_fmac_f32_e32 v43, v8, v37
	v_fmac_f32_e32 v34, v9, v37
	v_fma_f32 v9, -v9, v38, v43
	v_fmac_f32_e32 v34, v8, v38
	v_fmac_f32_e32 v9, v10, v39
	;; [unrolled: 1-line block ×3, first 2 shown]
	v_fma_f32 v43, -v11, v40, v9
	v_fmac_f32_e32 v34, v10, v40
	global_load_dwordx4 v[8:11], v[27:28], off offset:592
	global_load_dwordx4 v[37:40], v[41:42], off offset:16
	s_waitcnt vmcnt(0)
	v_fmac_f32_e32 v44, v4, v37
	v_fmac_f32_e32 v23, v5, v37
	v_fma_f32 v5, -v5, v38, v44
	v_fmac_f32_e32 v23, v4, v38
	v_fmac_f32_e32 v5, v6, v39
	;; [unrolled: 1-line block ×3, first 2 shown]
	v_fma_f32 v44, -v7, v40, v5
	v_fmac_f32_e32 v23, v6, v40
	global_load_dwordx4 v[4:7], v[27:28], off offset:624
	global_load_dword v41, v[31:32], off
	v_fmac_f32_e32 v45, v0, v37
	v_fmac_f32_e32 v24, v1, v37
	;; [unrolled: 1-line block ×4, first 2 shown]
	v_fma_f32 v1, -v1, v38, v45
	v_fmac_f32_e32 v24, v0, v38
	v_fma_f32 v9, -v9, v38, v46
	v_fmac_f32_e32 v35, v8, v38
	v_fmac_f32_e32 v1, v2, v39
	;; [unrolled: 1-line block ×5, first 2 shown]
	v_fma_f32 v45, -v3, v40, v1
	v_fmac_f32_e32 v24, v2, v40
	global_load_dwordx4 v[0:3], v[27:28], off offset:1056
	v_fma_f32 v50, -v11, v40, v9
	v_fmac_f32_e32 v35, v10, v40
	global_load_dwordx4 v[8:11], v[27:28], off offset:1024
	s_waitcnt vmcnt(3)
	v_fmac_f32_e32 v43, v4, v37
	v_fmac_f32_e32 v34, v5, v37
	s_waitcnt vmcnt(2)
	v_subrev_u32_e32 v37, s16, v41
	v_lshlrev_b32_e32 v37, 2, v37
	v_fma_f32 v5, -v5, v38, v43
	v_fmac_f32_e32 v34, v4, v38
	v_ashrrev_i32_e32 v38, 31, v37
	v_lshlrev_b64 v[37:38], 3, v[37:38]
	v_fmac_f32_e32 v5, v6, v39
	v_add_co_u32_e32 v48, vcc, s8, v37
	v_fmac_f32_e32 v34, v7, v39
	v_addc_co_u32_e32 v49, vcc, v36, v38, vcc
	v_fma_f32 v51, -v7, v40, v5
	v_fmac_f32_e32 v34, v6, v40
	global_load_dwordx4 v[4:7], v[27:28], off offset:1088
	global_load_dwordx4 v[40:43], v[48:49], off
	s_waitcnt vmcnt(0)
	v_fmac_f32_e32 v24, v1, v40
	v_fmac_f32_e32 v50, v4, v40
	v_fmac_f32_e32 v35, v5, v40
	v_fmac_f32_e32 v45, v0, v40
	v_fmac_f32_e32 v24, v0, v41
	v_fma_f32 v0, -v5, v41, v50
	v_fmac_f32_e32 v35, v4, v41
	v_fmac_f32_e32 v0, v6, v42
	;; [unrolled: 1-line block ×3, first 2 shown]
	v_fma_f32 v39, -v7, v43, v0
	v_fmac_f32_e32 v35, v6, v43
	global_load_dwordx4 v[4:7], v[27:28], off offset:1040
	v_fmac_f32_e32 v44, v8, v40
	v_fmac_f32_e32 v23, v9, v40
	v_fma_f32 v9, -v9, v41, v44
	v_fmac_f32_e32 v23, v8, v41
	v_fmac_f32_e32 v9, v10, v42
	;; [unrolled: 1-line block ×3, first 2 shown]
	v_fma_f32 v37, -v11, v43, v9
	v_fmac_f32_e32 v23, v10, v43
	global_load_dwordx4 v[8:11], v[27:28], off offset:1120
	v_fma_f32 v1, -v1, v41, v45
	global_load_dwordx4 v[44:47], v[27:28], off offset:1072
	v_fmac_f32_e32 v1, v2, v42
	v_fmac_f32_e32 v24, v3, v42
	v_fma_f32 v52, -v3, v43, v1
	v_fmac_f32_e32 v24, v2, v43
	s_waitcnt vmcnt(1)
	v_fmac_f32_e32 v51, v8, v40
	v_fmac_f32_e32 v34, v9, v40
	v_fma_f32 v0, -v9, v41, v51
	v_fmac_f32_e32 v34, v8, v41
	v_fmac_f32_e32 v0, v10, v42
	;; [unrolled: 1-line block ×3, first 2 shown]
	v_fma_f32 v38, -v11, v43, v0
	v_fmac_f32_e32 v34, v10, v43
	global_load_dwordx4 v[8:11], v[27:28], off offset:1104
	global_load_dwordx4 v[0:3], v[48:49], off offset:16
	s_waitcnt vmcnt(0)
	v_fmac_f32_e32 v37, v4, v0
	v_fmac_f32_e32 v23, v5, v0
	v_fma_f32 v5, -v5, v1, v37
	v_fmac_f32_e32 v23, v4, v1
	v_fmac_f32_e32 v5, v6, v2
	v_fmac_f32_e32 v23, v7, v2
	v_fma_f32 v37, -v7, v3, v5
	v_fmac_f32_e32 v23, v6, v3
	global_load_dwordx4 v[4:7], v[27:28], off offset:1136
	global_load_dword v41, v[31:32], off offset:16
	v_fmac_f32_e32 v52, v44, v0
	v_fmac_f32_e32 v24, v45, v0
	;; [unrolled: 1-line block ×5, first 2 shown]
	v_fma_f32 v40, -v45, v1, v52
	v_fmac_f32_e32 v24, v47, v2
	v_fmac_f32_e32 v40, v46, v2
	v_fmac_f32_e32 v24, v46, v3
	v_fma_f32 v9, -v9, v1, v39
	v_fmac_f32_e32 v35, v8, v1
	v_fma_f32 v40, -v47, v3, v40
	v_fmac_f32_e32 v9, v10, v2
	v_fmac_f32_e32 v35, v11, v2
	global_load_dwordx4 v[42:45], v[27:28], off offset:1568
	v_fma_f32 v48, -v11, v3, v9
	v_fmac_f32_e32 v35, v10, v3
	global_load_dwordx4 v[8:11], v[27:28], off offset:1536
	v_add_co_u32_e64 v31, s[6:7], 64, v31
	v_addc_co_u32_e64 v32, s[2:3], 0, v32, s[6:7]
	v_cmp_ge_i64_e64 s[2:3], v[29:30], v[19:20]
	s_or_b64 s[18:19], s[2:3], s[18:19]
	s_waitcnt vmcnt(3)
	v_fmac_f32_e32 v34, v5, v0
	v_fmac_f32_e32 v38, v4, v0
	;; [unrolled: 1-line block ×3, first 2 shown]
	s_waitcnt vmcnt(2)
	v_subrev_u32_e32 v4, s16, v41
	v_lshlrev_b32_e32 v4, 2, v4
	v_fma_f32 v0, -v5, v1, v38
	v_ashrrev_i32_e32 v5, 31, v4
	v_lshlrev_b64 v[4:5], 3, v[4:5]
	v_fmac_f32_e32 v0, v6, v2
	v_add_co_u32_e32 v46, vcc, s8, v4
	v_fmac_f32_e32 v34, v7, v2
	v_addc_co_u32_e32 v47, vcc, v36, v5, vcc
	v_fma_f32 v49, -v7, v3, v0
	v_fmac_f32_e32 v34, v6, v3
	global_load_dwordx4 v[0:3], v[27:28], off offset:1600
	global_load_dwordx4 v[4:7], v[46:47], off
	s_waitcnt vmcnt(0)
	v_fmac_f32_e32 v48, v0, v4
	v_fmac_f32_e32 v35, v1, v4
	v_fma_f32 v1, -v1, v5, v48
	v_fmac_f32_e32 v35, v0, v5
	v_fmac_f32_e32 v1, v2, v6
	v_fmac_f32_e32 v35, v3, v6
	v_fma_f32 v48, -v3, v7, v1
	v_fmac_f32_e32 v35, v2, v7
	global_load_dwordx4 v[0:3], v[27:28], off offset:1552
	v_fmac_f32_e32 v37, v8, v4
	v_fmac_f32_e32 v23, v9, v4
	v_fma_f32 v9, -v9, v5, v37
	v_fmac_f32_e32 v23, v8, v5
	v_fmac_f32_e32 v9, v10, v6
	;; [unrolled: 1-line block ×3, first 2 shown]
	v_fma_f32 v50, -v11, v7, v9
	v_fmac_f32_e32 v23, v10, v7
	global_load_dwordx4 v[8:11], v[27:28], off offset:1632
	v_fmac_f32_e32 v40, v42, v4
	v_fmac_f32_e32 v24, v43, v4
	v_fma_f32 v37, -v43, v5, v40
	v_fmac_f32_e32 v24, v42, v5
	v_fmac_f32_e32 v37, v44, v6
	;; [unrolled: 1-line block ×3, first 2 shown]
	v_fma_f32 v45, -v45, v7, v37
	global_load_dwordx4 v[37:40], v[27:28], off offset:1584
	v_fmac_f32_e32 v24, v44, v7
	s_waitcnt vmcnt(1)
	v_fmac_f32_e32 v49, v8, v4
	v_fmac_f32_e32 v34, v9, v4
	v_fma_f32 v4, -v9, v5, v49
	v_fmac_f32_e32 v34, v8, v5
	v_fmac_f32_e32 v4, v10, v6
	;; [unrolled: 1-line block ×3, first 2 shown]
	v_fma_f32 v9, -v11, v7, v4
	v_fmac_f32_e32 v34, v10, v7
	global_load_dwordx4 v[4:7], v[27:28], off offset:1616
	global_load_dwordx4 v[41:44], v[46:47], off offset:16
	s_waitcnt vmcnt(0)
	v_fmac_f32_e32 v50, v0, v41
	v_fmac_f32_e32 v23, v1, v41
	v_fma_f32 v1, -v1, v42, v50
	v_fmac_f32_e32 v23, v0, v42
	v_fmac_f32_e32 v1, v2, v43
	;; [unrolled: 1-line block ×3, first 2 shown]
	v_fma_f32 v8, -v3, v44, v1
	v_fmac_f32_e32 v23, v2, v44
	global_load_dwordx4 v[0:3], v[27:28], off offset:1648
	v_fmac_f32_e32 v45, v37, v41
	v_fmac_f32_e32 v24, v38, v41
	;; [unrolled: 1-line block ×4, first 2 shown]
	v_fma_f32 v10, -v38, v42, v45
	v_fmac_f32_e32 v24, v37, v42
	v_fma_f32 v5, -v5, v42, v48
	v_fmac_f32_e32 v35, v4, v42
	v_add_co_u32_e32 v27, vcc, s17, v27
	v_fmac_f32_e32 v10, v39, v43
	v_fmac_f32_e32 v24, v40, v43
	;; [unrolled: 1-line block ×4, first 2 shown]
	v_addc_co_u32_e32 v28, vcc, 0, v28, vcc
	v_fmac_f32_e32 v24, v39, v44
	v_fma_f32 v7, -v7, v44, v5
	v_fmac_f32_e32 v35, v6, v44
	s_waitcnt vmcnt(0)
	v_fmac_f32_e32 v9, v0, v41
	v_fmac_f32_e32 v34, v1, v41
	v_fma_f32 v1, -v1, v42, v9
	v_fmac_f32_e32 v34, v0, v42
	v_fmac_f32_e32 v1, v2, v43
	;; [unrolled: 1-line block ×3, first 2 shown]
	v_fma_f32 v9, -v40, v44, v10
	v_fma_f32 v6, -v3, v44, v1
	v_fmac_f32_e32 v34, v2, v44
	s_andn2_b64 exec, exec, s[18:19]
	s_cbranch_execnz .LBB30_19
; %bb.20:
	s_or_b64 exec, exec, s[18:19]
.LBB30_21:
	s_or_b64 exec, exec, s[14:15]
.LBB30_22:
	s_or_b64 exec, exec, s[10:11]
	s_cbranch_execz .LBB30_24
	s_branch .LBB30_35
.LBB30_23:
                                        ; implicit-def: $vgpr23
                                        ; implicit-def: $vgpr8
                                        ; implicit-def: $vgpr6
                                        ; implicit-def: $vgpr34
                                        ; implicit-def: $vgpr7
                                        ; implicit-def: $vgpr35
                                        ; implicit-def: $vgpr9
                                        ; implicit-def: $vgpr24
.LBB30_24:
	v_mov_b32_e32 v23, 0
	v_mov_b32_e32 v8, 0
	;; [unrolled: 1-line block ×8, first 2 shown]
	s_and_saveexec_b64 s[10:11], s[0:1]
	s_cbranch_execz .LBB30_34
; %bb.25:
	v_or_b32_e32 v0, 4, v33
	v_subrev_co_u32_e32 v0, vcc, s16, v0
	v_subb_co_u32_e64 v1, s[0:1], 0, 0, vcc
	v_add_co_u32_e32 v0, vcc, v0, v25
	v_addc_co_u32_e32 v1, vcc, v1, v26, vcc
	v_cmp_gt_i64_e32 vcc, v[0:1], v[19:20]
	v_not_b32_e32 v3, v25
	v_cndmask_b32_e32 v1, v20, v1, vcc
	v_cndmask_b32_e32 v0, v19, v0, vcc
	v_sub_co_u32_e32 v4, vcc, s16, v33
	v_not_b32_e32 v2, v26
	v_subb_co_u32_e64 v5, s[0:1], 0, 0, vcc
	v_add_co_u32_e32 v3, vcc, v4, v3
	v_addc_co_u32_e32 v2, vcc, v5, v2, vcc
	v_add_co_u32_e32 v0, vcc, v3, v0
	v_addc_co_u32_e32 v1, vcc, v2, v1, vcc
	v_and_b32_e32 v23, 12, v0
	v_mov_b32_e32 v24, 0
	v_cmp_ne_u64_e32 vcc, 12, v[23:24]
	v_mov_b32_e32 v9, v24
	v_mov_b32_e32 v35, v24
	;; [unrolled: 1-line block ×7, first 2 shown]
	s_and_saveexec_b64 s[14:15], vcc
	s_cbranch_execz .LBB30_29
; %bb.26:
	v_lshrrev_b32_e32 v2, 2, v0
	v_add_u32_e32 v2, 1, v2
	v_and_b32_e32 v4, 3, v2
	v_lshlrev_b64 v[2:3], 2, v[17:18]
	v_mov_b32_e32 v5, s13
	v_add_co_u32_e32 v2, vcc, s12, v2
	v_addc_co_u32_e32 v3, vcc, v5, v3, vcc
	v_sub_co_u32_e32 v4, vcc, 0, v4
	v_mov_b32_e32 v23, 0
	s_mov_b64 s[18:19], 0
	v_subb_co_u32_e64 v5, s[0:1], 0, 0, vcc
	s_movk_i32 s17, 0x200
	s_waitcnt lgkmcnt(0)
	v_mov_b32_e32 v10, s9
	v_mov_b32_e32 v8, 0
	;; [unrolled: 1-line block ×8, first 2 shown]
.LBB30_27:                              ; =>This Inner Loop Header: Depth=1
	global_load_dword v11, v[2:3], off
	global_load_dwordx4 v[25:28], v[21:22], off offset:32
	global_load_dwordx4 v[29:32], v[21:22], off offset:16
	global_load_dwordx4 v[36:39], v[21:22], off
	v_add_co_u32_e64 v17, s[0:1], 4, v17
	v_add_co_u32_e64 v2, s[2:3], 16, v2
	;; [unrolled: 1-line block ×3, first 2 shown]
	v_addc_co_u32_e64 v18, s[0:1], 0, v18, s[0:1]
	v_addc_co_u32_e64 v3, s[0:1], 0, v3, s[2:3]
	v_addc_co_u32_e64 v5, s[0:1], 0, v5, s[6:7]
	v_cmp_eq_u64_e64 s[0:1], 0, v[4:5]
	s_or_b64 s[18:19], s[0:1], s[18:19]
	s_waitcnt vmcnt(3)
	v_subrev_u32_e32 v11, s16, v11
	v_lshlrev_b32_e32 v40, 2, v11
	v_ashrrev_i32_e32 v41, 31, v40
	v_lshlrev_b64 v[40:41], 3, v[40:41]
	v_add_co_u32_e32 v44, vcc, s8, v40
	v_addc_co_u32_e32 v45, vcc, v10, v41, vcc
	global_load_dwordx4 v[40:43], v[44:45], off
	s_waitcnt vmcnt(0)
	v_fmac_f32_e32 v8, v36, v40
	v_fmac_f32_e32 v23, v37, v40
	;; [unrolled: 1-line block ×4, first 2 shown]
	v_fma_f32 v8, -v37, v41, v8
	v_fmac_f32_e32 v23, v36, v41
	v_fma_f32 v9, -v39, v41, v9
	v_fmac_f32_e32 v24, v38, v41
	global_load_dwordx4 v[36:39], v[21:22], off offset:48
	v_fmac_f32_e32 v7, v29, v40
	v_fmac_f32_e32 v35, v30, v40
	;; [unrolled: 1-line block ×4, first 2 shown]
	v_fma_f32 v11, -v30, v41, v7
	v_fmac_f32_e32 v35, v29, v41
	v_fma_f32 v40, -v32, v41, v6
	v_fmac_f32_e32 v34, v31, v41
	v_fmac_f32_e32 v8, v25, v42
	;; [unrolled: 1-line block ×5, first 2 shown]
	v_fma_f32 v41, -v26, v43, v8
	v_fma_f32 v46, -v28, v43, v9
	global_load_dwordx4 v[6:9], v[21:22], off offset:80
	global_load_dwordx4 v[29:32], v[21:22], off offset:96
	v_fmac_f32_e32 v23, v25, v43
	v_fmac_f32_e32 v24, v27, v43
	s_waitcnt vmcnt(2)
	v_fmac_f32_e32 v11, v36, v42
	v_fmac_f32_e32 v35, v37, v42
	;; [unrolled: 1-line block ×4, first 2 shown]
	v_fma_f32 v11, -v37, v43, v11
	v_fmac_f32_e32 v35, v36, v43
	v_fma_f32 v40, -v39, v43, v40
	v_fmac_f32_e32 v34, v38, v43
	global_load_dwordx4 v[25:28], v[21:22], off offset:64
	global_load_dwordx4 v[36:39], v[44:45], off offset:16
	s_waitcnt vmcnt(0)
	v_fmac_f32_e32 v41, v25, v36
	v_fmac_f32_e32 v23, v26, v36
	;; [unrolled: 1-line block ×4, first 2 shown]
	v_fma_f32 v41, -v26, v37, v41
	v_fmac_f32_e32 v23, v25, v37
	v_fma_f32 v42, -v28, v37, v46
	v_fmac_f32_e32 v24, v27, v37
	global_load_dwordx4 v[25:28], v[21:22], off offset:112
	v_fmac_f32_e32 v11, v6, v36
	v_fmac_f32_e32 v35, v7, v36
	;; [unrolled: 1-line block ×4, first 2 shown]
	v_fma_f32 v7, -v7, v37, v11
	v_fmac_f32_e32 v35, v6, v37
	v_fma_f32 v6, -v9, v37, v40
	v_fmac_f32_e32 v34, v8, v37
	v_add_co_u32_e32 v21, vcc, s17, v21
	v_fmac_f32_e32 v41, v29, v38
	v_fmac_f32_e32 v23, v30, v38
	;; [unrolled: 1-line block ×4, first 2 shown]
	v_addc_co_u32_e32 v22, vcc, 0, v22, vcc
	v_fma_f32 v8, -v30, v39, v41
	v_fmac_f32_e32 v23, v29, v39
	v_fma_f32 v9, -v32, v39, v42
	v_fmac_f32_e32 v24, v31, v39
	s_waitcnt vmcnt(0)
	v_fmac_f32_e32 v7, v25, v38
	v_fmac_f32_e32 v35, v26, v38
	;; [unrolled: 1-line block ×4, first 2 shown]
	v_fma_f32 v7, -v26, v39, v7
	v_fmac_f32_e32 v35, v25, v39
	v_fma_f32 v6, -v28, v39, v6
	v_fmac_f32_e32 v34, v27, v39
	s_andn2_b64 exec, exec, s[18:19]
	s_cbranch_execnz .LBB30_27
; %bb.28:
	s_or_b64 exec, exec, s[18:19]
.LBB30_29:
	s_or_b64 exec, exec, s[14:15]
	v_cmp_lt_u64_e32 vcc, 11, v[0:1]
	s_and_saveexec_b64 s[6:7], vcc
	s_cbranch_execz .LBB30_33
; %bb.30:
	v_lshlrev_b64 v[0:1], 2, v[17:18]
	v_mov_b32_e32 v2, s13
	v_add_co_u32_e32 v0, vcc, s12, v0
	v_addc_co_u32_e32 v1, vcc, v2, v1, vcc
	v_add_co_u32_e32 v25, vcc, 32, v0
	v_addc_co_u32_e32 v26, vcc, 0, v1, vcc
	s_mov_b64 s[12:13], 0
	s_waitcnt lgkmcnt(0)
	v_mov_b32_e32 v27, s9
	s_movk_i32 s9, 0x800
.LBB30_31:                              ; =>This Inner Loop Header: Depth=1
	global_load_dword v4, v[25:26], off offset:-32
	global_load_dwordx4 v[0:3], v[21:22], off offset:32
	global_load_dwordx4 v[28:31], v[21:22], off offset:16
	global_load_dwordx4 v[36:39], v[21:22], off
	v_add_co_u32_e64 v17, s[0:1], 16, v17
	v_addc_co_u32_e64 v18, s[0:1], 0, v18, s[0:1]
	s_waitcnt vmcnt(3)
	v_subrev_u32_e32 v4, s16, v4
	v_lshlrev_b32_e32 v4, 2, v4
	v_ashrrev_i32_e32 v5, 31, v4
	v_lshlrev_b64 v[4:5], 3, v[4:5]
	v_add_co_u32_e32 v44, vcc, s8, v4
	v_addc_co_u32_e32 v45, vcc, v27, v5, vcc
	global_load_dwordx4 v[40:43], v[44:45], off
	s_waitcnt vmcnt(0)
	v_fmac_f32_e32 v8, v36, v40
	v_fmac_f32_e32 v23, v37, v40
	;; [unrolled: 1-line block ×3, first 2 shown]
	v_fma_f32 v32, -v37, v41, v8
	v_fmac_f32_e32 v23, v36, v41
	v_fma_f32 v36, -v39, v41, v9
	global_load_dwordx4 v[8:11], v[21:22], off offset:48
	v_fmac_f32_e32 v24, v39, v40
	v_fmac_f32_e32 v24, v38, v41
	;; [unrolled: 1-line block ×6, first 2 shown]
	v_fma_f32 v29, -v29, v41, v7
	v_fmac_f32_e32 v35, v28, v41
	v_fma_f32 v28, -v31, v41, v6
	v_fmac_f32_e32 v34, v30, v41
	v_fmac_f32_e32 v32, v0, v42
	;; [unrolled: 1-line block ×5, first 2 shown]
	v_fma_f32 v32, -v1, v43, v32
	v_fmac_f32_e32 v23, v0, v43
	v_fma_f32 v36, -v3, v43, v36
	v_fmac_f32_e32 v24, v2, v43
	global_load_dwordx4 v[0:3], v[21:22], off offset:80
	global_load_dwordx4 v[4:7], v[21:22], off offset:96
	s_waitcnt vmcnt(2)
	v_fmac_f32_e32 v29, v8, v42
	v_fmac_f32_e32 v35, v9, v42
	v_fmac_f32_e32 v28, v10, v42
	v_fmac_f32_e32 v34, v11, v42
	v_fma_f32 v37, -v9, v43, v29
	v_fmac_f32_e32 v35, v8, v43
	v_fma_f32 v38, -v11, v43, v28
	v_fmac_f32_e32 v34, v10, v43
	global_load_dwordx4 v[8:11], v[21:22], off offset:64
	global_load_dwordx4 v[28:31], v[44:45], off offset:16
	s_waitcnt vmcnt(0)
	v_fmac_f32_e32 v32, v8, v28
	v_fmac_f32_e32 v23, v9, v28
	v_fmac_f32_e32 v36, v10, v28
	v_fmac_f32_e32 v24, v11, v28
	v_fma_f32 v32, -v9, v29, v32
	v_fmac_f32_e32 v23, v8, v29
	v_fma_f32 v36, -v11, v29, v36
	v_fmac_f32_e32 v24, v10, v29
	global_load_dwordx4 v[8:11], v[21:22], off offset:112
	global_load_dword v39, v[25:26], off offset:-16
	v_fmac_f32_e32 v37, v0, v28
	v_fmac_f32_e32 v35, v1, v28
	v_fmac_f32_e32 v38, v2, v28
	v_fmac_f32_e32 v34, v3, v28
	v_fma_f32 v28, -v1, v29, v37
	v_fmac_f32_e32 v35, v0, v29
	v_fma_f32 v37, -v3, v29, v38
	v_fmac_f32_e32 v34, v2, v29
	v_fmac_f32_e32 v36, v6, v30
	v_fma_f32 v38, -v7, v31, v36
	v_fmac_f32_e32 v32, v4, v30
	v_fmac_f32_e32 v23, v5, v30
	;; [unrolled: 1-line block ×3, first 2 shown]
	v_fma_f32 v32, -v5, v31, v32
	v_fmac_f32_e32 v23, v4, v31
	v_fmac_f32_e32 v24, v6, v31
	global_load_dwordx4 v[4:7], v[21:22], off offset:528
	global_load_dwordx4 v[0:3], v[21:22], off offset:544
	s_waitcnt vmcnt(3)
	v_fmac_f32_e32 v28, v8, v30
	v_fma_f32 v40, -v9, v31, v28
	s_waitcnt vmcnt(2)
	v_subrev_u32_e32 v28, s16, v39
	v_lshlrev_b32_e32 v28, 2, v28
	v_ashrrev_i32_e32 v29, 31, v28
	v_lshlrev_b64 v[28:29], 3, v[28:29]
	v_fmac_f32_e32 v37, v10, v30
	v_add_co_u32_e32 v36, vcc, s8, v28
	v_fmac_f32_e32 v35, v9, v30
	v_fmac_f32_e32 v34, v11, v30
	v_fma_f32 v41, -v11, v31, v37
	v_addc_co_u32_e32 v37, vcc, v27, v29, vcc
	v_fmac_f32_e32 v35, v8, v31
	v_fmac_f32_e32 v34, v10, v31
	global_load_dwordx4 v[8:11], v[21:22], off offset:512
	global_load_dwordx4 v[28:31], v[36:37], off
	s_waitcnt vmcnt(0)
	v_fmac_f32_e32 v32, v8, v28
	v_fmac_f32_e32 v23, v9, v28
	v_fmac_f32_e32 v38, v10, v28
	v_fmac_f32_e32 v24, v11, v28
	v_fma_f32 v32, -v9, v29, v32
	v_fmac_f32_e32 v23, v8, v29
	v_fma_f32 v38, -v11, v29, v38
	v_fmac_f32_e32 v24, v10, v29
	global_load_dwordx4 v[8:11], v[21:22], off offset:560
	v_fmac_f32_e32 v40, v4, v28
	v_fmac_f32_e32 v35, v5, v28
	v_fmac_f32_e32 v41, v6, v28
	v_fmac_f32_e32 v34, v7, v28
	v_fma_f32 v28, -v5, v29, v40
	v_fmac_f32_e32 v35, v4, v29
	v_fma_f32 v39, -v7, v29, v41
	v_fmac_f32_e32 v34, v6, v29
	v_fmac_f32_e32 v32, v0, v30
	;; [unrolled: 1-line block ×5, first 2 shown]
	global_load_dwordx4 v[4:7], v[21:22], off offset:608
	v_fma_f32 v32, -v1, v31, v32
	v_fmac_f32_e32 v23, v0, v31
	v_fma_f32 v38, -v3, v31, v38
	v_fmac_f32_e32 v24, v2, v31
	global_load_dwordx4 v[0:3], v[21:22], off offset:592
	s_waitcnt vmcnt(2)
	v_fmac_f32_e32 v28, v8, v30
	v_fmac_f32_e32 v35, v9, v30
	v_fmac_f32_e32 v39, v10, v30
	v_fmac_f32_e32 v34, v11, v30
	v_fma_f32 v40, -v9, v31, v28
	v_fmac_f32_e32 v35, v8, v31
	v_fma_f32 v39, -v11, v31, v39
	v_fmac_f32_e32 v34, v10, v31
	global_load_dwordx4 v[8:11], v[21:22], off offset:576
	global_load_dwordx4 v[28:31], v[36:37], off offset:16
	s_waitcnt vmcnt(0)
	v_fmac_f32_e32 v32, v8, v28
	v_fmac_f32_e32 v23, v9, v28
	;; [unrolled: 1-line block ×4, first 2 shown]
	v_fma_f32 v32, -v9, v29, v32
	v_fmac_f32_e32 v23, v8, v29
	v_fma_f32 v36, -v11, v29, v38
	v_fmac_f32_e32 v24, v10, v29
	global_load_dwordx4 v[8:11], v[21:22], off offset:624
	global_load_dword v37, v[25:26], off
	v_fmac_f32_e32 v40, v0, v28
	v_fmac_f32_e32 v35, v1, v28
	;; [unrolled: 1-line block ×4, first 2 shown]
	v_fma_f32 v28, -v1, v29, v40
	v_fmac_f32_e32 v35, v0, v29
	v_fma_f32 v38, -v3, v29, v39
	v_fmac_f32_e32 v34, v2, v29
	v_fmac_f32_e32 v32, v4, v30
	;; [unrolled: 1-line block ×5, first 2 shown]
	v_fma_f32 v32, -v5, v31, v32
	v_fmac_f32_e32 v23, v4, v31
	v_fma_f32 v36, -v7, v31, v36
	v_fmac_f32_e32 v24, v6, v31
	global_load_dwordx4 v[4:7], v[21:22], off offset:1040
	global_load_dwordx4 v[0:3], v[21:22], off offset:1056
	s_waitcnt vmcnt(3)
	v_fmac_f32_e32 v28, v8, v30
	v_fma_f32 v40, -v9, v31, v28
	s_waitcnt vmcnt(2)
	v_subrev_u32_e32 v28, s16, v37
	v_lshlrev_b32_e32 v28, 2, v28
	v_ashrrev_i32_e32 v29, 31, v28
	v_lshlrev_b64 v[28:29], 3, v[28:29]
	v_fmac_f32_e32 v35, v9, v30
	v_add_co_u32_e32 v44, vcc, s8, v28
	v_fmac_f32_e32 v38, v10, v30
	v_fmac_f32_e32 v34, v11, v30
	v_addc_co_u32_e32 v45, vcc, v27, v29, vcc
	v_fmac_f32_e32 v35, v8, v31
	v_fma_f32 v41, -v11, v31, v38
	v_fmac_f32_e32 v34, v10, v31
	global_load_dwordx4 v[8:11], v[21:22], off offset:1024
	global_load_dwordx4 v[28:31], v[44:45], off
	s_waitcnt vmcnt(0)
	v_fmac_f32_e32 v36, v10, v28
	v_fma_f32 v42, -v11, v29, v36
	global_load_dwordx4 v[36:39], v[21:22], off offset:1072
	v_fmac_f32_e32 v32, v8, v28
	v_fmac_f32_e32 v23, v9, v28
	;; [unrolled: 1-line block ×6, first 2 shown]
	v_fma_f32 v32, -v9, v29, v32
	v_fmac_f32_e32 v23, v8, v29
	v_fmac_f32_e32 v24, v10, v29
	v_fmac_f32_e32 v34, v7, v28
	v_fma_f32 v5, -v5, v29, v40
	v_fmac_f32_e32 v35, v4, v29
	v_fma_f32 v4, -v7, v29, v41
	v_fmac_f32_e32 v34, v6, v29
	v_fmac_f32_e32 v32, v0, v30
	;; [unrolled: 1-line block ×5, first 2 shown]
	global_load_dwordx4 v[8:11], v[21:22], off offset:1120
	v_fma_f32 v28, -v1, v31, v32
	v_fmac_f32_e32 v23, v0, v31
	v_fma_f32 v29, -v3, v31, v42
	v_fmac_f32_e32 v24, v2, v31
	global_load_dwordx4 v[40:43], v[21:22], off offset:1104
	s_waitcnt vmcnt(2)
	v_fmac_f32_e32 v5, v36, v30
	v_fmac_f32_e32 v4, v38, v30
	v_fmac_f32_e32 v35, v37, v30
	v_fmac_f32_e32 v34, v39, v30
	v_fma_f32 v30, -v37, v31, v5
	v_fma_f32 v32, -v39, v31, v4
	global_load_dwordx4 v[4:7], v[21:22], off offset:1088
	global_load_dwordx4 v[0:3], v[44:45], off offset:16
	v_fmac_f32_e32 v35, v36, v31
	v_fmac_f32_e32 v34, v38, v31
	s_waitcnt vmcnt(0)
	v_fmac_f32_e32 v28, v4, v0
	v_fmac_f32_e32 v23, v5, v0
	;; [unrolled: 1-line block ×4, first 2 shown]
	v_fma_f32 v28, -v5, v1, v28
	v_fmac_f32_e32 v23, v4, v1
	v_fma_f32 v29, -v7, v1, v29
	v_fmac_f32_e32 v24, v6, v1
	global_load_dwordx4 v[4:7], v[21:22], off offset:1136
	global_load_dword v31, v[25:26], off offset:16
	v_fmac_f32_e32 v35, v41, v0
	v_fmac_f32_e32 v30, v40, v0
	;; [unrolled: 1-line block ×5, first 2 shown]
	v_fma_f32 v0, -v41, v1, v30
	v_fma_f32 v30, -v43, v1, v32
	v_fmac_f32_e32 v34, v42, v1
	v_fmac_f32_e32 v28, v8, v2
	;; [unrolled: 1-line block ×5, first 2 shown]
	v_fma_f32 v28, -v9, v3, v28
	v_fmac_f32_e32 v23, v8, v3
	v_fma_f32 v29, -v11, v3, v29
	v_fmac_f32_e32 v24, v10, v3
	global_load_dwordx4 v[8:11], v[21:22], off offset:1552
	global_load_dwordx4 v[36:39], v[21:22], off offset:1568
	v_add_co_u32_e64 v25, s[2:3], 64, v25
	v_addc_co_u32_e64 v26, s[0:1], 0, v26, s[2:3]
	v_cmp_ge_i64_e64 s[0:1], v[17:18], v[19:20]
	s_or_b64 s[12:13], s[0:1], s[12:13]
	s_waitcnt vmcnt(3)
	v_fmac_f32_e32 v35, v5, v2
	v_fmac_f32_e32 v0, v4, v2
	;; [unrolled: 1-line block ×3, first 2 shown]
	s_waitcnt vmcnt(2)
	v_subrev_u32_e32 v4, s16, v31
	v_lshlrev_b32_e32 v4, 2, v4
	v_fma_f32 v32, -v5, v3, v0
	v_ashrrev_i32_e32 v5, 31, v4
	v_lshlrev_b64 v[4:5], 3, v[4:5]
	v_fmac_f32_e32 v30, v6, v2
	v_add_co_u32_e32 v40, vcc, s8, v4
	v_fmac_f32_e32 v34, v7, v2
	v_addc_co_u32_e32 v41, vcc, v27, v5, vcc
	v_fma_f32 v30, -v7, v3, v30
	v_fmac_f32_e32 v34, v6, v3
	global_load_dwordx4 v[0:3], v[21:22], off offset:1536
	global_load_dwordx4 v[4:7], v[40:41], off
	s_waitcnt vmcnt(0)
	v_fmac_f32_e32 v28, v0, v4
	v_fmac_f32_e32 v23, v1, v4
	;; [unrolled: 1-line block ×4, first 2 shown]
	v_fma_f32 v42, -v1, v5, v28
	v_fmac_f32_e32 v23, v0, v5
	v_fma_f32 v43, -v3, v5, v29
	v_fmac_f32_e32 v24, v2, v5
	global_load_dwordx4 v[0:3], v[21:22], off offset:1584
	v_fmac_f32_e32 v32, v8, v4
	v_fmac_f32_e32 v35, v9, v4
	;; [unrolled: 1-line block ×4, first 2 shown]
	v_fma_f32 v4, -v9, v5, v32
	v_fmac_f32_e32 v35, v8, v5
	v_fma_f32 v32, -v11, v5, v30
	v_fmac_f32_e32 v34, v10, v5
	v_fmac_f32_e32 v42, v36, v6
	;; [unrolled: 1-line block ×5, first 2 shown]
	global_load_dwordx4 v[28:31], v[21:22], off offset:1632
	global_load_dwordx4 v[8:11], v[21:22], off offset:1616
	v_fma_f32 v5, -v37, v7, v42
	v_fmac_f32_e32 v23, v36, v7
	v_fma_f32 v42, -v39, v7, v43
	v_fmac_f32_e32 v24, v38, v7
	s_waitcnt vmcnt(2)
	v_fmac_f32_e32 v4, v0, v6
	v_fmac_f32_e32 v35, v1, v6
	;; [unrolled: 1-line block ×4, first 2 shown]
	v_fma_f32 v4, -v1, v7, v4
	v_fmac_f32_e32 v35, v0, v7
	v_fma_f32 v6, -v3, v7, v32
	v_fmac_f32_e32 v34, v2, v7
	global_load_dwordx4 v[0:3], v[21:22], off offset:1600
	global_load_dwordx4 v[36:39], v[40:41], off offset:16
	s_waitcnt vmcnt(0)
	v_fmac_f32_e32 v5, v0, v36
	v_fmac_f32_e32 v23, v1, v36
	;; [unrolled: 1-line block ×4, first 2 shown]
	v_fma_f32 v5, -v1, v37, v5
	v_fmac_f32_e32 v23, v0, v37
	v_fma_f32 v7, -v3, v37, v42
	v_fmac_f32_e32 v24, v2, v37
	global_load_dwordx4 v[0:3], v[21:22], off offset:1648
	v_fmac_f32_e32 v4, v8, v36
	v_fmac_f32_e32 v35, v9, v36
	;; [unrolled: 1-line block ×4, first 2 shown]
	v_fma_f32 v4, -v9, v37, v4
	v_fmac_f32_e32 v35, v8, v37
	v_fma_f32 v6, -v11, v37, v6
	v_fmac_f32_e32 v34, v10, v37
	v_add_co_u32_e32 v21, vcc, s9, v21
	v_fmac_f32_e32 v5, v28, v38
	v_fmac_f32_e32 v23, v29, v38
	;; [unrolled: 1-line block ×4, first 2 shown]
	v_addc_co_u32_e32 v22, vcc, 0, v22, vcc
	v_fma_f32 v8, -v29, v39, v5
	v_fmac_f32_e32 v23, v28, v39
	v_fma_f32 v9, -v31, v39, v7
	v_fmac_f32_e32 v24, v30, v39
	s_waitcnt vmcnt(0)
	v_fmac_f32_e32 v4, v0, v38
	v_fmac_f32_e32 v35, v1, v38
	;; [unrolled: 1-line block ×4, first 2 shown]
	v_fma_f32 v7, -v1, v39, v4
	v_fmac_f32_e32 v35, v0, v39
	v_fma_f32 v6, -v3, v39, v6
	v_fmac_f32_e32 v34, v2, v39
	s_andn2_b64 exec, exec, s[12:13]
	s_cbranch_execnz .LBB30_31
; %bb.32:
	s_or_b64 exec, exec, s[12:13]
.LBB30_33:
	s_or_b64 exec, exec, s[6:7]
.LBB30_34:
	s_or_b64 exec, exec, s[10:11]
.LBB30_35:
	v_mov_b32_dpp v0, v8 row_shr:1 row_mask:0xf bank_mask:0xf
	v_add_f32_e32 v0, v8, v0
	v_mov_b32_dpp v2, v23 row_shr:1 row_mask:0xf bank_mask:0xf
	v_mov_b32_dpp v4, v9 row_shr:1 row_mask:0xf bank_mask:0xf
	;; [unrolled: 1-line block ×7, first 2 shown]
	v_add_f32_e32 v2, v23, v2
	v_add_f32_e32 v4, v9, v4
	;; [unrolled: 1-line block ×7, first 2 shown]
	v_mov_b32_dpp v1, v0 row_shr:2 row_mask:0xf bank_mask:0xf
	v_mov_b32_dpp v3, v2 row_shr:2 row_mask:0xf bank_mask:0xf
	;; [unrolled: 1-line block ×8, first 2 shown]
	v_cmp_eq_u32_e32 vcc, 3, v33
	s_and_b64 exec, exec, vcc
	s_cbranch_execz .LBB30_8
; %bb.36:
	s_load_dwordx2 s[2:3], s[4:5], 0x50
	v_add_f32_e32 v21, v0, v1
	v_add_f32_e32 v0, v2, v3
	;; [unrolled: 1-line block ×8, first 2 shown]
	v_cmp_eq_f32_e32 vcc, 0, v12
	v_cmp_eq_f32_e64 s[0:1], 0, v13
	v_mul_f32_e64 v4, v0, -v15
	v_mul_f32_e32 v5, v14, v0
	v_mul_f32_e64 v6, v1, -v15
	v_mul_f32_e32 v7, v14, v1
	;; [unrolled: 2-line block ×4, first 2 shown]
	s_and_b64 s[0:1], vcc, s[0:1]
	v_fmac_f32_e32 v4, v14, v21
	v_fmac_f32_e32 v5, v15, v21
	v_lshlrev_b32_e32 v8, 2, v16
	v_fmac_f32_e32 v6, v14, v22
	v_fmac_f32_e32 v7, v15, v22
	;; [unrolled: 1-line block ×6, first 2 shown]
	s_and_saveexec_b64 s[4:5], s[0:1]
	s_xor_b64 s[0:1], exec, s[4:5]
	s_cbranch_execz .LBB30_38
; %bb.37:
	v_ashrrev_i32_e32 v9, 31, v8
	v_lshlrev_b64 v[8:9], 3, v[8:9]
	s_waitcnt lgkmcnt(0)
	v_mov_b32_e32 v10, s3
	v_add_co_u32_e32 v8, vcc, s2, v8
	v_addc_co_u32_e32 v9, vcc, v10, v9, vcc
	global_store_dwordx4 v[8:9], v[4:7], off
	global_store_dwordx4 v[8:9], v[0:3], off offset:16
                                        ; implicit-def: $vgpr12_vgpr13
                                        ; implicit-def: $vgpr4
                                        ; implicit-def: $vgpr8
                                        ; implicit-def: $vgpr0
.LBB30_38:
	s_andn2_saveexec_b64 s[0:1], s[0:1]
	s_cbranch_execz .LBB30_8
; %bb.39:
	v_ashrrev_i32_e32 v9, 31, v8
	v_lshlrev_b64 v[8:9], 3, v[8:9]
	s_waitcnt lgkmcnt(0)
	v_mov_b32_e32 v10, s3
	v_add_co_u32_e32 v18, vcc, s2, v8
	v_addc_co_u32_e32 v19, vcc, v10, v9, vcc
	global_load_dwordx4 v[8:11], v[18:19], off
	global_load_dwordx4 v[14:17], v[18:19], off offset:16
	s_waitcnt vmcnt(1)
	v_fmac_f32_e32 v4, v12, v8
	v_fmac_f32_e32 v5, v13, v8
	;; [unrolled: 1-line block ×4, first 2 shown]
	s_waitcnt vmcnt(0)
	v_fmac_f32_e32 v0, v12, v14
	v_fmac_f32_e32 v1, v13, v14
	;; [unrolled: 1-line block ×4, first 2 shown]
	v_fma_f32 v4, -v13, v9, v4
	v_fmac_f32_e32 v5, v12, v9
	v_fma_f32 v6, -v13, v11, v6
	v_fmac_f32_e32 v7, v12, v11
	;; [unrolled: 2-line block ×4, first 2 shown]
	global_store_dwordx4 v[18:19], v[4:7], off
	global_store_dwordx4 v[18:19], v[0:3], off offset:16
	s_endpgm
	.section	.rodata,"a",@progbits
	.p2align	6, 0x0
	.amdhsa_kernel _ZN9rocsparseL18bsrxmvn_4x4_kernelILj128ELj4E21rocsparse_complex_numIfEliS2_S2_S2_EEvT3_20rocsparse_direction_NS_24const_host_device_scalarIT1_EES3_PKS3_PKT2_SC_S9_PKT4_PKT5_S7_PT6_21rocsparse_index_base_b
		.amdhsa_group_segment_fixed_size 0
		.amdhsa_private_segment_fixed_size 0
		.amdhsa_kernarg_size 96
		.amdhsa_user_sgpr_count 6
		.amdhsa_user_sgpr_private_segment_buffer 1
		.amdhsa_user_sgpr_dispatch_ptr 0
		.amdhsa_user_sgpr_queue_ptr 0
		.amdhsa_user_sgpr_kernarg_segment_ptr 1
		.amdhsa_user_sgpr_dispatch_id 0
		.amdhsa_user_sgpr_flat_scratch_init 0
		.amdhsa_user_sgpr_private_segment_size 0
		.amdhsa_uses_dynamic_stack 0
		.amdhsa_system_sgpr_private_segment_wavefront_offset 0
		.amdhsa_system_sgpr_workgroup_id_x 1
		.amdhsa_system_sgpr_workgroup_id_y 0
		.amdhsa_system_sgpr_workgroup_id_z 0
		.amdhsa_system_sgpr_workgroup_info 0
		.amdhsa_system_vgpr_workitem_id 0
		.amdhsa_next_free_vgpr 64
		.amdhsa_next_free_sgpr 20
		.amdhsa_reserve_vcc 1
		.amdhsa_reserve_flat_scratch 0
		.amdhsa_float_round_mode_32 0
		.amdhsa_float_round_mode_16_64 0
		.amdhsa_float_denorm_mode_32 3
		.amdhsa_float_denorm_mode_16_64 3
		.amdhsa_dx10_clamp 1
		.amdhsa_ieee_mode 1
		.amdhsa_fp16_overflow 0
		.amdhsa_exception_fp_ieee_invalid_op 0
		.amdhsa_exception_fp_denorm_src 0
		.amdhsa_exception_fp_ieee_div_zero 0
		.amdhsa_exception_fp_ieee_overflow 0
		.amdhsa_exception_fp_ieee_underflow 0
		.amdhsa_exception_fp_ieee_inexact 0
		.amdhsa_exception_int_div_zero 0
	.end_amdhsa_kernel
	.section	.text._ZN9rocsparseL18bsrxmvn_4x4_kernelILj128ELj4E21rocsparse_complex_numIfEliS2_S2_S2_EEvT3_20rocsparse_direction_NS_24const_host_device_scalarIT1_EES3_PKS3_PKT2_SC_S9_PKT4_PKT5_S7_PT6_21rocsparse_index_base_b,"axG",@progbits,_ZN9rocsparseL18bsrxmvn_4x4_kernelILj128ELj4E21rocsparse_complex_numIfEliS2_S2_S2_EEvT3_20rocsparse_direction_NS_24const_host_device_scalarIT1_EES3_PKS3_PKT2_SC_S9_PKT4_PKT5_S7_PT6_21rocsparse_index_base_b,comdat
.Lfunc_end30:
	.size	_ZN9rocsparseL18bsrxmvn_4x4_kernelILj128ELj4E21rocsparse_complex_numIfEliS2_S2_S2_EEvT3_20rocsparse_direction_NS_24const_host_device_scalarIT1_EES3_PKS3_PKT2_SC_S9_PKT4_PKT5_S7_PT6_21rocsparse_index_base_b, .Lfunc_end30-_ZN9rocsparseL18bsrxmvn_4x4_kernelILj128ELj4E21rocsparse_complex_numIfEliS2_S2_S2_EEvT3_20rocsparse_direction_NS_24const_host_device_scalarIT1_EES3_PKS3_PKT2_SC_S9_PKT4_PKT5_S7_PT6_21rocsparse_index_base_b
                                        ; -- End function
	.set _ZN9rocsparseL18bsrxmvn_4x4_kernelILj128ELj4E21rocsparse_complex_numIfEliS2_S2_S2_EEvT3_20rocsparse_direction_NS_24const_host_device_scalarIT1_EES3_PKS3_PKT2_SC_S9_PKT4_PKT5_S7_PT6_21rocsparse_index_base_b.num_vgpr, 64
	.set _ZN9rocsparseL18bsrxmvn_4x4_kernelILj128ELj4E21rocsparse_complex_numIfEliS2_S2_S2_EEvT3_20rocsparse_direction_NS_24const_host_device_scalarIT1_EES3_PKS3_PKT2_SC_S9_PKT4_PKT5_S7_PT6_21rocsparse_index_base_b.num_agpr, 0
	.set _ZN9rocsparseL18bsrxmvn_4x4_kernelILj128ELj4E21rocsparse_complex_numIfEliS2_S2_S2_EEvT3_20rocsparse_direction_NS_24const_host_device_scalarIT1_EES3_PKS3_PKT2_SC_S9_PKT4_PKT5_S7_PT6_21rocsparse_index_base_b.numbered_sgpr, 20
	.set _ZN9rocsparseL18bsrxmvn_4x4_kernelILj128ELj4E21rocsparse_complex_numIfEliS2_S2_S2_EEvT3_20rocsparse_direction_NS_24const_host_device_scalarIT1_EES3_PKS3_PKT2_SC_S9_PKT4_PKT5_S7_PT6_21rocsparse_index_base_b.num_named_barrier, 0
	.set _ZN9rocsparseL18bsrxmvn_4x4_kernelILj128ELj4E21rocsparse_complex_numIfEliS2_S2_S2_EEvT3_20rocsparse_direction_NS_24const_host_device_scalarIT1_EES3_PKS3_PKT2_SC_S9_PKT4_PKT5_S7_PT6_21rocsparse_index_base_b.private_seg_size, 0
	.set _ZN9rocsparseL18bsrxmvn_4x4_kernelILj128ELj4E21rocsparse_complex_numIfEliS2_S2_S2_EEvT3_20rocsparse_direction_NS_24const_host_device_scalarIT1_EES3_PKS3_PKT2_SC_S9_PKT4_PKT5_S7_PT6_21rocsparse_index_base_b.uses_vcc, 1
	.set _ZN9rocsparseL18bsrxmvn_4x4_kernelILj128ELj4E21rocsparse_complex_numIfEliS2_S2_S2_EEvT3_20rocsparse_direction_NS_24const_host_device_scalarIT1_EES3_PKS3_PKT2_SC_S9_PKT4_PKT5_S7_PT6_21rocsparse_index_base_b.uses_flat_scratch, 0
	.set _ZN9rocsparseL18bsrxmvn_4x4_kernelILj128ELj4E21rocsparse_complex_numIfEliS2_S2_S2_EEvT3_20rocsparse_direction_NS_24const_host_device_scalarIT1_EES3_PKS3_PKT2_SC_S9_PKT4_PKT5_S7_PT6_21rocsparse_index_base_b.has_dyn_sized_stack, 0
	.set _ZN9rocsparseL18bsrxmvn_4x4_kernelILj128ELj4E21rocsparse_complex_numIfEliS2_S2_S2_EEvT3_20rocsparse_direction_NS_24const_host_device_scalarIT1_EES3_PKS3_PKT2_SC_S9_PKT4_PKT5_S7_PT6_21rocsparse_index_base_b.has_recursion, 0
	.set _ZN9rocsparseL18bsrxmvn_4x4_kernelILj128ELj4E21rocsparse_complex_numIfEliS2_S2_S2_EEvT3_20rocsparse_direction_NS_24const_host_device_scalarIT1_EES3_PKS3_PKT2_SC_S9_PKT4_PKT5_S7_PT6_21rocsparse_index_base_b.has_indirect_call, 0
	.section	.AMDGPU.csdata,"",@progbits
; Kernel info:
; codeLenInByte = 6564
; TotalNumSgprs: 24
; NumVgprs: 64
; ScratchSize: 0
; MemoryBound: 0
; FloatMode: 240
; IeeeMode: 1
; LDSByteSize: 0 bytes/workgroup (compile time only)
; SGPRBlocks: 2
; VGPRBlocks: 15
; NumSGPRsForWavesPerEU: 24
; NumVGPRsForWavesPerEU: 64
; Occupancy: 4
; WaveLimiterHint : 1
; COMPUTE_PGM_RSRC2:SCRATCH_EN: 0
; COMPUTE_PGM_RSRC2:USER_SGPR: 6
; COMPUTE_PGM_RSRC2:TRAP_HANDLER: 0
; COMPUTE_PGM_RSRC2:TGID_X_EN: 1
; COMPUTE_PGM_RSRC2:TGID_Y_EN: 0
; COMPUTE_PGM_RSRC2:TGID_Z_EN: 0
; COMPUTE_PGM_RSRC2:TIDIG_COMP_CNT: 0
	.section	.text._ZN9rocsparseL18bsrxmvn_4x4_kernelILj128ELj8E21rocsparse_complex_numIfEliS2_S2_S2_EEvT3_20rocsparse_direction_NS_24const_host_device_scalarIT1_EES3_PKS3_PKT2_SC_S9_PKT4_PKT5_S7_PT6_21rocsparse_index_base_b,"axG",@progbits,_ZN9rocsparseL18bsrxmvn_4x4_kernelILj128ELj8E21rocsparse_complex_numIfEliS2_S2_S2_EEvT3_20rocsparse_direction_NS_24const_host_device_scalarIT1_EES3_PKS3_PKT2_SC_S9_PKT4_PKT5_S7_PT6_21rocsparse_index_base_b,comdat
	.globl	_ZN9rocsparseL18bsrxmvn_4x4_kernelILj128ELj8E21rocsparse_complex_numIfEliS2_S2_S2_EEvT3_20rocsparse_direction_NS_24const_host_device_scalarIT1_EES3_PKS3_PKT2_SC_S9_PKT4_PKT5_S7_PT6_21rocsparse_index_base_b ; -- Begin function _ZN9rocsparseL18bsrxmvn_4x4_kernelILj128ELj8E21rocsparse_complex_numIfEliS2_S2_S2_EEvT3_20rocsparse_direction_NS_24const_host_device_scalarIT1_EES3_PKS3_PKT2_SC_S9_PKT4_PKT5_S7_PT6_21rocsparse_index_base_b
	.p2align	8
	.type	_ZN9rocsparseL18bsrxmvn_4x4_kernelILj128ELj8E21rocsparse_complex_numIfEliS2_S2_S2_EEvT3_20rocsparse_direction_NS_24const_host_device_scalarIT1_EES3_PKS3_PKT2_SC_S9_PKT4_PKT5_S7_PT6_21rocsparse_index_base_b,@function
_ZN9rocsparseL18bsrxmvn_4x4_kernelILj128ELj8E21rocsparse_complex_numIfEliS2_S2_S2_EEvT3_20rocsparse_direction_NS_24const_host_device_scalarIT1_EES3_PKS3_PKT2_SC_S9_PKT4_PKT5_S7_PT6_21rocsparse_index_base_b: ; @_ZN9rocsparseL18bsrxmvn_4x4_kernelILj128ELj8E21rocsparse_complex_numIfEliS2_S2_S2_EEvT3_20rocsparse_direction_NS_24const_host_device_scalarIT1_EES3_PKS3_PKT2_SC_S9_PKT4_PKT5_S7_PT6_21rocsparse_index_base_b
; %bb.0:
	s_load_dwordx2 s[0:1], s[4:5], 0x8
	s_load_dwordx2 s[16:17], s[4:5], 0x58
	s_add_u32 s7, s4, 8
	s_addc_u32 s8, s5, 0
	s_add_u32 s9, s4, 0x48
	s_load_dwordx2 s[2:3], s[4:5], 0x48
	s_addc_u32 s10, s5, 0
	s_waitcnt lgkmcnt(0)
	s_bitcmp1_b32 s17, 0
	s_cselect_b32 s1, s8, s1
	s_cselect_b32 s0, s7, s0
	v_mov_b32_e32 v1, s0
	v_mov_b32_e32 v2, s1
	flat_load_dwordx2 v[14:15], v[1:2]
	s_cselect_b32 s0, s10, s3
	s_cselect_b32 s1, s9, s2
	v_mov_b32_e32 v1, s1
	v_mov_b32_e32 v2, s0
	flat_load_dwordx2 v[12:13], v[1:2]
	s_waitcnt vmcnt(0) lgkmcnt(0)
	v_cmp_eq_f32_e32 vcc, 0, v14
	v_cmp_eq_f32_e64 s[0:1], 0, v15
	s_and_b64 s[8:9], vcc, s[0:1]
	s_mov_b64 s[0:1], -1
	s_and_saveexec_b64 s[2:3], s[8:9]
; %bb.1:
	v_cmp_neq_f32_e32 vcc, 1.0, v12
	v_cmp_neq_f32_e64 s[0:1], 0, v13
	s_or_b64 s[0:1], vcc, s[0:1]
	s_orn2_b64 s[0:1], s[0:1], exec
; %bb.2:
	s_or_b64 exec, exec, s[2:3]
	s_and_saveexec_b64 s[2:3], s[0:1]
	s_cbranch_execz .LBB31_8
; %bb.3:
	s_load_dwordx2 s[8:9], s[4:5], 0x18
	s_load_dwordx2 s[0:1], s[4:5], 0x0
	v_lshrrev_b32_e32 v1, 3, v0
	v_lshl_or_b32 v16, s6, 4, v1
	s_mov_b64 s[2:3], 0
	s_waitcnt lgkmcnt(0)
	s_cmp_lg_u64 s[8:9], 0
	s_cbranch_scc0 .LBB31_9
; %bb.4:
	s_load_dword s6, s[4:5], 0x10
                                        ; implicit-def: $vgpr1
	s_waitcnt lgkmcnt(0)
	v_cmp_gt_i32_e32 vcc, s6, v16
	s_and_saveexec_b64 s[6:7], vcc
	s_xor_b64 s[6:7], exec, s[6:7]
	s_cbranch_execz .LBB31_6
; %bb.5:
	v_ashrrev_i32_e32 v17, 31, v16
	v_lshlrev_b64 v[1:2], 2, v[16:17]
	v_mov_b32_e32 v3, s9
	v_add_co_u32_e32 v1, vcc, s8, v1
	v_addc_co_u32_e32 v2, vcc, v3, v2, vcc
	global_load_dword v1, v[1:2], off
	s_mov_b64 s[2:3], exec
	s_waitcnt vmcnt(0)
	v_subrev_u32_e32 v1, s16, v1
.LBB31_6:
	s_or_b64 exec, exec, s[6:7]
	s_branch .LBB31_10
.LBB31_7:
	v_cmp_gt_i32_e32 vcc, s0, v16
	s_andn2_b64 s[2:3], s[2:3], exec
	s_and_b64 s[6:7], vcc, exec
	s_or_b64 s[2:3], s[2:3], s[6:7]
	s_and_b64 exec, exec, s[2:3]
	s_cbranch_execnz .LBB31_11
.LBB31_8:
	s_endpgm
.LBB31_9:
                                        ; implicit-def: $vgpr1
	s_cbranch_execnz .LBB31_7
.LBB31_10:
	v_mov_b32_e32 v16, v1
	s_and_b64 exec, exec, s[2:3]
	s_cbranch_execz .LBB31_8
.LBB31_11:
	s_load_dwordx8 s[8:15], s[4:5], 0x20
	v_ashrrev_i32_e32 v17, 31, v16
	v_lshlrev_b64 v[1:2], 3, v[16:17]
	v_and_b32_e32 v33, 7, v0
	v_mov_b32_e32 v23, 0
	s_waitcnt lgkmcnt(0)
	v_mov_b32_e32 v4, s9
	v_add_co_u32_e32 v3, vcc, s8, v1
	v_addc_co_u32_e32 v4, vcc, v4, v2, vcc
	global_load_dwordx2 v[25:26], v[3:4], off
	v_add_co_u32_e32 v3, vcc, 8, v3
	v_addc_co_u32_e32 v4, vcc, 0, v4, vcc
	v_mov_b32_e32 v5, s11
	v_add_co_u32_e32 v1, vcc, s10, v1
	s_cmp_eq_u64 s[10:11], 0
	v_addc_co_u32_e32 v2, vcc, v5, v2, vcc
	s_cselect_b64 vcc, -1, 0
	v_cndmask_b32_e32 v2, v2, v4, vcc
	v_cndmask_b32_e32 v1, v1, v3, vcc
	global_load_dwordx2 v[1:2], v[1:2], off
	s_load_dwordx2 s[8:9], s[4:5], 0x40
	v_mov_b32_e32 v3, s15
	s_cmp_eq_u32 s1, 1
	s_waitcnt vmcnt(1)
	v_subrev_co_u32_e32 v0, vcc, s16, v25
	v_subbrev_co_u32_e32 v4, vcc, 0, v26, vcc
	v_add_co_u32_e32 v17, vcc, v0, v33
	v_addc_co_u32_e32 v18, vcc, 0, v4, vcc
	s_waitcnt vmcnt(0)
	v_subrev_co_u32_e32 v19, vcc, s16, v1
	v_lshlrev_b64 v[0:1], 7, v[17:18]
	v_subbrev_co_u32_e32 v20, vcc, 0, v2, vcc
	v_cmp_lt_i64_e64 s[0:1], v[17:18], v[19:20]
	v_add_co_u32_e32 v21, vcc, s14, v0
	v_addc_co_u32_e32 v22, vcc, v3, v1, vcc
	s_cbranch_scc1 .LBB31_23
; %bb.12:
	v_mov_b32_e32 v8, 0
	v_mov_b32_e32 v6, 0
	;; [unrolled: 1-line block ×7, first 2 shown]
	s_and_saveexec_b64 s[6:7], s[0:1]
	s_cbranch_execz .LBB31_22
; %bb.13:
	v_or_b32_e32 v0, 8, v33
	v_subrev_co_u32_e32 v0, vcc, s16, v0
	v_subb_co_u32_e64 v1, s[2:3], 0, 0, vcc
	v_add_co_u32_e32 v0, vcc, v0, v25
	v_addc_co_u32_e32 v1, vcc, v1, v26, vcc
	v_cmp_gt_i64_e32 vcc, v[0:1], v[19:20]
	v_not_b32_e32 v3, v25
	v_cndmask_b32_e32 v1, v20, v1, vcc
	v_cndmask_b32_e32 v0, v19, v0, vcc
	v_sub_co_u32_e32 v4, vcc, s16, v33
	v_not_b32_e32 v2, v26
	v_subb_co_u32_e64 v5, s[2:3], 0, 0, vcc
	v_add_co_u32_e32 v3, vcc, v4, v3
	v_addc_co_u32_e32 v2, vcc, v5, v2, vcc
	v_add_co_u32_e32 v0, vcc, v3, v0
	v_addc_co_u32_e32 v1, vcc, v2, v1, vcc
	v_and_b32_e32 v23, 24, v0
	v_mov_b32_e32 v24, 0
	v_cmp_ne_u64_e32 vcc, 24, v[23:24]
	v_mov_b32_e32 v28, v22
	v_mov_b32_e32 v30, v18
	;; [unrolled: 1-line block ×11, first 2 shown]
	s_and_saveexec_b64 s[10:11], vcc
	s_cbranch_execz .LBB31_17
; %bb.14:
	v_lshrrev_b32_e32 v2, 3, v0
	v_add_u32_e32 v2, 1, v2
	v_and_b32_e32 v4, 3, v2
	v_lshlrev_b64 v[2:3], 2, v[17:18]
	v_mov_b32_e32 v5, s13
	v_add_co_u32_e32 v2, vcc, s12, v2
	v_addc_co_u32_e32 v3, vcc, v5, v3, vcc
	v_sub_co_u32_e32 v4, vcc, 0, v4
	v_mov_b32_e32 v30, v18
	v_mov_b32_e32 v28, v22
	;; [unrolled: 1-line block ×3, first 2 shown]
	s_mov_b64 s[14:15], 0
	v_subb_co_u32_e64 v5, s[2:3], 0, 0, vcc
	s_movk_i32 s17, 0x400
	s_waitcnt lgkmcnt(0)
	v_mov_b32_e32 v10, s9
	v_mov_b32_e32 v29, v17
	;; [unrolled: 1-line block ×10, first 2 shown]
.LBB31_15:                              ; =>This Inner Loop Header: Depth=1
	global_load_dword v11, v[2:3], off
	global_load_dwordx4 v[36:39], v[27:28], off offset:32
	global_load_dwordx4 v[40:43], v[27:28], off offset:64
	global_load_dwordx4 v[44:47], v[27:28], off
	global_load_dwordx4 v[48:51], v[27:28], off offset:16
	v_add_co_u32_e64 v29, s[2:3], 8, v29
	v_addc_co_u32_e64 v30, s[2:3], 0, v30, s[2:3]
	v_add_co_u32_e64 v2, s[2:3], 32, v2
	v_addc_co_u32_e64 v3, s[2:3], 0, v3, s[2:3]
	;; [unrolled: 2-line block ×3, first 2 shown]
	v_cmp_eq_u64_e64 s[2:3], 0, v[4:5]
	s_or_b64 s[14:15], s[2:3], s[14:15]
	s_waitcnt vmcnt(4)
	v_subrev_u32_e32 v11, s16, v11
	v_lshlrev_b32_e32 v31, 2, v11
	v_ashrrev_i32_e32 v32, 31, v31
	v_lshlrev_b64 v[31:32], 3, v[31:32]
	v_add_co_u32_e32 v31, vcc, s8, v31
	v_addc_co_u32_e32 v32, vcc, v10, v32, vcc
	global_load_dwordx4 v[52:55], v[31:32], off
	global_load_dwordx4 v[56:59], v[31:32], off offset:16
	s_waitcnt vmcnt(1)
	v_fmac_f32_e32 v8, v44, v52
	v_fmac_f32_e32 v23, v45, v52
	;; [unrolled: 1-line block ×6, first 2 shown]
	v_fma_f32 v8, -v45, v53, v8
	v_fmac_f32_e32 v23, v44, v53
	v_fma_f32 v9, -v37, v53, v9
	v_fmac_f32_e32 v24, v36, v53
	;; [unrolled: 2-line block ×3, first 2 shown]
	v_fmac_f32_e32 v8, v46, v54
	v_fmac_f32_e32 v23, v47, v54
	;; [unrolled: 1-line block ×6, first 2 shown]
	v_fma_f32 v8, -v47, v55, v8
	v_fmac_f32_e32 v23, v46, v55
	global_load_dwordx4 v[44:47], v[27:28], off offset:48
	v_fma_f32 v9, -v39, v55, v9
	v_fmac_f32_e32 v24, v38, v55
	global_load_dwordx4 v[36:39], v[27:28], off offset:80
	;; [unrolled: 3-line block ×3, first 2 shown]
	global_load_dwordx4 v[60:63], v[27:28], off offset:112
	s_waitcnt vmcnt(4)
	v_fmac_f32_e32 v8, v48, v56
	v_fmac_f32_e32 v23, v49, v56
	v_fma_f32 v8, -v49, v57, v8
	v_fmac_f32_e32 v23, v48, v57
	v_add_co_u32_e32 v27, vcc, s17, v27
	v_fmac_f32_e32 v8, v50, v58
	v_fmac_f32_e32 v23, v51, v58
	v_addc_co_u32_e32 v28, vcc, 0, v28, vcc
	v_fma_f32 v8, -v51, v59, v8
	v_fmac_f32_e32 v23, v50, v59
	s_waitcnt vmcnt(3)
	v_fmac_f32_e32 v9, v44, v56
	v_fmac_f32_e32 v24, v45, v56
	v_fma_f32 v9, -v45, v57, v9
	s_waitcnt vmcnt(2)
	v_fmac_f32_e32 v7, v36, v56
	v_fmac_f32_e32 v35, v37, v56
	s_waitcnt vmcnt(1)
	v_fmac_f32_e32 v6, v40, v52
	v_fmac_f32_e32 v34, v41, v52
	v_fma_f32 v6, -v41, v53, v6
	v_fmac_f32_e32 v34, v40, v53
	v_fmac_f32_e32 v6, v42, v54
	;; [unrolled: 1-line block ×3, first 2 shown]
	v_fma_f32 v6, -v43, v55, v6
	v_fmac_f32_e32 v34, v42, v55
	s_waitcnt vmcnt(0)
	v_fmac_f32_e32 v6, v60, v56
	v_fmac_f32_e32 v34, v61, v56
	;; [unrolled: 1-line block ×3, first 2 shown]
	v_fma_f32 v7, -v37, v57, v7
	v_fmac_f32_e32 v35, v36, v57
	v_fma_f32 v6, -v61, v57, v6
	v_fmac_f32_e32 v34, v60, v57
	v_fmac_f32_e32 v9, v46, v58
	;; [unrolled: 1-line block ×7, first 2 shown]
	v_fma_f32 v9, -v47, v59, v9
	v_fmac_f32_e32 v24, v46, v59
	v_fma_f32 v7, -v39, v59, v7
	v_fmac_f32_e32 v35, v38, v59
	;; [unrolled: 2-line block ×3, first 2 shown]
	s_andn2_b64 exec, exec, s[14:15]
	s_cbranch_execnz .LBB31_15
; %bb.16:
	s_or_b64 exec, exec, s[14:15]
.LBB31_17:
	s_or_b64 exec, exec, s[10:11]
	v_cmp_lt_u64_e32 vcc, 23, v[0:1]
	s_and_saveexec_b64 s[10:11], vcc
	s_cbranch_execz .LBB31_21
; %bb.18:
	v_lshlrev_b64 v[0:1], 2, v[29:30]
	v_mov_b32_e32 v2, s13
	v_add_co_u32_e32 v0, vcc, s12, v0
	v_addc_co_u32_e32 v1, vcc, v2, v1, vcc
	v_add_co_u32_e32 v31, vcc, 64, v0
	v_addc_co_u32_e32 v32, vcc, 0, v1, vcc
	s_mov_b64 s[14:15], 0
	s_waitcnt lgkmcnt(0)
	v_mov_b32_e32 v36, s9
	s_movk_i32 s17, 0x1000
.LBB31_19:                              ; =>This Inner Loop Header: Depth=1
	global_load_dword v4, v[31:32], off offset:-64
	global_load_dwordx4 v[0:3], v[27:28], off offset:32
	global_load_dwordx4 v[37:40], v[27:28], off
	global_load_dwordx4 v[41:44], v[27:28], off offset:64
	s_waitcnt vmcnt(3)
	v_subrev_u32_e32 v4, s16, v4
	v_lshlrev_b32_e32 v4, 2, v4
	v_ashrrev_i32_e32 v5, 31, v4
	v_lshlrev_b64 v[4:5], 3, v[4:5]
	v_add_co_u32_e32 v4, vcc, s8, v4
	v_addc_co_u32_e32 v5, vcc, v36, v5, vcc
	global_load_dwordx4 v[45:48], v[4:5], off
	s_waitcnt vmcnt(0)
	v_fmac_f32_e32 v8, v37, v45
	v_fmac_f32_e32 v23, v38, v45
	v_fma_f32 v8, -v38, v46, v8
	v_fmac_f32_e32 v23, v37, v46
	v_fmac_f32_e32 v8, v39, v47
	;; [unrolled: 1-line block ×3, first 2 shown]
	v_fma_f32 v11, -v40, v48, v8
	v_fmac_f32_e32 v23, v39, v48
	global_load_dwordx4 v[37:40], v[27:28], off offset:96
	v_fmac_f32_e32 v9, v0, v45
	v_fmac_f32_e32 v24, v1, v45
	;; [unrolled: 1-line block ×4, first 2 shown]
	v_fma_f32 v1, -v1, v46, v9
	v_fmac_f32_e32 v24, v0, v46
	v_fma_f32 v7, -v42, v46, v7
	v_fmac_f32_e32 v35, v41, v46
	v_fmac_f32_e32 v1, v2, v47
	;; [unrolled: 1-line block ×5, first 2 shown]
	v_fma_f32 v49, -v3, v48, v1
	v_fmac_f32_e32 v24, v2, v48
	global_load_dwordx4 v[0:3], v[27:28], off offset:48
	v_fma_f32 v50, -v44, v48, v7
	v_fmac_f32_e32 v35, v43, v48
	global_load_dwordx4 v[7:10], v[27:28], off offset:16
	s_waitcnt vmcnt(2)
	v_fmac_f32_e32 v6, v37, v45
	v_fmac_f32_e32 v34, v38, v45
	v_fma_f32 v6, -v38, v46, v6
	v_fmac_f32_e32 v34, v37, v46
	v_fmac_f32_e32 v6, v39, v47
	;; [unrolled: 1-line block ×3, first 2 shown]
	v_fma_f32 v45, -v40, v48, v6
	v_fmac_f32_e32 v34, v39, v48
	global_load_dwordx4 v[37:40], v[27:28], off offset:80
	global_load_dwordx4 v[41:44], v[4:5], off offset:16
	s_waitcnt vmcnt(0)
	v_fmac_f32_e32 v11, v7, v41
	v_fma_f32 v4, -v8, v42, v11
	v_fmac_f32_e32 v23, v8, v41
	v_fmac_f32_e32 v4, v9, v43
	;; [unrolled: 1-line block ×3, first 2 shown]
	v_fma_f32 v46, -v10, v44, v4
	global_load_dwordx4 v[4:7], v[27:28], off offset:112
	global_load_dword v47, v[31:32], off offset:-32
	v_fmac_f32_e32 v35, v38, v41
	v_fmac_f32_e32 v50, v37, v41
	;; [unrolled: 1-line block ×3, first 2 shown]
	v_fma_f32 v8, -v38, v42, v50
	v_fmac_f32_e32 v49, v0, v41
	v_fmac_f32_e32 v24, v1, v41
	v_fma_f32 v1, -v1, v42, v49
	v_fmac_f32_e32 v24, v0, v42
	v_fmac_f32_e32 v23, v10, v43
	v_fmac_f32_e32 v1, v2, v43
	v_fmac_f32_e32 v24, v3, v43
	v_fmac_f32_e32 v8, v39, v43
	v_fmac_f32_e32 v35, v40, v43
	v_fmac_f32_e32 v23, v9, v44
	v_fma_f32 v48, -v3, v44, v1
	v_fmac_f32_e32 v24, v2, v44
	global_load_dwordx4 v[0:3], v[27:28], off offset:1056
	v_fma_f32 v49, -v40, v44, v8
	v_fmac_f32_e32 v35, v39, v44
	global_load_dwordx4 v[8:11], v[27:28], off offset:1024
	s_waitcnt vmcnt(3)
	v_fmac_f32_e32 v45, v4, v41
	s_waitcnt vmcnt(2)
	v_subrev_u32_e32 v37, s16, v47
	v_lshlrev_b32_e32 v37, 2, v37
	v_ashrrev_i32_e32 v38, 31, v37
	v_lshlrev_b64 v[37:38], 3, v[37:38]
	v_fmac_f32_e32 v34, v5, v41
	v_add_co_u32_e32 v41, vcc, s8, v37
	v_fma_f32 v5, -v5, v42, v45
	v_fmac_f32_e32 v34, v4, v42
	v_addc_co_u32_e32 v42, vcc, v36, v38, vcc
	global_load_dwordx4 v[37:40], v[41:42], off
	v_fmac_f32_e32 v5, v6, v43
	v_fmac_f32_e32 v34, v7, v43
	v_fma_f32 v43, -v7, v44, v5
	v_fmac_f32_e32 v34, v6, v44
	global_load_dwordx4 v[4:7], v[27:28], off offset:1088
	s_waitcnt vmcnt(1)
	v_fmac_f32_e32 v46, v8, v37
	v_fmac_f32_e32 v23, v9, v37
	v_fma_f32 v9, -v9, v38, v46
	v_fmac_f32_e32 v23, v8, v38
	v_fmac_f32_e32 v9, v10, v39
	;; [unrolled: 1-line block ×3, first 2 shown]
	v_fma_f32 v44, -v11, v40, v9
	v_fmac_f32_e32 v23, v10, v40
	global_load_dwordx4 v[8:11], v[27:28], off offset:1120
	v_fmac_f32_e32 v48, v0, v37
	v_fmac_f32_e32 v24, v1, v37
	s_waitcnt vmcnt(1)
	v_fmac_f32_e32 v49, v4, v37
	v_fmac_f32_e32 v35, v5, v37
	v_fma_f32 v1, -v1, v38, v48
	v_fmac_f32_e32 v24, v0, v38
	v_fma_f32 v5, -v5, v38, v49
	v_fmac_f32_e32 v35, v4, v38
	v_fmac_f32_e32 v1, v2, v39
	;; [unrolled: 1-line block ×5, first 2 shown]
	v_fma_f32 v45, -v3, v40, v1
	v_fmac_f32_e32 v24, v2, v40
	global_load_dwordx4 v[0:3], v[27:28], off offset:1072
	v_fma_f32 v46, -v7, v40, v5
	v_fmac_f32_e32 v35, v6, v40
	global_load_dwordx4 v[4:7], v[27:28], off offset:1040
	s_waitcnt vmcnt(2)
	v_fmac_f32_e32 v43, v8, v37
	v_fmac_f32_e32 v34, v9, v37
	v_fma_f32 v9, -v9, v38, v43
	v_fmac_f32_e32 v34, v8, v38
	v_fmac_f32_e32 v9, v10, v39
	;; [unrolled: 1-line block ×3, first 2 shown]
	v_fma_f32 v43, -v11, v40, v9
	v_fmac_f32_e32 v34, v10, v40
	global_load_dwordx4 v[8:11], v[27:28], off offset:1104
	global_load_dwordx4 v[37:40], v[41:42], off offset:16
	s_waitcnt vmcnt(0)
	v_fmac_f32_e32 v44, v4, v37
	v_fmac_f32_e32 v23, v5, v37
	v_fma_f32 v5, -v5, v38, v44
	v_fmac_f32_e32 v23, v4, v38
	v_fmac_f32_e32 v5, v6, v39
	;; [unrolled: 1-line block ×3, first 2 shown]
	v_fma_f32 v44, -v7, v40, v5
	v_fmac_f32_e32 v23, v6, v40
	global_load_dwordx4 v[4:7], v[27:28], off offset:1136
	global_load_dword v41, v[31:32], off
	v_fmac_f32_e32 v45, v0, v37
	v_fmac_f32_e32 v24, v1, v37
	;; [unrolled: 1-line block ×4, first 2 shown]
	v_fma_f32 v1, -v1, v38, v45
	v_fmac_f32_e32 v24, v0, v38
	v_fma_f32 v9, -v9, v38, v46
	v_fmac_f32_e32 v35, v8, v38
	v_fmac_f32_e32 v1, v2, v39
	;; [unrolled: 1-line block ×5, first 2 shown]
	v_fma_f32 v45, -v3, v40, v1
	v_fmac_f32_e32 v24, v2, v40
	global_load_dwordx4 v[0:3], v[27:28], off offset:2080
	v_fma_f32 v50, -v11, v40, v9
	v_fmac_f32_e32 v35, v10, v40
	global_load_dwordx4 v[8:11], v[27:28], off offset:2048
	s_waitcnt vmcnt(3)
	v_fmac_f32_e32 v43, v4, v37
	v_fmac_f32_e32 v34, v5, v37
	s_waitcnt vmcnt(2)
	v_subrev_u32_e32 v37, s16, v41
	v_lshlrev_b32_e32 v37, 2, v37
	v_fma_f32 v5, -v5, v38, v43
	v_fmac_f32_e32 v34, v4, v38
	v_ashrrev_i32_e32 v38, 31, v37
	v_lshlrev_b64 v[37:38], 3, v[37:38]
	v_fmac_f32_e32 v5, v6, v39
	v_add_co_u32_e32 v48, vcc, s8, v37
	v_fmac_f32_e32 v34, v7, v39
	v_addc_co_u32_e32 v49, vcc, v36, v38, vcc
	v_fma_f32 v51, -v7, v40, v5
	v_fmac_f32_e32 v34, v6, v40
	global_load_dwordx4 v[4:7], v[27:28], off offset:2112
	global_load_dwordx4 v[40:43], v[48:49], off
	s_waitcnt vmcnt(0)
	v_fmac_f32_e32 v24, v1, v40
	v_fmac_f32_e32 v50, v4, v40
	;; [unrolled: 1-line block ×5, first 2 shown]
	v_fma_f32 v0, -v5, v41, v50
	v_fmac_f32_e32 v35, v4, v41
	v_fmac_f32_e32 v0, v6, v42
	;; [unrolled: 1-line block ×3, first 2 shown]
	v_fma_f32 v39, -v7, v43, v0
	v_fmac_f32_e32 v35, v6, v43
	global_load_dwordx4 v[4:7], v[27:28], off offset:2064
	v_fmac_f32_e32 v44, v8, v40
	v_fmac_f32_e32 v23, v9, v40
	v_fma_f32 v9, -v9, v41, v44
	v_fmac_f32_e32 v23, v8, v41
	v_fmac_f32_e32 v9, v10, v42
	;; [unrolled: 1-line block ×3, first 2 shown]
	v_fma_f32 v37, -v11, v43, v9
	v_fmac_f32_e32 v23, v10, v43
	global_load_dwordx4 v[8:11], v[27:28], off offset:2144
	v_fma_f32 v1, -v1, v41, v45
	global_load_dwordx4 v[44:47], v[27:28], off offset:2096
	v_fmac_f32_e32 v1, v2, v42
	v_fmac_f32_e32 v24, v3, v42
	v_fma_f32 v52, -v3, v43, v1
	v_fmac_f32_e32 v24, v2, v43
	s_waitcnt vmcnt(1)
	v_fmac_f32_e32 v51, v8, v40
	v_fmac_f32_e32 v34, v9, v40
	v_fma_f32 v0, -v9, v41, v51
	v_fmac_f32_e32 v34, v8, v41
	v_fmac_f32_e32 v0, v10, v42
	;; [unrolled: 1-line block ×3, first 2 shown]
	v_fma_f32 v38, -v11, v43, v0
	v_fmac_f32_e32 v34, v10, v43
	global_load_dwordx4 v[8:11], v[27:28], off offset:2128
	global_load_dwordx4 v[0:3], v[48:49], off offset:16
	s_waitcnt vmcnt(0)
	v_fmac_f32_e32 v37, v4, v0
	v_fmac_f32_e32 v23, v5, v0
	v_fma_f32 v5, -v5, v1, v37
	v_fmac_f32_e32 v23, v4, v1
	v_fmac_f32_e32 v5, v6, v2
	;; [unrolled: 1-line block ×3, first 2 shown]
	v_fma_f32 v37, -v7, v3, v5
	v_fmac_f32_e32 v23, v6, v3
	global_load_dwordx4 v[4:7], v[27:28], off offset:2160
	global_load_dword v41, v[31:32], off offset:32
	v_fmac_f32_e32 v52, v44, v0
	v_fmac_f32_e32 v24, v45, v0
	;; [unrolled: 1-line block ×5, first 2 shown]
	v_fma_f32 v40, -v45, v1, v52
	v_fmac_f32_e32 v24, v47, v2
	v_fmac_f32_e32 v40, v46, v2
	;; [unrolled: 1-line block ×3, first 2 shown]
	v_fma_f32 v9, -v9, v1, v39
	v_fmac_f32_e32 v35, v8, v1
	v_fma_f32 v40, -v47, v3, v40
	v_fmac_f32_e32 v9, v10, v2
	v_fmac_f32_e32 v35, v11, v2
	global_load_dwordx4 v[42:45], v[27:28], off offset:3104
	v_fma_f32 v48, -v11, v3, v9
	v_fmac_f32_e32 v35, v10, v3
	global_load_dwordx4 v[8:11], v[27:28], off offset:3072
	s_waitcnt vmcnt(3)
	v_fmac_f32_e32 v34, v5, v0
	v_fmac_f32_e32 v38, v4, v0
	v_fmac_f32_e32 v34, v4, v1
	s_waitcnt vmcnt(2)
	v_subrev_u32_e32 v4, s16, v41
	v_lshlrev_b32_e32 v4, 2, v4
	v_fma_f32 v0, -v5, v1, v38
	v_ashrrev_i32_e32 v5, 31, v4
	v_lshlrev_b64 v[4:5], 3, v[4:5]
	v_fmac_f32_e32 v0, v6, v2
	v_add_co_u32_e32 v46, vcc, s8, v4
	v_fmac_f32_e32 v34, v7, v2
	v_addc_co_u32_e32 v47, vcc, v36, v5, vcc
	v_fma_f32 v49, -v7, v3, v0
	v_fmac_f32_e32 v34, v6, v3
	global_load_dwordx4 v[0:3], v[27:28], off offset:3136
	global_load_dwordx4 v[4:7], v[46:47], off
	s_waitcnt vmcnt(0)
	v_fmac_f32_e32 v48, v0, v4
	v_fmac_f32_e32 v35, v1, v4
	v_fma_f32 v1, -v1, v5, v48
	v_fmac_f32_e32 v35, v0, v5
	v_fmac_f32_e32 v1, v2, v6
	;; [unrolled: 1-line block ×3, first 2 shown]
	v_fma_f32 v48, -v3, v7, v1
	v_fmac_f32_e32 v35, v2, v7
	global_load_dwordx4 v[0:3], v[27:28], off offset:3088
	v_fmac_f32_e32 v37, v8, v4
	v_fmac_f32_e32 v23, v9, v4
	v_fma_f32 v9, -v9, v5, v37
	v_fmac_f32_e32 v23, v8, v5
	v_fmac_f32_e32 v9, v10, v6
	;; [unrolled: 1-line block ×3, first 2 shown]
	v_fma_f32 v50, -v11, v7, v9
	v_fmac_f32_e32 v23, v10, v7
	global_load_dwordx4 v[8:11], v[27:28], off offset:3168
	v_fmac_f32_e32 v40, v42, v4
	v_fmac_f32_e32 v24, v43, v4
	v_fma_f32 v37, -v43, v5, v40
	v_fmac_f32_e32 v24, v42, v5
	v_fmac_f32_e32 v37, v44, v6
	;; [unrolled: 1-line block ×3, first 2 shown]
	v_fma_f32 v45, -v45, v7, v37
	global_load_dwordx4 v[37:40], v[27:28], off offset:3120
	v_fmac_f32_e32 v24, v44, v7
	s_waitcnt vmcnt(1)
	v_fmac_f32_e32 v49, v8, v4
	v_fmac_f32_e32 v34, v9, v4
	v_fma_f32 v4, -v9, v5, v49
	v_fmac_f32_e32 v34, v8, v5
	v_fmac_f32_e32 v4, v10, v6
	;; [unrolled: 1-line block ×3, first 2 shown]
	v_fma_f32 v9, -v11, v7, v4
	v_fmac_f32_e32 v34, v10, v7
	global_load_dwordx4 v[4:7], v[27:28], off offset:3152
	global_load_dwordx4 v[41:44], v[46:47], off offset:16
	s_waitcnt vmcnt(0)
	v_fmac_f32_e32 v50, v0, v41
	v_fmac_f32_e32 v23, v1, v41
	v_fma_f32 v1, -v1, v42, v50
	v_fmac_f32_e32 v23, v0, v42
	v_fmac_f32_e32 v1, v2, v43
	v_fmac_f32_e32 v23, v3, v43
	v_fma_f32 v8, -v3, v44, v1
	v_fmac_f32_e32 v23, v2, v44
	global_load_dwordx4 v[0:3], v[27:28], off offset:3184
	v_add_co_u32_e32 v27, vcc, s17, v27
	s_mov_b64 s[2:3], vcc
	v_add_co_u32_e32 v29, vcc, 32, v29
	v_addc_co_u32_e32 v30, vcc, 0, v30, vcc
	v_addc_co_u32_e64 v28, s[2:3], 0, v28, s[2:3]
	v_fmac_f32_e32 v45, v37, v41
	v_fmac_f32_e32 v24, v38, v41
	;; [unrolled: 1-line block ×4, first 2 shown]
	v_cmp_ge_i64_e64 s[2:3], v[29:30], v[19:20]
	v_fma_f32 v10, -v38, v42, v45
	v_fmac_f32_e32 v24, v37, v42
	v_fma_f32 v5, -v5, v42, v48
	v_fmac_f32_e32 v35, v4, v42
	v_add_co_u32_e32 v31, vcc, 0x80, v31
	v_fmac_f32_e32 v10, v39, v43
	v_fmac_f32_e32 v24, v40, v43
	;; [unrolled: 1-line block ×4, first 2 shown]
	v_addc_co_u32_e32 v32, vcc, 0, v32, vcc
	s_or_b64 s[14:15], s[2:3], s[14:15]
	v_fmac_f32_e32 v24, v39, v44
	v_fma_f32 v7, -v7, v44, v5
	v_fmac_f32_e32 v35, v6, v44
	s_waitcnt vmcnt(0)
	v_fmac_f32_e32 v9, v0, v41
	v_fmac_f32_e32 v34, v1, v41
	v_fma_f32 v1, -v1, v42, v9
	v_fmac_f32_e32 v34, v0, v42
	v_fmac_f32_e32 v1, v2, v43
	;; [unrolled: 1-line block ×3, first 2 shown]
	v_fma_f32 v9, -v40, v44, v10
	v_fma_f32 v6, -v3, v44, v1
	v_fmac_f32_e32 v34, v2, v44
	s_andn2_b64 exec, exec, s[14:15]
	s_cbranch_execnz .LBB31_19
; %bb.20:
	s_or_b64 exec, exec, s[14:15]
.LBB31_21:
	s_or_b64 exec, exec, s[10:11]
.LBB31_22:
	s_or_b64 exec, exec, s[6:7]
	s_cbranch_execz .LBB31_24
	s_branch .LBB31_35
.LBB31_23:
                                        ; implicit-def: $vgpr23
                                        ; implicit-def: $vgpr8
                                        ; implicit-def: $vgpr6
                                        ; implicit-def: $vgpr34
                                        ; implicit-def: $vgpr7
                                        ; implicit-def: $vgpr35
                                        ; implicit-def: $vgpr9
                                        ; implicit-def: $vgpr24
.LBB31_24:
	v_mov_b32_e32 v23, 0
	v_mov_b32_e32 v8, 0
	;; [unrolled: 1-line block ×8, first 2 shown]
	s_and_saveexec_b64 s[10:11], s[0:1]
	s_cbranch_execz .LBB31_34
; %bb.25:
	v_or_b32_e32 v0, 8, v33
	v_subrev_co_u32_e32 v0, vcc, s16, v0
	v_subb_co_u32_e64 v1, s[0:1], 0, 0, vcc
	v_add_co_u32_e32 v0, vcc, v0, v25
	v_addc_co_u32_e32 v1, vcc, v1, v26, vcc
	v_cmp_gt_i64_e32 vcc, v[0:1], v[19:20]
	v_not_b32_e32 v3, v25
	v_cndmask_b32_e32 v1, v20, v1, vcc
	v_cndmask_b32_e32 v0, v19, v0, vcc
	v_sub_co_u32_e32 v4, vcc, s16, v33
	v_not_b32_e32 v2, v26
	v_subb_co_u32_e64 v5, s[0:1], 0, 0, vcc
	v_add_co_u32_e32 v3, vcc, v4, v3
	v_addc_co_u32_e32 v2, vcc, v5, v2, vcc
	v_add_co_u32_e32 v0, vcc, v3, v0
	v_addc_co_u32_e32 v1, vcc, v2, v1, vcc
	v_and_b32_e32 v23, 24, v0
	v_mov_b32_e32 v24, 0
	v_cmp_ne_u64_e32 vcc, 24, v[23:24]
	v_mov_b32_e32 v9, v24
	v_mov_b32_e32 v35, v24
	;; [unrolled: 1-line block ×7, first 2 shown]
	s_and_saveexec_b64 s[14:15], vcc
	s_cbranch_execz .LBB31_29
; %bb.26:
	v_lshrrev_b32_e32 v2, 3, v0
	v_add_u32_e32 v2, 1, v2
	v_and_b32_e32 v4, 3, v2
	v_lshlrev_b64 v[2:3], 2, v[17:18]
	v_mov_b32_e32 v5, s13
	v_add_co_u32_e32 v2, vcc, s12, v2
	v_addc_co_u32_e32 v3, vcc, v5, v3, vcc
	v_sub_co_u32_e32 v4, vcc, 0, v4
	v_mov_b32_e32 v23, 0
	s_mov_b64 s[18:19], 0
	v_subb_co_u32_e64 v5, s[0:1], 0, 0, vcc
	s_movk_i32 s17, 0x400
	s_waitcnt lgkmcnt(0)
	v_mov_b32_e32 v10, s9
	v_mov_b32_e32 v8, 0
	;; [unrolled: 1-line block ×8, first 2 shown]
.LBB31_27:                              ; =>This Inner Loop Header: Depth=1
	global_load_dword v11, v[2:3], off
	global_load_dwordx4 v[25:28], v[21:22], off offset:32
	global_load_dwordx4 v[29:32], v[21:22], off offset:16
	global_load_dwordx4 v[36:39], v[21:22], off
	v_add_co_u32_e64 v17, s[0:1], 8, v17
	v_add_co_u32_e64 v2, s[2:3], 32, v2
	;; [unrolled: 1-line block ×3, first 2 shown]
	v_addc_co_u32_e64 v18, s[0:1], 0, v18, s[0:1]
	v_addc_co_u32_e64 v3, s[0:1], 0, v3, s[2:3]
	;; [unrolled: 1-line block ×3, first 2 shown]
	v_cmp_eq_u64_e64 s[0:1], 0, v[4:5]
	s_or_b64 s[18:19], s[0:1], s[18:19]
	s_waitcnt vmcnt(3)
	v_subrev_u32_e32 v11, s16, v11
	v_lshlrev_b32_e32 v40, 2, v11
	v_ashrrev_i32_e32 v41, 31, v40
	v_lshlrev_b64 v[40:41], 3, v[40:41]
	v_add_co_u32_e32 v44, vcc, s8, v40
	v_addc_co_u32_e32 v45, vcc, v10, v41, vcc
	global_load_dwordx4 v[40:43], v[44:45], off
	s_waitcnt vmcnt(0)
	v_fmac_f32_e32 v8, v36, v40
	v_fmac_f32_e32 v23, v37, v40
	;; [unrolled: 1-line block ×4, first 2 shown]
	v_fma_f32 v8, -v37, v41, v8
	v_fmac_f32_e32 v23, v36, v41
	v_fma_f32 v9, -v39, v41, v9
	v_fmac_f32_e32 v24, v38, v41
	global_load_dwordx4 v[36:39], v[21:22], off offset:48
	v_fmac_f32_e32 v7, v29, v40
	v_fmac_f32_e32 v35, v30, v40
	;; [unrolled: 1-line block ×4, first 2 shown]
	v_fma_f32 v11, -v30, v41, v7
	v_fmac_f32_e32 v35, v29, v41
	v_fma_f32 v40, -v32, v41, v6
	v_fmac_f32_e32 v34, v31, v41
	v_fmac_f32_e32 v8, v25, v42
	v_fmac_f32_e32 v9, v27, v42
	v_fmac_f32_e32 v23, v26, v42
	v_fmac_f32_e32 v24, v28, v42
	v_fma_f32 v41, -v26, v43, v8
	v_fma_f32 v46, -v28, v43, v9
	global_load_dwordx4 v[6:9], v[21:22], off offset:80
	global_load_dwordx4 v[29:32], v[21:22], off offset:96
	v_fmac_f32_e32 v23, v25, v43
	v_fmac_f32_e32 v24, v27, v43
	s_waitcnt vmcnt(2)
	v_fmac_f32_e32 v11, v36, v42
	v_fmac_f32_e32 v35, v37, v42
	;; [unrolled: 1-line block ×4, first 2 shown]
	v_fma_f32 v11, -v37, v43, v11
	v_fmac_f32_e32 v35, v36, v43
	v_fma_f32 v40, -v39, v43, v40
	v_fmac_f32_e32 v34, v38, v43
	global_load_dwordx4 v[25:28], v[21:22], off offset:64
	global_load_dwordx4 v[36:39], v[44:45], off offset:16
	s_waitcnt vmcnt(0)
	v_fmac_f32_e32 v41, v25, v36
	v_fmac_f32_e32 v23, v26, v36
	;; [unrolled: 1-line block ×4, first 2 shown]
	v_fma_f32 v41, -v26, v37, v41
	v_fmac_f32_e32 v23, v25, v37
	v_fma_f32 v42, -v28, v37, v46
	v_fmac_f32_e32 v24, v27, v37
	global_load_dwordx4 v[25:28], v[21:22], off offset:112
	v_fmac_f32_e32 v11, v6, v36
	v_fmac_f32_e32 v35, v7, v36
	;; [unrolled: 1-line block ×4, first 2 shown]
	v_fma_f32 v7, -v7, v37, v11
	v_fmac_f32_e32 v35, v6, v37
	v_fma_f32 v6, -v9, v37, v40
	v_fmac_f32_e32 v34, v8, v37
	v_add_co_u32_e32 v21, vcc, s17, v21
	v_fmac_f32_e32 v41, v29, v38
	v_fmac_f32_e32 v23, v30, v38
	;; [unrolled: 1-line block ×4, first 2 shown]
	v_addc_co_u32_e32 v22, vcc, 0, v22, vcc
	v_fma_f32 v8, -v30, v39, v41
	v_fmac_f32_e32 v23, v29, v39
	v_fma_f32 v9, -v32, v39, v42
	v_fmac_f32_e32 v24, v31, v39
	s_waitcnt vmcnt(0)
	v_fmac_f32_e32 v7, v25, v38
	v_fmac_f32_e32 v35, v26, v38
	;; [unrolled: 1-line block ×4, first 2 shown]
	v_fma_f32 v7, -v26, v39, v7
	v_fmac_f32_e32 v35, v25, v39
	v_fma_f32 v6, -v28, v39, v6
	v_fmac_f32_e32 v34, v27, v39
	s_andn2_b64 exec, exec, s[18:19]
	s_cbranch_execnz .LBB31_27
; %bb.28:
	s_or_b64 exec, exec, s[18:19]
.LBB31_29:
	s_or_b64 exec, exec, s[14:15]
	v_cmp_lt_u64_e32 vcc, 23, v[0:1]
	s_and_saveexec_b64 s[2:3], vcc
	s_cbranch_execz .LBB31_33
; %bb.30:
	v_lshlrev_b64 v[0:1], 2, v[17:18]
	v_mov_b32_e32 v2, s13
	v_add_co_u32_e32 v0, vcc, s12, v0
	v_addc_co_u32_e32 v1, vcc, v2, v1, vcc
	v_add_co_u32_e32 v25, vcc, 64, v0
	v_addc_co_u32_e32 v26, vcc, 0, v1, vcc
	s_mov_b64 s[6:7], 0
	s_waitcnt lgkmcnt(0)
	v_mov_b32_e32 v27, s9
	s_movk_i32 s9, 0x1000
.LBB31_31:                              ; =>This Inner Loop Header: Depth=1
	global_load_dword v4, v[25:26], off offset:-64
	global_load_dwordx4 v[0:3], v[21:22], off offset:32
	global_load_dwordx4 v[28:31], v[21:22], off offset:16
	global_load_dwordx4 v[36:39], v[21:22], off
	s_waitcnt vmcnt(3)
	v_subrev_u32_e32 v4, s16, v4
	v_lshlrev_b32_e32 v4, 2, v4
	v_ashrrev_i32_e32 v5, 31, v4
	v_lshlrev_b64 v[4:5], 3, v[4:5]
	v_add_co_u32_e32 v44, vcc, s8, v4
	v_addc_co_u32_e32 v45, vcc, v27, v5, vcc
	global_load_dwordx4 v[40:43], v[44:45], off
	s_waitcnt vmcnt(0)
	v_fmac_f32_e32 v8, v36, v40
	v_fmac_f32_e32 v23, v37, v40
	;; [unrolled: 1-line block ×3, first 2 shown]
	v_fma_f32 v32, -v37, v41, v8
	v_fmac_f32_e32 v23, v36, v41
	v_fma_f32 v36, -v39, v41, v9
	global_load_dwordx4 v[8:11], v[21:22], off offset:48
	v_fmac_f32_e32 v24, v39, v40
	v_fmac_f32_e32 v24, v38, v41
	;; [unrolled: 1-line block ×6, first 2 shown]
	v_fma_f32 v29, -v29, v41, v7
	v_fmac_f32_e32 v35, v28, v41
	v_fma_f32 v28, -v31, v41, v6
	v_fmac_f32_e32 v34, v30, v41
	v_fmac_f32_e32 v32, v0, v42
	;; [unrolled: 1-line block ×5, first 2 shown]
	v_fma_f32 v32, -v1, v43, v32
	v_fmac_f32_e32 v23, v0, v43
	v_fma_f32 v36, -v3, v43, v36
	v_fmac_f32_e32 v24, v2, v43
	global_load_dwordx4 v[0:3], v[21:22], off offset:80
	global_load_dwordx4 v[4:7], v[21:22], off offset:96
	s_waitcnt vmcnt(2)
	v_fmac_f32_e32 v29, v8, v42
	v_fmac_f32_e32 v35, v9, v42
	;; [unrolled: 1-line block ×4, first 2 shown]
	v_fma_f32 v37, -v9, v43, v29
	v_fmac_f32_e32 v35, v8, v43
	v_fma_f32 v38, -v11, v43, v28
	v_fmac_f32_e32 v34, v10, v43
	global_load_dwordx4 v[8:11], v[21:22], off offset:64
	global_load_dwordx4 v[28:31], v[44:45], off offset:16
	s_waitcnt vmcnt(0)
	v_fmac_f32_e32 v32, v8, v28
	v_fmac_f32_e32 v23, v9, v28
	;; [unrolled: 1-line block ×4, first 2 shown]
	v_fma_f32 v32, -v9, v29, v32
	v_fmac_f32_e32 v23, v8, v29
	v_fma_f32 v36, -v11, v29, v36
	v_fmac_f32_e32 v24, v10, v29
	global_load_dwordx4 v[8:11], v[21:22], off offset:112
	global_load_dword v39, v[25:26], off offset:-32
	v_fmac_f32_e32 v37, v0, v28
	v_fmac_f32_e32 v35, v1, v28
	;; [unrolled: 1-line block ×4, first 2 shown]
	v_fma_f32 v28, -v1, v29, v37
	v_fmac_f32_e32 v35, v0, v29
	v_fma_f32 v37, -v3, v29, v38
	v_fmac_f32_e32 v34, v2, v29
	v_fmac_f32_e32 v36, v6, v30
	v_fma_f32 v38, -v7, v31, v36
	v_fmac_f32_e32 v32, v4, v30
	v_fmac_f32_e32 v23, v5, v30
	;; [unrolled: 1-line block ×3, first 2 shown]
	v_fma_f32 v32, -v5, v31, v32
	v_fmac_f32_e32 v23, v4, v31
	v_fmac_f32_e32 v24, v6, v31
	global_load_dwordx4 v[4:7], v[21:22], off offset:1040
	global_load_dwordx4 v[0:3], v[21:22], off offset:1056
	s_waitcnt vmcnt(3)
	v_fmac_f32_e32 v28, v8, v30
	v_fma_f32 v40, -v9, v31, v28
	s_waitcnt vmcnt(2)
	v_subrev_u32_e32 v28, s16, v39
	v_lshlrev_b32_e32 v28, 2, v28
	v_ashrrev_i32_e32 v29, 31, v28
	v_lshlrev_b64 v[28:29], 3, v[28:29]
	v_fmac_f32_e32 v37, v10, v30
	v_add_co_u32_e32 v36, vcc, s8, v28
	v_fmac_f32_e32 v35, v9, v30
	v_fmac_f32_e32 v34, v11, v30
	v_fma_f32 v41, -v11, v31, v37
	v_addc_co_u32_e32 v37, vcc, v27, v29, vcc
	v_fmac_f32_e32 v35, v8, v31
	v_fmac_f32_e32 v34, v10, v31
	global_load_dwordx4 v[8:11], v[21:22], off offset:1024
	global_load_dwordx4 v[28:31], v[36:37], off
	s_waitcnt vmcnt(0)
	v_fmac_f32_e32 v32, v8, v28
	v_fmac_f32_e32 v23, v9, v28
	;; [unrolled: 1-line block ×4, first 2 shown]
	v_fma_f32 v32, -v9, v29, v32
	v_fmac_f32_e32 v23, v8, v29
	v_fma_f32 v38, -v11, v29, v38
	v_fmac_f32_e32 v24, v10, v29
	global_load_dwordx4 v[8:11], v[21:22], off offset:1072
	v_fmac_f32_e32 v40, v4, v28
	v_fmac_f32_e32 v35, v5, v28
	;; [unrolled: 1-line block ×4, first 2 shown]
	v_fma_f32 v28, -v5, v29, v40
	v_fmac_f32_e32 v35, v4, v29
	v_fma_f32 v39, -v7, v29, v41
	v_fmac_f32_e32 v34, v6, v29
	v_fmac_f32_e32 v32, v0, v30
	;; [unrolled: 1-line block ×5, first 2 shown]
	global_load_dwordx4 v[4:7], v[21:22], off offset:1120
	v_fma_f32 v32, -v1, v31, v32
	v_fmac_f32_e32 v23, v0, v31
	v_fma_f32 v38, -v3, v31, v38
	v_fmac_f32_e32 v24, v2, v31
	global_load_dwordx4 v[0:3], v[21:22], off offset:1104
	s_waitcnt vmcnt(2)
	v_fmac_f32_e32 v28, v8, v30
	v_fmac_f32_e32 v35, v9, v30
	;; [unrolled: 1-line block ×4, first 2 shown]
	v_fma_f32 v40, -v9, v31, v28
	v_fmac_f32_e32 v35, v8, v31
	v_fma_f32 v39, -v11, v31, v39
	v_fmac_f32_e32 v34, v10, v31
	global_load_dwordx4 v[8:11], v[21:22], off offset:1088
	global_load_dwordx4 v[28:31], v[36:37], off offset:16
	s_waitcnt vmcnt(0)
	v_fmac_f32_e32 v32, v8, v28
	v_fmac_f32_e32 v23, v9, v28
	;; [unrolled: 1-line block ×4, first 2 shown]
	v_fma_f32 v32, -v9, v29, v32
	v_fmac_f32_e32 v23, v8, v29
	v_fma_f32 v36, -v11, v29, v38
	v_fmac_f32_e32 v24, v10, v29
	global_load_dwordx4 v[8:11], v[21:22], off offset:1136
	global_load_dword v37, v[25:26], off
	v_fmac_f32_e32 v40, v0, v28
	v_fmac_f32_e32 v35, v1, v28
	;; [unrolled: 1-line block ×4, first 2 shown]
	v_fma_f32 v28, -v1, v29, v40
	v_fmac_f32_e32 v35, v0, v29
	v_fma_f32 v38, -v3, v29, v39
	v_fmac_f32_e32 v34, v2, v29
	v_fmac_f32_e32 v32, v4, v30
	;; [unrolled: 1-line block ×5, first 2 shown]
	v_fma_f32 v32, -v5, v31, v32
	v_fmac_f32_e32 v23, v4, v31
	v_fma_f32 v36, -v7, v31, v36
	v_fmac_f32_e32 v24, v6, v31
	global_load_dwordx4 v[4:7], v[21:22], off offset:2064
	global_load_dwordx4 v[0:3], v[21:22], off offset:2080
	s_waitcnt vmcnt(3)
	v_fmac_f32_e32 v28, v8, v30
	v_fma_f32 v40, -v9, v31, v28
	s_waitcnt vmcnt(2)
	v_subrev_u32_e32 v28, s16, v37
	v_lshlrev_b32_e32 v28, 2, v28
	v_ashrrev_i32_e32 v29, 31, v28
	v_lshlrev_b64 v[28:29], 3, v[28:29]
	v_fmac_f32_e32 v35, v9, v30
	v_add_co_u32_e32 v44, vcc, s8, v28
	v_fmac_f32_e32 v38, v10, v30
	v_fmac_f32_e32 v34, v11, v30
	v_addc_co_u32_e32 v45, vcc, v27, v29, vcc
	v_fmac_f32_e32 v35, v8, v31
	v_fma_f32 v41, -v11, v31, v38
	v_fmac_f32_e32 v34, v10, v31
	global_load_dwordx4 v[8:11], v[21:22], off offset:2048
	global_load_dwordx4 v[28:31], v[44:45], off
	s_waitcnt vmcnt(0)
	v_fmac_f32_e32 v36, v10, v28
	v_fma_f32 v42, -v11, v29, v36
	global_load_dwordx4 v[36:39], v[21:22], off offset:2096
	v_fmac_f32_e32 v32, v8, v28
	v_fmac_f32_e32 v23, v9, v28
	;; [unrolled: 1-line block ×6, first 2 shown]
	v_fma_f32 v32, -v9, v29, v32
	v_fmac_f32_e32 v23, v8, v29
	v_fmac_f32_e32 v24, v10, v29
	;; [unrolled: 1-line block ×3, first 2 shown]
	v_fma_f32 v5, -v5, v29, v40
	v_fmac_f32_e32 v35, v4, v29
	v_fma_f32 v4, -v7, v29, v41
	v_fmac_f32_e32 v34, v6, v29
	v_fmac_f32_e32 v32, v0, v30
	;; [unrolled: 1-line block ×5, first 2 shown]
	global_load_dwordx4 v[8:11], v[21:22], off offset:2144
	v_fma_f32 v28, -v1, v31, v32
	v_fmac_f32_e32 v23, v0, v31
	v_fma_f32 v29, -v3, v31, v42
	v_fmac_f32_e32 v24, v2, v31
	global_load_dwordx4 v[40:43], v[21:22], off offset:2128
	s_waitcnt vmcnt(2)
	v_fmac_f32_e32 v5, v36, v30
	v_fmac_f32_e32 v4, v38, v30
	;; [unrolled: 1-line block ×4, first 2 shown]
	v_fma_f32 v30, -v37, v31, v5
	v_fma_f32 v32, -v39, v31, v4
	global_load_dwordx4 v[4:7], v[21:22], off offset:2112
	global_load_dwordx4 v[0:3], v[44:45], off offset:16
	v_fmac_f32_e32 v35, v36, v31
	v_fmac_f32_e32 v34, v38, v31
	s_waitcnt vmcnt(0)
	v_fmac_f32_e32 v28, v4, v0
	v_fmac_f32_e32 v23, v5, v0
	;; [unrolled: 1-line block ×4, first 2 shown]
	v_fma_f32 v28, -v5, v1, v28
	v_fmac_f32_e32 v23, v4, v1
	v_fma_f32 v29, -v7, v1, v29
	v_fmac_f32_e32 v24, v6, v1
	global_load_dwordx4 v[4:7], v[21:22], off offset:2160
	global_load_dword v31, v[25:26], off offset:32
	v_fmac_f32_e32 v35, v41, v0
	v_fmac_f32_e32 v30, v40, v0
	;; [unrolled: 1-line block ×5, first 2 shown]
	v_fma_f32 v0, -v41, v1, v30
	v_fma_f32 v30, -v43, v1, v32
	v_fmac_f32_e32 v34, v42, v1
	v_fmac_f32_e32 v28, v8, v2
	v_fmac_f32_e32 v23, v9, v2
	v_fmac_f32_e32 v29, v10, v2
	v_fmac_f32_e32 v24, v11, v2
	v_fma_f32 v28, -v9, v3, v28
	v_fmac_f32_e32 v23, v8, v3
	v_fma_f32 v29, -v11, v3, v29
	v_fmac_f32_e32 v24, v10, v3
	global_load_dwordx4 v[8:11], v[21:22], off offset:3088
	global_load_dwordx4 v[36:39], v[21:22], off offset:3104
	s_waitcnt vmcnt(3)
	v_fmac_f32_e32 v35, v5, v2
	v_fmac_f32_e32 v0, v4, v2
	;; [unrolled: 1-line block ×3, first 2 shown]
	s_waitcnt vmcnt(2)
	v_subrev_u32_e32 v4, s16, v31
	v_lshlrev_b32_e32 v4, 2, v4
	v_fma_f32 v32, -v5, v3, v0
	v_ashrrev_i32_e32 v5, 31, v4
	v_lshlrev_b64 v[4:5], 3, v[4:5]
	v_fmac_f32_e32 v30, v6, v2
	v_add_co_u32_e32 v40, vcc, s8, v4
	v_fmac_f32_e32 v34, v7, v2
	v_addc_co_u32_e32 v41, vcc, v27, v5, vcc
	v_fma_f32 v30, -v7, v3, v30
	v_fmac_f32_e32 v34, v6, v3
	global_load_dwordx4 v[0:3], v[21:22], off offset:3072
	global_load_dwordx4 v[4:7], v[40:41], off
	s_waitcnt vmcnt(0)
	v_fmac_f32_e32 v28, v0, v4
	v_fmac_f32_e32 v23, v1, v4
	;; [unrolled: 1-line block ×4, first 2 shown]
	v_fma_f32 v42, -v1, v5, v28
	v_fmac_f32_e32 v23, v0, v5
	v_fma_f32 v43, -v3, v5, v29
	v_fmac_f32_e32 v24, v2, v5
	global_load_dwordx4 v[0:3], v[21:22], off offset:3120
	v_fmac_f32_e32 v32, v8, v4
	v_fmac_f32_e32 v35, v9, v4
	;; [unrolled: 1-line block ×4, first 2 shown]
	v_fma_f32 v4, -v9, v5, v32
	v_fmac_f32_e32 v35, v8, v5
	v_fma_f32 v32, -v11, v5, v30
	v_fmac_f32_e32 v34, v10, v5
	v_fmac_f32_e32 v42, v36, v6
	;; [unrolled: 1-line block ×5, first 2 shown]
	global_load_dwordx4 v[28:31], v[21:22], off offset:3168
	global_load_dwordx4 v[8:11], v[21:22], off offset:3152
	v_fma_f32 v5, -v37, v7, v42
	v_fmac_f32_e32 v23, v36, v7
	v_fma_f32 v42, -v39, v7, v43
	v_fmac_f32_e32 v24, v38, v7
	s_waitcnt vmcnt(2)
	v_fmac_f32_e32 v4, v0, v6
	v_fmac_f32_e32 v35, v1, v6
	;; [unrolled: 1-line block ×4, first 2 shown]
	v_fma_f32 v4, -v1, v7, v4
	v_fmac_f32_e32 v35, v0, v7
	v_fma_f32 v6, -v3, v7, v32
	v_fmac_f32_e32 v34, v2, v7
	global_load_dwordx4 v[0:3], v[21:22], off offset:3136
	global_load_dwordx4 v[36:39], v[40:41], off offset:16
	s_waitcnt vmcnt(0)
	v_fmac_f32_e32 v5, v0, v36
	v_fmac_f32_e32 v23, v1, v36
	;; [unrolled: 1-line block ×4, first 2 shown]
	v_fma_f32 v5, -v1, v37, v5
	v_fmac_f32_e32 v23, v0, v37
	v_fma_f32 v7, -v3, v37, v42
	v_fmac_f32_e32 v24, v2, v37
	global_load_dwordx4 v[0:3], v[21:22], off offset:3184
	v_add_co_u32_e32 v21, vcc, s9, v21
	s_mov_b64 s[0:1], vcc
	v_add_co_u32_e32 v17, vcc, 32, v17
	v_addc_co_u32_e32 v18, vcc, 0, v18, vcc
	v_addc_co_u32_e64 v22, s[0:1], 0, v22, s[0:1]
	v_fmac_f32_e32 v4, v8, v36
	v_fmac_f32_e32 v35, v9, v36
	v_fmac_f32_e32 v6, v10, v36
	v_fmac_f32_e32 v34, v11, v36
	v_cmp_ge_i64_e64 s[0:1], v[17:18], v[19:20]
	v_fma_f32 v4, -v9, v37, v4
	v_fmac_f32_e32 v35, v8, v37
	v_fma_f32 v6, -v11, v37, v6
	v_fmac_f32_e32 v34, v10, v37
	v_add_co_u32_e32 v25, vcc, 0x80, v25
	v_fmac_f32_e32 v5, v28, v38
	v_fmac_f32_e32 v23, v29, v38
	;; [unrolled: 1-line block ×4, first 2 shown]
	v_addc_co_u32_e32 v26, vcc, 0, v26, vcc
	s_or_b64 s[6:7], s[0:1], s[6:7]
	v_fma_f32 v8, -v29, v39, v5
	v_fmac_f32_e32 v23, v28, v39
	v_fma_f32 v9, -v31, v39, v7
	v_fmac_f32_e32 v24, v30, v39
	s_waitcnt vmcnt(0)
	v_fmac_f32_e32 v4, v0, v38
	v_fmac_f32_e32 v35, v1, v38
	;; [unrolled: 1-line block ×4, first 2 shown]
	v_fma_f32 v7, -v1, v39, v4
	v_fmac_f32_e32 v35, v0, v39
	v_fma_f32 v6, -v3, v39, v6
	v_fmac_f32_e32 v34, v2, v39
	s_andn2_b64 exec, exec, s[6:7]
	s_cbranch_execnz .LBB31_31
; %bb.32:
	s_or_b64 exec, exec, s[6:7]
.LBB31_33:
	s_or_b64 exec, exec, s[2:3]
.LBB31_34:
	s_or_b64 exec, exec, s[10:11]
.LBB31_35:
	v_mov_b32_dpp v0, v8 row_shr:1 row_mask:0xf bank_mask:0xf
	v_add_f32_e32 v0, v8, v0
	v_mov_b32_dpp v2, v23 row_shr:1 row_mask:0xf bank_mask:0xf
	v_mov_b32_dpp v4, v9 row_shr:1 row_mask:0xf bank_mask:0xf
	;; [unrolled: 1-line block ×7, first 2 shown]
	v_add_f32_e32 v2, v23, v2
	v_add_f32_e32 v4, v9, v4
	;; [unrolled: 1-line block ×7, first 2 shown]
	v_mov_b32_dpp v1, v0 row_shr:2 row_mask:0xf bank_mask:0xf
	v_mov_b32_dpp v3, v2 row_shr:2 row_mask:0xf bank_mask:0xf
	;; [unrolled: 1-line block ×8, first 2 shown]
	v_add_f32_e32 v0, v0, v1
	v_add_f32_e32 v2, v2, v3
	;; [unrolled: 1-line block ×8, first 2 shown]
	v_mov_b32_dpp v1, v0 row_shr:4 row_mask:0xf bank_mask:0xe
	v_mov_b32_dpp v3, v2 row_shr:4 row_mask:0xf bank_mask:0xe
	v_mov_b32_dpp v5, v4 row_shr:4 row_mask:0xf bank_mask:0xe
	v_mov_b32_dpp v9, v8 row_shr:4 row_mask:0xf bank_mask:0xe
	v_mov_b32_dpp v10, v7 row_shr:4 row_mask:0xf bank_mask:0xe
	v_mov_b32_dpp v17, v11 row_shr:4 row_mask:0xf bank_mask:0xe
	v_mov_b32_dpp v18, v6 row_shr:4 row_mask:0xf bank_mask:0xe
	v_mov_b32_dpp v20, v19 row_shr:4 row_mask:0xf bank_mask:0xe
	v_cmp_eq_u32_e32 vcc, 7, v33
	s_and_b64 exec, exec, vcc
	s_cbranch_execz .LBB31_8
; %bb.36:
	s_load_dwordx2 s[2:3], s[4:5], 0x50
	v_add_f32_e32 v21, v0, v1
	v_add_f32_e32 v0, v2, v3
	;; [unrolled: 1-line block ×8, first 2 shown]
	v_cmp_eq_f32_e32 vcc, 0, v12
	v_cmp_eq_f32_e64 s[0:1], 0, v13
	v_mul_f32_e64 v4, v0, -v15
	v_mul_f32_e32 v5, v14, v0
	v_mul_f32_e64 v6, v1, -v15
	v_mul_f32_e32 v7, v14, v1
	;; [unrolled: 2-line block ×4, first 2 shown]
	s_and_b64 s[0:1], vcc, s[0:1]
	v_fmac_f32_e32 v4, v14, v21
	v_fmac_f32_e32 v5, v15, v21
	v_lshlrev_b32_e32 v8, 2, v16
	v_fmac_f32_e32 v6, v14, v22
	v_fmac_f32_e32 v7, v15, v22
	;; [unrolled: 1-line block ×6, first 2 shown]
	s_and_saveexec_b64 s[4:5], s[0:1]
	s_xor_b64 s[0:1], exec, s[4:5]
	s_cbranch_execz .LBB31_38
; %bb.37:
	v_ashrrev_i32_e32 v9, 31, v8
	v_lshlrev_b64 v[8:9], 3, v[8:9]
	s_waitcnt lgkmcnt(0)
	v_mov_b32_e32 v10, s3
	v_add_co_u32_e32 v8, vcc, s2, v8
	v_addc_co_u32_e32 v9, vcc, v10, v9, vcc
	global_store_dwordx4 v[8:9], v[4:7], off
	global_store_dwordx4 v[8:9], v[0:3], off offset:16
                                        ; implicit-def: $vgpr12_vgpr13
                                        ; implicit-def: $vgpr4
                                        ; implicit-def: $vgpr8
                                        ; implicit-def: $vgpr0
.LBB31_38:
	s_andn2_saveexec_b64 s[0:1], s[0:1]
	s_cbranch_execz .LBB31_8
; %bb.39:
	v_ashrrev_i32_e32 v9, 31, v8
	v_lshlrev_b64 v[8:9], 3, v[8:9]
	s_waitcnt lgkmcnt(0)
	v_mov_b32_e32 v10, s3
	v_add_co_u32_e32 v18, vcc, s2, v8
	v_addc_co_u32_e32 v19, vcc, v10, v9, vcc
	global_load_dwordx4 v[8:11], v[18:19], off
	global_load_dwordx4 v[14:17], v[18:19], off offset:16
	s_waitcnt vmcnt(1)
	v_fmac_f32_e32 v4, v12, v8
	v_fmac_f32_e32 v5, v13, v8
	;; [unrolled: 1-line block ×4, first 2 shown]
	s_waitcnt vmcnt(0)
	v_fmac_f32_e32 v0, v12, v14
	v_fmac_f32_e32 v1, v13, v14
	;; [unrolled: 1-line block ×4, first 2 shown]
	v_fma_f32 v4, -v13, v9, v4
	v_fmac_f32_e32 v5, v12, v9
	v_fma_f32 v6, -v13, v11, v6
	v_fmac_f32_e32 v7, v12, v11
	;; [unrolled: 2-line block ×4, first 2 shown]
	global_store_dwordx4 v[18:19], v[4:7], off
	global_store_dwordx4 v[18:19], v[0:3], off offset:16
	s_endpgm
	.section	.rodata,"a",@progbits
	.p2align	6, 0x0
	.amdhsa_kernel _ZN9rocsparseL18bsrxmvn_4x4_kernelILj128ELj8E21rocsparse_complex_numIfEliS2_S2_S2_EEvT3_20rocsparse_direction_NS_24const_host_device_scalarIT1_EES3_PKS3_PKT2_SC_S9_PKT4_PKT5_S7_PT6_21rocsparse_index_base_b
		.amdhsa_group_segment_fixed_size 0
		.amdhsa_private_segment_fixed_size 0
		.amdhsa_kernarg_size 96
		.amdhsa_user_sgpr_count 6
		.amdhsa_user_sgpr_private_segment_buffer 1
		.amdhsa_user_sgpr_dispatch_ptr 0
		.amdhsa_user_sgpr_queue_ptr 0
		.amdhsa_user_sgpr_kernarg_segment_ptr 1
		.amdhsa_user_sgpr_dispatch_id 0
		.amdhsa_user_sgpr_flat_scratch_init 0
		.amdhsa_user_sgpr_private_segment_size 0
		.amdhsa_uses_dynamic_stack 0
		.amdhsa_system_sgpr_private_segment_wavefront_offset 0
		.amdhsa_system_sgpr_workgroup_id_x 1
		.amdhsa_system_sgpr_workgroup_id_y 0
		.amdhsa_system_sgpr_workgroup_id_z 0
		.amdhsa_system_sgpr_workgroup_info 0
		.amdhsa_system_vgpr_workitem_id 0
		.amdhsa_next_free_vgpr 64
		.amdhsa_next_free_sgpr 20
		.amdhsa_reserve_vcc 1
		.amdhsa_reserve_flat_scratch 0
		.amdhsa_float_round_mode_32 0
		.amdhsa_float_round_mode_16_64 0
		.amdhsa_float_denorm_mode_32 3
		.amdhsa_float_denorm_mode_16_64 3
		.amdhsa_dx10_clamp 1
		.amdhsa_ieee_mode 1
		.amdhsa_fp16_overflow 0
		.amdhsa_exception_fp_ieee_invalid_op 0
		.amdhsa_exception_fp_denorm_src 0
		.amdhsa_exception_fp_ieee_div_zero 0
		.amdhsa_exception_fp_ieee_overflow 0
		.amdhsa_exception_fp_ieee_underflow 0
		.amdhsa_exception_fp_ieee_inexact 0
		.amdhsa_exception_int_div_zero 0
	.end_amdhsa_kernel
	.section	.text._ZN9rocsparseL18bsrxmvn_4x4_kernelILj128ELj8E21rocsparse_complex_numIfEliS2_S2_S2_EEvT3_20rocsparse_direction_NS_24const_host_device_scalarIT1_EES3_PKS3_PKT2_SC_S9_PKT4_PKT5_S7_PT6_21rocsparse_index_base_b,"axG",@progbits,_ZN9rocsparseL18bsrxmvn_4x4_kernelILj128ELj8E21rocsparse_complex_numIfEliS2_S2_S2_EEvT3_20rocsparse_direction_NS_24const_host_device_scalarIT1_EES3_PKS3_PKT2_SC_S9_PKT4_PKT5_S7_PT6_21rocsparse_index_base_b,comdat
.Lfunc_end31:
	.size	_ZN9rocsparseL18bsrxmvn_4x4_kernelILj128ELj8E21rocsparse_complex_numIfEliS2_S2_S2_EEvT3_20rocsparse_direction_NS_24const_host_device_scalarIT1_EES3_PKS3_PKT2_SC_S9_PKT4_PKT5_S7_PT6_21rocsparse_index_base_b, .Lfunc_end31-_ZN9rocsparseL18bsrxmvn_4x4_kernelILj128ELj8E21rocsparse_complex_numIfEliS2_S2_S2_EEvT3_20rocsparse_direction_NS_24const_host_device_scalarIT1_EES3_PKS3_PKT2_SC_S9_PKT4_PKT5_S7_PT6_21rocsparse_index_base_b
                                        ; -- End function
	.set _ZN9rocsparseL18bsrxmvn_4x4_kernelILj128ELj8E21rocsparse_complex_numIfEliS2_S2_S2_EEvT3_20rocsparse_direction_NS_24const_host_device_scalarIT1_EES3_PKS3_PKT2_SC_S9_PKT4_PKT5_S7_PT6_21rocsparse_index_base_b.num_vgpr, 64
	.set _ZN9rocsparseL18bsrxmvn_4x4_kernelILj128ELj8E21rocsparse_complex_numIfEliS2_S2_S2_EEvT3_20rocsparse_direction_NS_24const_host_device_scalarIT1_EES3_PKS3_PKT2_SC_S9_PKT4_PKT5_S7_PT6_21rocsparse_index_base_b.num_agpr, 0
	.set _ZN9rocsparseL18bsrxmvn_4x4_kernelILj128ELj8E21rocsparse_complex_numIfEliS2_S2_S2_EEvT3_20rocsparse_direction_NS_24const_host_device_scalarIT1_EES3_PKS3_PKT2_SC_S9_PKT4_PKT5_S7_PT6_21rocsparse_index_base_b.numbered_sgpr, 20
	.set _ZN9rocsparseL18bsrxmvn_4x4_kernelILj128ELj8E21rocsparse_complex_numIfEliS2_S2_S2_EEvT3_20rocsparse_direction_NS_24const_host_device_scalarIT1_EES3_PKS3_PKT2_SC_S9_PKT4_PKT5_S7_PT6_21rocsparse_index_base_b.num_named_barrier, 0
	.set _ZN9rocsparseL18bsrxmvn_4x4_kernelILj128ELj8E21rocsparse_complex_numIfEliS2_S2_S2_EEvT3_20rocsparse_direction_NS_24const_host_device_scalarIT1_EES3_PKS3_PKT2_SC_S9_PKT4_PKT5_S7_PT6_21rocsparse_index_base_b.private_seg_size, 0
	.set _ZN9rocsparseL18bsrxmvn_4x4_kernelILj128ELj8E21rocsparse_complex_numIfEliS2_S2_S2_EEvT3_20rocsparse_direction_NS_24const_host_device_scalarIT1_EES3_PKS3_PKT2_SC_S9_PKT4_PKT5_S7_PT6_21rocsparse_index_base_b.uses_vcc, 1
	.set _ZN9rocsparseL18bsrxmvn_4x4_kernelILj128ELj8E21rocsparse_complex_numIfEliS2_S2_S2_EEvT3_20rocsparse_direction_NS_24const_host_device_scalarIT1_EES3_PKS3_PKT2_SC_S9_PKT4_PKT5_S7_PT6_21rocsparse_index_base_b.uses_flat_scratch, 0
	.set _ZN9rocsparseL18bsrxmvn_4x4_kernelILj128ELj8E21rocsparse_complex_numIfEliS2_S2_S2_EEvT3_20rocsparse_direction_NS_24const_host_device_scalarIT1_EES3_PKS3_PKT2_SC_S9_PKT4_PKT5_S7_PT6_21rocsparse_index_base_b.has_dyn_sized_stack, 0
	.set _ZN9rocsparseL18bsrxmvn_4x4_kernelILj128ELj8E21rocsparse_complex_numIfEliS2_S2_S2_EEvT3_20rocsparse_direction_NS_24const_host_device_scalarIT1_EES3_PKS3_PKT2_SC_S9_PKT4_PKT5_S7_PT6_21rocsparse_index_base_b.has_recursion, 0
	.set _ZN9rocsparseL18bsrxmvn_4x4_kernelILj128ELj8E21rocsparse_complex_numIfEliS2_S2_S2_EEvT3_20rocsparse_direction_NS_24const_host_device_scalarIT1_EES3_PKS3_PKT2_SC_S9_PKT4_PKT5_S7_PT6_21rocsparse_index_base_b.has_indirect_call, 0
	.section	.AMDGPU.csdata,"",@progbits
; Kernel info:
; codeLenInByte = 6652
; TotalNumSgprs: 24
; NumVgprs: 64
; ScratchSize: 0
; MemoryBound: 0
; FloatMode: 240
; IeeeMode: 1
; LDSByteSize: 0 bytes/workgroup (compile time only)
; SGPRBlocks: 2
; VGPRBlocks: 15
; NumSGPRsForWavesPerEU: 24
; NumVGPRsForWavesPerEU: 64
; Occupancy: 4
; WaveLimiterHint : 1
; COMPUTE_PGM_RSRC2:SCRATCH_EN: 0
; COMPUTE_PGM_RSRC2:USER_SGPR: 6
; COMPUTE_PGM_RSRC2:TRAP_HANDLER: 0
; COMPUTE_PGM_RSRC2:TGID_X_EN: 1
; COMPUTE_PGM_RSRC2:TGID_Y_EN: 0
; COMPUTE_PGM_RSRC2:TGID_Z_EN: 0
; COMPUTE_PGM_RSRC2:TIDIG_COMP_CNT: 0
	.section	.text._ZN9rocsparseL18bsrxmvn_4x4_kernelILj128ELj16E21rocsparse_complex_numIfEliS2_S2_S2_EEvT3_20rocsparse_direction_NS_24const_host_device_scalarIT1_EES3_PKS3_PKT2_SC_S9_PKT4_PKT5_S7_PT6_21rocsparse_index_base_b,"axG",@progbits,_ZN9rocsparseL18bsrxmvn_4x4_kernelILj128ELj16E21rocsparse_complex_numIfEliS2_S2_S2_EEvT3_20rocsparse_direction_NS_24const_host_device_scalarIT1_EES3_PKS3_PKT2_SC_S9_PKT4_PKT5_S7_PT6_21rocsparse_index_base_b,comdat
	.globl	_ZN9rocsparseL18bsrxmvn_4x4_kernelILj128ELj16E21rocsparse_complex_numIfEliS2_S2_S2_EEvT3_20rocsparse_direction_NS_24const_host_device_scalarIT1_EES3_PKS3_PKT2_SC_S9_PKT4_PKT5_S7_PT6_21rocsparse_index_base_b ; -- Begin function _ZN9rocsparseL18bsrxmvn_4x4_kernelILj128ELj16E21rocsparse_complex_numIfEliS2_S2_S2_EEvT3_20rocsparse_direction_NS_24const_host_device_scalarIT1_EES3_PKS3_PKT2_SC_S9_PKT4_PKT5_S7_PT6_21rocsparse_index_base_b
	.p2align	8
	.type	_ZN9rocsparseL18bsrxmvn_4x4_kernelILj128ELj16E21rocsparse_complex_numIfEliS2_S2_S2_EEvT3_20rocsparse_direction_NS_24const_host_device_scalarIT1_EES3_PKS3_PKT2_SC_S9_PKT4_PKT5_S7_PT6_21rocsparse_index_base_b,@function
_ZN9rocsparseL18bsrxmvn_4x4_kernelILj128ELj16E21rocsparse_complex_numIfEliS2_S2_S2_EEvT3_20rocsparse_direction_NS_24const_host_device_scalarIT1_EES3_PKS3_PKT2_SC_S9_PKT4_PKT5_S7_PT6_21rocsparse_index_base_b: ; @_ZN9rocsparseL18bsrxmvn_4x4_kernelILj128ELj16E21rocsparse_complex_numIfEliS2_S2_S2_EEvT3_20rocsparse_direction_NS_24const_host_device_scalarIT1_EES3_PKS3_PKT2_SC_S9_PKT4_PKT5_S7_PT6_21rocsparse_index_base_b
; %bb.0:
	s_load_dwordx2 s[0:1], s[4:5], 0x8
	s_load_dwordx2 s[16:17], s[4:5], 0x58
	s_add_u32 s7, s4, 8
	s_addc_u32 s8, s5, 0
	s_add_u32 s9, s4, 0x48
	s_load_dwordx2 s[2:3], s[4:5], 0x48
	s_addc_u32 s10, s5, 0
	s_waitcnt lgkmcnt(0)
	s_bitcmp1_b32 s17, 0
	s_cselect_b32 s1, s8, s1
	s_cselect_b32 s0, s7, s0
	v_mov_b32_e32 v1, s0
	v_mov_b32_e32 v2, s1
	flat_load_dwordx2 v[14:15], v[1:2]
	s_cselect_b32 s0, s10, s3
	s_cselect_b32 s1, s9, s2
	v_mov_b32_e32 v1, s1
	v_mov_b32_e32 v2, s0
	flat_load_dwordx2 v[12:13], v[1:2]
	s_waitcnt vmcnt(0) lgkmcnt(0)
	v_cmp_eq_f32_e32 vcc, 0, v14
	v_cmp_eq_f32_e64 s[0:1], 0, v15
	s_and_b64 s[8:9], vcc, s[0:1]
	s_mov_b64 s[0:1], -1
	s_and_saveexec_b64 s[2:3], s[8:9]
; %bb.1:
	v_cmp_neq_f32_e32 vcc, 1.0, v12
	v_cmp_neq_f32_e64 s[0:1], 0, v13
	s_or_b64 s[0:1], vcc, s[0:1]
	s_orn2_b64 s[0:1], s[0:1], exec
; %bb.2:
	s_or_b64 exec, exec, s[2:3]
	s_and_saveexec_b64 s[2:3], s[0:1]
	s_cbranch_execz .LBB32_8
; %bb.3:
	s_load_dwordx2 s[8:9], s[4:5], 0x18
	s_load_dwordx2 s[0:1], s[4:5], 0x0
	v_lshrrev_b32_e32 v1, 4, v0
	v_lshl_or_b32 v16, s6, 3, v1
	s_mov_b64 s[2:3], 0
	s_waitcnt lgkmcnt(0)
	s_cmp_lg_u64 s[8:9], 0
	s_cbranch_scc0 .LBB32_9
; %bb.4:
	s_load_dword s6, s[4:5], 0x10
                                        ; implicit-def: $vgpr1
	s_waitcnt lgkmcnt(0)
	v_cmp_gt_i32_e32 vcc, s6, v16
	s_and_saveexec_b64 s[6:7], vcc
	s_xor_b64 s[6:7], exec, s[6:7]
	s_cbranch_execz .LBB32_6
; %bb.5:
	v_ashrrev_i32_e32 v17, 31, v16
	v_lshlrev_b64 v[1:2], 2, v[16:17]
	v_mov_b32_e32 v3, s9
	v_add_co_u32_e32 v1, vcc, s8, v1
	v_addc_co_u32_e32 v2, vcc, v3, v2, vcc
	global_load_dword v1, v[1:2], off
	s_mov_b64 s[2:3], exec
	s_waitcnt vmcnt(0)
	v_subrev_u32_e32 v1, s16, v1
.LBB32_6:
	s_or_b64 exec, exec, s[6:7]
	s_branch .LBB32_10
.LBB32_7:
	v_cmp_gt_i32_e32 vcc, s0, v16
	s_andn2_b64 s[2:3], s[2:3], exec
	s_and_b64 s[6:7], vcc, exec
	s_or_b64 s[2:3], s[2:3], s[6:7]
	s_and_b64 exec, exec, s[2:3]
	s_cbranch_execnz .LBB32_11
.LBB32_8:
	s_endpgm
.LBB32_9:
                                        ; implicit-def: $vgpr1
	s_cbranch_execnz .LBB32_7
.LBB32_10:
	v_mov_b32_e32 v16, v1
	s_and_b64 exec, exec, s[2:3]
	s_cbranch_execz .LBB32_8
.LBB32_11:
	s_load_dwordx8 s[8:15], s[4:5], 0x20
	v_ashrrev_i32_e32 v17, 31, v16
	v_lshlrev_b64 v[1:2], 3, v[16:17]
	v_and_b32_e32 v35, 15, v0
	v_mov_b32_e32 v23, 0
	s_waitcnt lgkmcnt(0)
	v_mov_b32_e32 v4, s9
	v_add_co_u32_e32 v3, vcc, s8, v1
	v_addc_co_u32_e32 v4, vcc, v4, v2, vcc
	global_load_dwordx2 v[25:26], v[3:4], off
	v_add_co_u32_e32 v3, vcc, 8, v3
	v_addc_co_u32_e32 v4, vcc, 0, v4, vcc
	v_mov_b32_e32 v5, s11
	v_add_co_u32_e32 v1, vcc, s10, v1
	s_cmp_eq_u64 s[10:11], 0
	v_addc_co_u32_e32 v2, vcc, v5, v2, vcc
	s_cselect_b64 vcc, -1, 0
	v_cndmask_b32_e32 v2, v2, v4, vcc
	v_cndmask_b32_e32 v1, v1, v3, vcc
	global_load_dwordx2 v[1:2], v[1:2], off
	s_load_dwordx2 s[8:9], s[4:5], 0x40
	v_mov_b32_e32 v3, s15
	s_cmp_eq_u32 s1, 1
	s_waitcnt vmcnt(1)
	v_subrev_co_u32_e32 v0, vcc, s16, v25
	v_subbrev_co_u32_e32 v4, vcc, 0, v26, vcc
	v_add_co_u32_e32 v17, vcc, v0, v35
	v_addc_co_u32_e32 v18, vcc, 0, v4, vcc
	s_waitcnt vmcnt(0)
	v_subrev_co_u32_e32 v19, vcc, s16, v1
	v_lshlrev_b64 v[0:1], 7, v[17:18]
	v_subbrev_co_u32_e32 v20, vcc, 0, v2, vcc
	v_cmp_lt_i64_e64 s[0:1], v[17:18], v[19:20]
	v_add_co_u32_e32 v21, vcc, s14, v0
	v_addc_co_u32_e32 v22, vcc, v3, v1, vcc
	s_cbranch_scc1 .LBB32_23
; %bb.12:
	v_mov_b32_e32 v7, 0
	v_mov_b32_e32 v6, 0
	;; [unrolled: 1-line block ×7, first 2 shown]
	s_and_saveexec_b64 s[10:11], s[0:1]
	s_cbranch_execz .LBB32_22
; %bb.13:
	v_or_b32_e32 v0, 16, v35
	v_subrev_co_u32_e32 v0, vcc, s16, v0
	v_subb_co_u32_e64 v1, s[2:3], 0, 0, vcc
	v_add_co_u32_e32 v0, vcc, v0, v25
	v_addc_co_u32_e32 v1, vcc, v1, v26, vcc
	v_cmp_gt_i64_e32 vcc, v[0:1], v[19:20]
	v_not_b32_e32 v3, v25
	v_cndmask_b32_e32 v1, v20, v1, vcc
	v_cndmask_b32_e32 v0, v19, v0, vcc
	v_sub_co_u32_e32 v4, vcc, s16, v35
	v_not_b32_e32 v2, v26
	v_subb_co_u32_e64 v5, s[2:3], 0, 0, vcc
	v_add_co_u32_e32 v3, vcc, v4, v3
	v_addc_co_u32_e32 v2, vcc, v5, v2, vcc
	v_add_co_u32_e32 v0, vcc, v3, v0
	v_addc_co_u32_e32 v1, vcc, v2, v1, vcc
	v_and_b32_e32 v23, 48, v0
	v_mov_b32_e32 v24, 0
	v_cmp_ne_u64_e32 vcc, 48, v[23:24]
	v_mov_b32_e32 v28, v22
	v_mov_b32_e32 v30, v18
	v_mov_b32_e32 v9, v24
	v_mov_b32_e32 v37, v24
	v_mov_b32_e32 v8, v24
	v_mov_b32_e32 v36, v24
	v_mov_b32_e32 v6, v24
	v_mov_b32_e32 v7, v24
	v_mov_b32_e32 v23, v24
	v_mov_b32_e32 v27, v21
	v_mov_b32_e32 v29, v17
	s_and_saveexec_b64 s[6:7], vcc
	s_cbranch_execz .LBB32_17
; %bb.14:
	v_lshrrev_b32_e32 v2, 4, v0
	v_add_u32_e32 v2, 1, v2
	v_and_b32_e32 v4, 3, v2
	v_lshlrev_b64 v[2:3], 2, v[17:18]
	v_mov_b32_e32 v5, s13
	v_add_co_u32_e32 v2, vcc, s12, v2
	v_addc_co_u32_e32 v3, vcc, v5, v3, vcc
	v_sub_co_u32_e32 v4, vcc, 0, v4
	v_mov_b32_e32 v30, v18
	v_mov_b32_e32 v28, v22
	;; [unrolled: 1-line block ×3, first 2 shown]
	s_mov_b64 s[14:15], 0
	v_subb_co_u32_e64 v5, s[2:3], 0, 0, vcc
	s_movk_i32 s17, 0x800
	s_waitcnt lgkmcnt(0)
	v_mov_b32_e32 v10, s9
	v_mov_b32_e32 v29, v17
	;; [unrolled: 1-line block ×10, first 2 shown]
.LBB32_15:                              ; =>This Inner Loop Header: Depth=1
	global_load_dword v11, v[2:3], off
	global_load_dwordx4 v[31:34], v[27:28], off offset:32
	global_load_dwordx4 v[38:41], v[27:28], off
	v_add_co_u32_e64 v29, s[2:3], 16, v29
	v_addc_co_u32_e64 v30, s[2:3], 0, v30, s[2:3]
	v_add_co_u32_e64 v2, s[2:3], 64, v2
	v_addc_co_u32_e64 v3, s[2:3], 0, v3, s[2:3]
	;; [unrolled: 2-line block ×3, first 2 shown]
	v_cmp_eq_u64_e64 s[2:3], 0, v[4:5]
	s_or_b64 s[14:15], s[2:3], s[14:15]
	s_waitcnt vmcnt(2)
	v_subrev_u32_e32 v11, s16, v11
	v_lshlrev_b32_e32 v42, 2, v11
	v_ashrrev_i32_e32 v43, 31, v42
	v_lshlrev_b64 v[42:43], 3, v[42:43]
	v_add_co_u32_e32 v46, vcc, s8, v42
	v_addc_co_u32_e32 v47, vcc, v10, v43, vcc
	global_load_dwordx4 v[42:45], v[46:47], off
	s_waitcnt vmcnt(0)
	v_fmac_f32_e32 v7, v38, v42
	v_fmac_f32_e32 v23, v39, v42
	v_fma_f32 v7, -v39, v43, v7
	v_fmac_f32_e32 v23, v38, v43
	v_fmac_f32_e32 v7, v40, v44
	;; [unrolled: 1-line block ×3, first 2 shown]
	v_fma_f32 v11, -v41, v45, v7
	v_fmac_f32_e32 v23, v40, v45
	global_load_dwordx4 v[38:41], v[27:28], off offset:64
	v_fmac_f32_e32 v9, v31, v42
	v_fmac_f32_e32 v24, v32, v42
	v_fma_f32 v7, -v32, v43, v9
	v_fmac_f32_e32 v24, v31, v43
	v_fmac_f32_e32 v7, v33, v44
	;; [unrolled: 1-line block ×3, first 2 shown]
	v_fma_f32 v48, -v34, v45, v7
	v_fmac_f32_e32 v24, v33, v45
	global_load_dwordx4 v[31:34], v[27:28], off offset:96
	s_waitcnt vmcnt(1)
	v_fmac_f32_e32 v8, v38, v42
	v_fmac_f32_e32 v37, v39, v42
	v_fma_f32 v7, -v39, v43, v8
	v_fmac_f32_e32 v37, v38, v43
	v_fmac_f32_e32 v7, v40, v44
	;; [unrolled: 1-line block ×3, first 2 shown]
	v_fma_f32 v49, -v41, v45, v7
	v_fmac_f32_e32 v37, v40, v45
	global_load_dwordx4 v[38:41], v[27:28], off offset:48
	s_waitcnt vmcnt(1)
	v_fmac_f32_e32 v6, v31, v42
	v_fmac_f32_e32 v36, v32, v42
	v_fma_f32 v6, -v32, v43, v6
	v_fmac_f32_e32 v36, v31, v43
	v_fmac_f32_e32 v6, v33, v44
	;; [unrolled: 1-line block ×3, first 2 shown]
	v_fma_f32 v50, -v34, v45, v6
	v_fmac_f32_e32 v36, v33, v45
	global_load_dwordx4 v[6:9], v[27:28], off offset:16
	global_load_dwordx4 v[31:34], v[46:47], off offset:16
	;; [unrolled: 1-line block ×3, first 2 shown]
	s_waitcnt vmcnt(1)
	v_fmac_f32_e32 v11, v6, v31
	v_fmac_f32_e32 v23, v7, v31
	;; [unrolled: 1-line block ×4, first 2 shown]
	v_fma_f32 v7, -v7, v32, v11
	v_fmac_f32_e32 v23, v6, v32
	v_fma_f32 v6, -v39, v32, v48
	v_fmac_f32_e32 v24, v38, v32
	v_fmac_f32_e32 v7, v8, v33
	;; [unrolled: 1-line block ×5, first 2 shown]
	v_fma_f32 v7, -v9, v34, v7
	v_fma_f32 v9, -v41, v34, v6
	v_fmac_f32_e32 v24, v40, v34
	global_load_dwordx4 v[38:41], v[27:28], off offset:112
	s_waitcnt vmcnt(1)
	v_fmac_f32_e32 v49, v42, v31
	v_fmac_f32_e32 v37, v43, v31
	v_fma_f32 v6, -v43, v32, v49
	v_fmac_f32_e32 v37, v42, v32
	v_add_co_u32_e32 v27, vcc, s17, v27
	v_fmac_f32_e32 v6, v44, v33
	v_fmac_f32_e32 v37, v45, v33
	;; [unrolled: 1-line block ×3, first 2 shown]
	v_addc_co_u32_e32 v28, vcc, 0, v28, vcc
	v_fma_f32 v8, -v45, v34, v6
	v_fmac_f32_e32 v37, v44, v34
	s_waitcnt vmcnt(0)
	v_fmac_f32_e32 v50, v38, v31
	v_fmac_f32_e32 v36, v39, v31
	v_fma_f32 v11, -v39, v32, v50
	v_fmac_f32_e32 v36, v38, v32
	v_fmac_f32_e32 v11, v40, v33
	;; [unrolled: 1-line block ×3, first 2 shown]
	v_fma_f32 v6, -v41, v34, v11
	v_fmac_f32_e32 v36, v40, v34
	s_andn2_b64 exec, exec, s[14:15]
	s_cbranch_execnz .LBB32_15
; %bb.16:
	s_or_b64 exec, exec, s[14:15]
.LBB32_17:
	s_or_b64 exec, exec, s[6:7]
	v_cmp_lt_u64_e32 vcc, 47, v[0:1]
	s_and_saveexec_b64 s[14:15], vcc
	s_cbranch_execz .LBB32_21
; %bb.18:
	v_lshlrev_b64 v[0:1], 2, v[29:30]
	v_mov_b32_e32 v2, s13
	v_add_co_u32_e32 v0, vcc, s12, v0
	v_addc_co_u32_e32 v1, vcc, v2, v1, vcc
	v_add_co_u32_e32 v31, vcc, 0x80, v0
	v_addc_co_u32_e32 v32, vcc, 0, v1, vcc
	s_mov_b64 s[18:19], 0
	s_waitcnt lgkmcnt(0)
	v_mov_b32_e32 v38, s9
	s_movk_i32 s17, 0x1000
.LBB32_19:                              ; =>This Inner Loop Header: Depth=1
	global_load_dword v4, v[31:32], off offset:-128
	global_load_dwordx4 v[0:3], v[27:28], off offset:32
	global_load_dwordx4 v[39:42], v[27:28], off
	global_load_dwordx4 v[43:46], v[27:28], off offset:64
	v_add_co_u32_e64 v29, s[2:3], 64, v29
	s_waitcnt vmcnt(3)
	v_subrev_u32_e32 v4, s16, v4
	v_lshlrev_b32_e32 v4, 2, v4
	v_ashrrev_i32_e32 v5, 31, v4
	v_lshlrev_b64 v[4:5], 3, v[4:5]
	v_add_co_u32_e32 v4, vcc, s8, v4
	v_addc_co_u32_e32 v5, vcc, v38, v5, vcc
	global_load_dwordx4 v[47:50], v[4:5], off
	s_waitcnt vmcnt(0)
	v_fmac_f32_e32 v7, v39, v47
	v_fmac_f32_e32 v23, v40, v47
	v_fma_f32 v7, -v40, v48, v7
	v_fmac_f32_e32 v23, v39, v48
	v_fmac_f32_e32 v7, v41, v49
	;; [unrolled: 1-line block ×3, first 2 shown]
	v_fma_f32 v11, -v42, v50, v7
	v_fmac_f32_e32 v23, v41, v50
	global_load_dwordx4 v[39:42], v[27:28], off offset:96
	v_fmac_f32_e32 v9, v0, v47
	v_fmac_f32_e32 v24, v1, v47
	v_fmac_f32_e32 v8, v43, v47
	v_fmac_f32_e32 v37, v44, v47
	v_fma_f32 v1, -v1, v48, v9
	v_fmac_f32_e32 v24, v0, v48
	v_fma_f32 v7, -v44, v48, v8
	v_fmac_f32_e32 v37, v43, v48
	v_fmac_f32_e32 v1, v2, v49
	;; [unrolled: 1-line block ×5, first 2 shown]
	v_fma_f32 v33, -v3, v50, v1
	v_fmac_f32_e32 v24, v2, v50
	global_load_dwordx4 v[0:3], v[27:28], off offset:48
	v_fma_f32 v34, -v46, v50, v7
	v_fmac_f32_e32 v37, v45, v50
	global_load_dwordx4 v[7:10], v[27:28], off offset:16
	s_waitcnt vmcnt(2)
	v_fmac_f32_e32 v6, v39, v47
	v_fmac_f32_e32 v36, v40, v47
	v_fma_f32 v6, -v40, v48, v6
	v_fmac_f32_e32 v36, v39, v48
	v_fmac_f32_e32 v6, v41, v49
	;; [unrolled: 1-line block ×3, first 2 shown]
	v_fma_f32 v47, -v42, v50, v6
	v_fmac_f32_e32 v36, v41, v50
	global_load_dwordx4 v[39:42], v[27:28], off offset:80
	global_load_dwordx4 v[43:46], v[4:5], off offset:16
	s_waitcnt vmcnt(0)
	v_fmac_f32_e32 v11, v7, v43
	v_fma_f32 v4, -v8, v44, v11
	v_fmac_f32_e32 v23, v8, v43
	v_fmac_f32_e32 v4, v9, v45
	;; [unrolled: 1-line block ×3, first 2 shown]
	v_fma_f32 v48, -v10, v46, v4
	global_load_dwordx4 v[4:7], v[27:28], off offset:112
	global_load_dword v49, v[31:32], off offset:-64
	v_fmac_f32_e32 v33, v0, v43
	v_fmac_f32_e32 v24, v1, v43
	v_fma_f32 v1, -v1, v44, v33
	v_fmac_f32_e32 v34, v39, v43
	v_fma_f32 v8, -v40, v44, v34
	v_fmac_f32_e32 v24, v0, v44
	v_fmac_f32_e32 v37, v40, v43
	;; [unrolled: 1-line block ×7, first 2 shown]
	v_fma_f32 v50, -v3, v46, v1
	v_fmac_f32_e32 v24, v2, v46
	global_load_dwordx4 v[0:3], v[27:28], off offset:2080
	v_fmac_f32_e32 v37, v42, v45
	v_fma_f32 v39, -v42, v46, v8
	v_fmac_f32_e32 v23, v9, v46
	global_load_dwordx4 v[8:11], v[27:28], off offset:2048
	v_fmac_f32_e32 v37, v41, v46
	s_waitcnt vmcnt(3)
	v_fmac_f32_e32 v47, v4, v43
	s_waitcnt vmcnt(2)
	v_subrev_u32_e32 v33, s16, v49
	v_lshlrev_b32_e32 v33, 2, v33
	v_ashrrev_i32_e32 v34, 31, v33
	v_lshlrev_b64 v[33:34], 3, v[33:34]
	v_fmac_f32_e32 v36, v5, v43
	v_fma_f32 v5, -v5, v44, v47
	v_fmac_f32_e32 v36, v4, v44
	v_add_co_u32_e32 v33, vcc, s8, v33
	v_fmac_f32_e32 v5, v6, v45
	v_fmac_f32_e32 v36, v7, v45
	v_addc_co_u32_e32 v34, vcc, v38, v34, vcc
	v_fma_f32 v40, -v7, v46, v5
	v_fmac_f32_e32 v36, v6, v46
	global_load_dwordx4 v[4:7], v[27:28], off offset:2112
	global_load_dwordx4 v[42:45], v[33:34], off
	s_waitcnt vmcnt(0)
	v_fmac_f32_e32 v24, v1, v42
	v_fmac_f32_e32 v39, v4, v42
	;; [unrolled: 1-line block ×5, first 2 shown]
	v_fma_f32 v0, -v5, v43, v39
	v_fmac_f32_e32 v37, v4, v43
	v_fmac_f32_e32 v0, v6, v44
	;; [unrolled: 1-line block ×3, first 2 shown]
	v_fma_f32 v41, -v7, v45, v0
	v_fmac_f32_e32 v37, v6, v45
	global_load_dwordx4 v[4:7], v[27:28], off offset:2064
	v_fmac_f32_e32 v48, v8, v42
	v_fmac_f32_e32 v23, v9, v42
	v_fma_f32 v9, -v9, v43, v48
	v_fmac_f32_e32 v23, v8, v43
	v_fmac_f32_e32 v9, v10, v44
	v_fmac_f32_e32 v23, v11, v44
	v_fma_f32 v51, -v11, v45, v9
	v_fmac_f32_e32 v23, v10, v45
	global_load_dwordx4 v[8:11], v[27:28], off offset:2144
	global_load_dwordx4 v[46:49], v[27:28], off offset:2096
	v_fma_f32 v1, -v1, v43, v50
	v_fmac_f32_e32 v1, v2, v44
	v_fmac_f32_e32 v24, v3, v44
	v_fma_f32 v50, -v3, v45, v1
	v_fmac_f32_e32 v24, v2, v45
	s_waitcnt vmcnt(1)
	v_fmac_f32_e32 v40, v8, v42
	v_fmac_f32_e32 v36, v9, v42
	v_fma_f32 v0, -v9, v43, v40
	v_fmac_f32_e32 v36, v8, v43
	v_fmac_f32_e32 v0, v10, v44
	;; [unrolled: 1-line block ×3, first 2 shown]
	v_fma_f32 v40, -v11, v45, v0
	v_fmac_f32_e32 v36, v10, v45
	global_load_dwordx4 v[8:11], v[27:28], off offset:2128
	global_load_dwordx4 v[0:3], v[33:34], off offset:16
	v_add_co_u32_e32 v33, vcc, s17, v27
	s_waitcnt vmcnt(0)
	v_fmac_f32_e32 v51, v4, v0
	v_fmac_f32_e32 v23, v5, v0
	v_fma_f32 v5, -v5, v1, v51
	v_fmac_f32_e32 v23, v4, v1
	v_fmac_f32_e32 v5, v6, v2
	;; [unrolled: 1-line block ×3, first 2 shown]
	v_fma_f32 v39, -v7, v3, v5
	v_fmac_f32_e32 v23, v6, v3
	global_load_dwordx4 v[4:7], v[27:28], off offset:2160
	global_load_dword v43, v[31:32], off
	v_fmac_f32_e32 v50, v46, v0
	v_fmac_f32_e32 v24, v47, v0
	v_fma_f32 v34, -v47, v1, v50
	v_fmac_f32_e32 v41, v8, v0
	v_fmac_f32_e32 v37, v9, v0
	;; [unrolled: 1-line block ×3, first 2 shown]
	v_fma_f32 v44, -v49, v3, v34
	v_addc_co_u32_e32 v34, vcc, 0, v28, vcc
	v_fma_f32 v9, -v9, v1, v41
	v_fmac_f32_e32 v37, v8, v1
	v_fmac_f32_e32 v9, v10, v2
	;; [unrolled: 1-line block ×4, first 2 shown]
	v_fma_f32 v45, -v11, v3, v9
	v_fmac_f32_e32 v37, v10, v3
	global_load_dwordx4 v[8:11], v[33:34], off
	v_fmac_f32_e32 v24, v49, v2
	v_fmac_f32_e32 v24, v48, v3
	global_load_dword v42, v[31:32], off offset:64
	s_waitcnt vmcnt(3)
	v_fmac_f32_e32 v36, v5, v0
	v_fmac_f32_e32 v40, v4, v0
	;; [unrolled: 1-line block ×3, first 2 shown]
	s_waitcnt vmcnt(2)
	v_subrev_u32_e32 v4, s16, v43
	v_lshlrev_b32_e32 v4, 2, v4
	v_fma_f32 v0, -v5, v1, v40
	v_ashrrev_i32_e32 v5, 31, v4
	v_lshlrev_b64 v[4:5], 3, v[4:5]
	v_fmac_f32_e32 v0, v6, v2
	v_add_co_u32_e32 v40, vcc, s8, v4
	v_fmac_f32_e32 v36, v7, v2
	v_addc_co_u32_e32 v41, vcc, v38, v5, vcc
	v_fma_f32 v46, -v7, v3, v0
	v_fmac_f32_e32 v36, v6, v3
	global_load_dwordx4 v[4:7], v[40:41], off
	global_load_dwordx4 v[0:3], v[33:34], off offset:32
	s_waitcnt vmcnt(2)
	v_subrev_u32_e32 v42, s16, v42
	s_waitcnt vmcnt(1)
	v_fmac_f32_e32 v39, v8, v4
	v_fmac_f32_e32 v23, v9, v4
	v_fma_f32 v9, -v9, v5, v39
	v_fmac_f32_e32 v23, v8, v5
	v_fmac_f32_e32 v9, v10, v6
	v_fmac_f32_e32 v23, v11, v6
	v_fma_f32 v39, -v11, v7, v9
	v_fmac_f32_e32 v23, v10, v7
	global_load_dwordx4 v[8:11], v[33:34], off offset:64
	s_waitcnt vmcnt(1)
	v_fmac_f32_e32 v44, v0, v4
	v_fmac_f32_e32 v24, v1, v4
	v_fma_f32 v1, -v1, v5, v44
	v_fmac_f32_e32 v24, v0, v5
	v_fmac_f32_e32 v1, v2, v6
	v_fmac_f32_e32 v24, v3, v6
	v_fma_f32 v47, -v3, v7, v1
	v_fmac_f32_e32 v24, v2, v7
	global_load_dwordx4 v[0:3], v[33:34], off offset:96
	;; [unrolled: 10-line block ×4, first 2 shown]
	global_load_dwordx4 v[4:7], v[33:34], off offset:80
	global_load_dwordx4 v[43:46], v[40:41], off offset:16
	s_waitcnt vmcnt(0)
	v_fmac_f32_e32 v39, v0, v43
	v_fmac_f32_e32 v23, v1, v43
	v_fma_f32 v1, -v1, v44, v39
	v_fmac_f32_e32 v23, v0, v44
	v_fmac_f32_e32 v1, v2, v45
	v_fmac_f32_e32 v23, v3, v45
	v_fma_f32 v39, -v3, v46, v1
	v_fmac_f32_e32 v23, v2, v46
	global_load_dwordx4 v[0:3], v[33:34], off offset:112
	v_fmac_f32_e32 v48, v4, v43
	v_fmac_f32_e32 v37, v5, v43
	v_fma_f32 v5, -v5, v44, v48
	v_fmac_f32_e32 v37, v4, v44
	v_fmac_f32_e32 v5, v6, v45
	v_fmac_f32_e32 v37, v7, v45
	v_fma_f32 v41, -v7, v46, v5
	v_fmac_f32_e32 v37, v6, v46
	global_load_dwordx4 v[4:7], v[33:34], off offset:2048
	;; [unrolled: 9-line block ×3, first 2 shown]
	s_waitcnt vmcnt(2)
	v_fmac_f32_e32 v49, v0, v43
	v_fmac_f32_e32 v36, v1, v43
	v_fma_f32 v1, -v1, v44, v49
	v_fmac_f32_e32 v36, v0, v44
	v_fmac_f32_e32 v1, v2, v45
	v_lshlrev_b32_e32 v0, 2, v42
	v_fma_f32 v43, -v3, v46, v1
	v_ashrrev_i32_e32 v1, 31, v0
	v_lshlrev_b64 v[0:1], 3, v[0:1]
	v_fmac_f32_e32 v36, v3, v45
	v_add_co_u32_e32 v47, vcc, s8, v0
	v_addc_co_u32_e32 v48, vcc, v38, v1, vcc
	v_fmac_f32_e32 v36, v2, v46
	global_load_dwordx4 v[0:3], v[47:48], off
	v_add_co_u32_e32 v31, vcc, 0x100, v31
	s_mov_b64 s[6:7], vcc
	v_addc_co_u32_e64 v30, vcc, 0, v30, s[2:3]
	v_addc_co_u32_e64 v32, s[2:3], 0, v32, s[6:7]
	v_cmp_ge_i64_e64 s[2:3], v[29:30], v[19:20]
	v_add_co_u32_e32 v27, vcc, 0x2000, v27
	v_addc_co_u32_e32 v28, vcc, 0, v28, vcc
	s_or_b64 s[18:19], s[2:3], s[18:19]
	s_waitcnt vmcnt(0)
	v_fmac_f32_e32 v39, v4, v0
	v_fmac_f32_e32 v23, v5, v0
	v_fma_f32 v5, -v5, v1, v39
	v_fmac_f32_e32 v23, v4, v1
	v_fmac_f32_e32 v5, v6, v2
	v_fmac_f32_e32 v23, v7, v2
	v_fma_f32 v49, -v7, v3, v5
	v_fmac_f32_e32 v23, v6, v3
	global_load_dwordx4 v[4:7], v[33:34], off offset:2112
	v_fmac_f32_e32 v40, v8, v0
	v_fmac_f32_e32 v24, v9, v0
	v_fma_f32 v9, -v9, v1, v40
	v_fmac_f32_e32 v24, v8, v1
	v_fmac_f32_e32 v9, v10, v2
	;; [unrolled: 1-line block ×3, first 2 shown]
	v_fma_f32 v50, -v11, v3, v9
	v_fmac_f32_e32 v24, v10, v3
	global_load_dwordx4 v[8:11], v[33:34], off offset:2144
	s_waitcnt vmcnt(1)
	v_fmac_f32_e32 v41, v4, v0
	v_fmac_f32_e32 v37, v5, v0
	v_fma_f32 v5, -v5, v1, v41
	global_load_dwordx4 v[39:42], v[33:34], off offset:2096
	v_fmac_f32_e32 v37, v4, v1
	v_fmac_f32_e32 v5, v6, v2
	;; [unrolled: 1-line block ×3, first 2 shown]
	v_fma_f32 v4, -v7, v3, v5
	v_fmac_f32_e32 v37, v6, v3
	s_waitcnt vmcnt(1)
	v_fmac_f32_e32 v43, v8, v0
	v_fmac_f32_e32 v36, v9, v0
	v_fma_f32 v0, -v9, v1, v43
	v_fmac_f32_e32 v36, v8, v1
	v_fmac_f32_e32 v0, v10, v2
	;; [unrolled: 1-line block ×3, first 2 shown]
	v_fma_f32 v5, -v11, v3, v0
	v_fmac_f32_e32 v36, v10, v3
	global_load_dwordx4 v[0:3], v[33:34], off offset:2064
	global_load_dwordx4 v[8:11], v[33:34], off offset:2128
	;; [unrolled: 1-line block ×3, first 2 shown]
	s_waitcnt vmcnt(0)
	v_fmac_f32_e32 v49, v0, v43
	v_fmac_f32_e32 v23, v1, v43
	v_fma_f32 v1, -v1, v44, v49
	v_fmac_f32_e32 v23, v0, v44
	v_fmac_f32_e32 v1, v2, v45
	v_fmac_f32_e32 v23, v3, v45
	v_fma_f32 v7, -v3, v46, v1
	v_fmac_f32_e32 v23, v2, v46
	global_load_dwordx4 v[0:3], v[33:34], off offset:2160
	v_fmac_f32_e32 v50, v39, v43
	v_fmac_f32_e32 v24, v40, v43
	v_fmac_f32_e32 v4, v8, v43
	v_fmac_f32_e32 v37, v9, v43
	v_fma_f32 v6, -v40, v44, v50
	v_fmac_f32_e32 v24, v39, v44
	v_fma_f32 v4, -v9, v44, v4
	v_fmac_f32_e32 v37, v8, v44
	v_fmac_f32_e32 v6, v41, v45
	;; [unrolled: 1-line block ×5, first 2 shown]
	v_fma_f32 v9, -v42, v46, v6
	v_fmac_f32_e32 v24, v41, v46
	v_fma_f32 v8, -v11, v46, v4
	v_fmac_f32_e32 v37, v10, v46
	s_waitcnt vmcnt(0)
	v_fmac_f32_e32 v5, v0, v43
	v_fmac_f32_e32 v36, v1, v43
	v_fma_f32 v1, -v1, v44, v5
	v_fmac_f32_e32 v36, v0, v44
	v_fmac_f32_e32 v1, v2, v45
	;; [unrolled: 1-line block ×3, first 2 shown]
	v_fma_f32 v6, -v3, v46, v1
	v_fmac_f32_e32 v36, v2, v46
	s_andn2_b64 exec, exec, s[18:19]
	s_cbranch_execnz .LBB32_19
; %bb.20:
	s_or_b64 exec, exec, s[18:19]
.LBB32_21:
	s_or_b64 exec, exec, s[14:15]
.LBB32_22:
	s_or_b64 exec, exec, s[10:11]
	s_cbranch_execz .LBB32_24
	s_branch .LBB32_35
.LBB32_23:
                                        ; implicit-def: $vgpr23
                                        ; implicit-def: $vgpr7
                                        ; implicit-def: $vgpr6
                                        ; implicit-def: $vgpr36
                                        ; implicit-def: $vgpr8
                                        ; implicit-def: $vgpr37
                                        ; implicit-def: $vgpr9
                                        ; implicit-def: $vgpr24
.LBB32_24:
	v_mov_b32_e32 v23, 0
	v_mov_b32_e32 v7, 0
	;; [unrolled: 1-line block ×8, first 2 shown]
	s_and_saveexec_b64 s[10:11], s[0:1]
	s_cbranch_execz .LBB32_34
; %bb.25:
	v_or_b32_e32 v0, 16, v35
	v_subrev_co_u32_e32 v0, vcc, s16, v0
	v_subb_co_u32_e64 v1, s[0:1], 0, 0, vcc
	v_add_co_u32_e32 v0, vcc, v0, v25
	v_addc_co_u32_e32 v1, vcc, v1, v26, vcc
	v_cmp_gt_i64_e32 vcc, v[0:1], v[19:20]
	v_not_b32_e32 v3, v25
	v_cndmask_b32_e32 v1, v20, v1, vcc
	v_cndmask_b32_e32 v0, v19, v0, vcc
	v_sub_co_u32_e32 v4, vcc, s16, v35
	v_not_b32_e32 v2, v26
	v_subb_co_u32_e64 v5, s[0:1], 0, 0, vcc
	v_add_co_u32_e32 v3, vcc, v4, v3
	v_addc_co_u32_e32 v2, vcc, v5, v2, vcc
	v_add_co_u32_e32 v0, vcc, v3, v0
	v_addc_co_u32_e32 v1, vcc, v2, v1, vcc
	v_and_b32_e32 v23, 48, v0
	v_mov_b32_e32 v24, 0
	v_cmp_ne_u64_e32 vcc, 48, v[23:24]
	v_mov_b32_e32 v9, v24
	v_mov_b32_e32 v37, v24
	;; [unrolled: 1-line block ×7, first 2 shown]
	s_and_saveexec_b64 s[14:15], vcc
	s_cbranch_execz .LBB32_29
; %bb.26:
	v_lshrrev_b32_e32 v2, 4, v0
	v_add_u32_e32 v2, 1, v2
	v_and_b32_e32 v4, 3, v2
	v_lshlrev_b64 v[2:3], 2, v[17:18]
	v_mov_b32_e32 v5, s13
	v_add_co_u32_e32 v2, vcc, s12, v2
	v_addc_co_u32_e32 v3, vcc, v5, v3, vcc
	v_sub_co_u32_e32 v4, vcc, 0, v4
	v_mov_b32_e32 v23, 0
	s_mov_b64 s[18:19], 0
	v_subb_co_u32_e64 v5, s[0:1], 0, 0, vcc
	s_movk_i32 s17, 0x800
	s_waitcnt lgkmcnt(0)
	v_mov_b32_e32 v10, s9
	v_mov_b32_e32 v7, 0
	;; [unrolled: 1-line block ×8, first 2 shown]
.LBB32_27:                              ; =>This Inner Loop Header: Depth=1
	global_load_dword v11, v[2:3], off
	global_load_dwordx4 v[25:28], v[21:22], off offset:32
	global_load_dwordx4 v[29:32], v[21:22], off offset:16
	global_load_dwordx4 v[38:41], v[21:22], off
	v_add_co_u32_e64 v17, s[0:1], 16, v17
	v_add_co_u32_e64 v2, s[2:3], 64, v2
	;; [unrolled: 1-line block ×3, first 2 shown]
	v_addc_co_u32_e64 v18, s[0:1], 0, v18, s[0:1]
	v_addc_co_u32_e64 v3, s[0:1], 0, v3, s[2:3]
	;; [unrolled: 1-line block ×3, first 2 shown]
	v_cmp_eq_u64_e64 s[0:1], 0, v[4:5]
	s_or_b64 s[18:19], s[0:1], s[18:19]
	s_waitcnt vmcnt(3)
	v_subrev_u32_e32 v11, s16, v11
	v_lshlrev_b32_e32 v33, 2, v11
	v_ashrrev_i32_e32 v34, 31, v33
	v_lshlrev_b64 v[33:34], 3, v[33:34]
	v_add_co_u32_e32 v33, vcc, s8, v33
	v_addc_co_u32_e32 v34, vcc, v10, v34, vcc
	global_load_dwordx4 v[42:45], v[33:34], off
	s_waitcnt vmcnt(0)
	v_fmac_f32_e32 v7, v38, v42
	v_fmac_f32_e32 v23, v39, v42
	;; [unrolled: 1-line block ×4, first 2 shown]
	v_fma_f32 v11, -v39, v43, v7
	v_fmac_f32_e32 v23, v38, v43
	v_fma_f32 v46, -v41, v43, v9
	v_fmac_f32_e32 v24, v40, v43
	global_load_dwordx4 v[38:41], v[21:22], off offset:48
	v_fmac_f32_e32 v8, v29, v42
	v_fmac_f32_e32 v37, v30, v42
	;; [unrolled: 1-line block ×4, first 2 shown]
	v_fma_f32 v30, -v30, v43, v8
	v_fmac_f32_e32 v37, v29, v43
	v_fma_f32 v29, -v32, v43, v6
	v_fmac_f32_e32 v36, v31, v43
	v_fmac_f32_e32 v11, v25, v44
	;; [unrolled: 1-line block ×5, first 2 shown]
	v_fma_f32 v11, -v26, v45, v11
	v_fmac_f32_e32 v23, v25, v45
	v_fma_f32 v42, -v28, v45, v46
	v_fmac_f32_e32 v24, v27, v45
	global_load_dwordx4 v[25:28], v[21:22], off offset:80
	global_load_dwordx4 v[6:9], v[21:22], off offset:96
	s_waitcnt vmcnt(2)
	v_fmac_f32_e32 v30, v38, v44
	v_fmac_f32_e32 v37, v39, v44
	;; [unrolled: 1-line block ×4, first 2 shown]
	v_fma_f32 v43, -v39, v45, v30
	v_fmac_f32_e32 v37, v38, v45
	v_fma_f32 v44, -v41, v45, v29
	v_fmac_f32_e32 v36, v40, v45
	global_load_dwordx4 v[29:32], v[21:22], off offset:64
	global_load_dwordx4 v[38:41], v[33:34], off offset:16
	s_waitcnt vmcnt(0)
	v_fmac_f32_e32 v11, v29, v38
	v_fmac_f32_e32 v23, v30, v38
	;; [unrolled: 1-line block ×4, first 2 shown]
	v_fma_f32 v11, -v30, v39, v11
	v_fmac_f32_e32 v23, v29, v39
	v_fma_f32 v33, -v32, v39, v42
	v_fmac_f32_e32 v24, v31, v39
	global_load_dwordx4 v[29:32], v[21:22], off offset:112
	v_fmac_f32_e32 v43, v25, v38
	v_fmac_f32_e32 v37, v26, v38
	;; [unrolled: 1-line block ×4, first 2 shown]
	v_fma_f32 v26, -v26, v39, v43
	v_fmac_f32_e32 v37, v25, v39
	v_fma_f32 v25, -v28, v39, v44
	v_fmac_f32_e32 v36, v27, v39
	v_add_co_u32_e32 v21, vcc, s17, v21
	v_fmac_f32_e32 v11, v6, v40
	v_fmac_f32_e32 v23, v7, v40
	;; [unrolled: 1-line block ×4, first 2 shown]
	v_addc_co_u32_e32 v22, vcc, 0, v22, vcc
	v_fma_f32 v7, -v7, v41, v11
	v_fmac_f32_e32 v23, v6, v41
	v_fma_f32 v9, -v9, v41, v33
	v_fmac_f32_e32 v24, v8, v41
	s_waitcnt vmcnt(0)
	v_fmac_f32_e32 v26, v29, v40
	v_fmac_f32_e32 v37, v30, v40
	;; [unrolled: 1-line block ×4, first 2 shown]
	v_fma_f32 v8, -v30, v41, v26
	v_fmac_f32_e32 v37, v29, v41
	v_fma_f32 v6, -v32, v41, v25
	v_fmac_f32_e32 v36, v31, v41
	s_andn2_b64 exec, exec, s[18:19]
	s_cbranch_execnz .LBB32_27
; %bb.28:
	s_or_b64 exec, exec, s[18:19]
.LBB32_29:
	s_or_b64 exec, exec, s[14:15]
	v_cmp_lt_u64_e32 vcc, 47, v[0:1]
	s_and_saveexec_b64 s[6:7], vcc
	s_cbranch_execz .LBB32_33
; %bb.30:
	v_lshlrev_b64 v[0:1], 2, v[17:18]
	v_mov_b32_e32 v2, s13
	v_add_co_u32_e32 v0, vcc, s12, v0
	v_addc_co_u32_e32 v1, vcc, v2, v1, vcc
	v_add_co_u32_e32 v25, vcc, 0x80, v0
	v_addc_co_u32_e32 v26, vcc, 0, v1, vcc
	s_mov_b64 s[12:13], 0
	s_waitcnt lgkmcnt(0)
	v_mov_b32_e32 v29, s9
	s_movk_i32 s9, 0x1000
.LBB32_31:                              ; =>This Inner Loop Header: Depth=1
	global_load_dword v4, v[25:26], off offset:-128
	global_load_dwordx4 v[0:3], v[21:22], off offset:32
	global_load_dwordx4 v[30:33], v[21:22], off offset:16
	global_load_dwordx4 v[38:41], v[21:22], off
	v_add_co_u32_e64 v17, s[0:1], 64, v17
	s_waitcnt vmcnt(3)
	v_subrev_u32_e32 v4, s16, v4
	v_lshlrev_b32_e32 v4, 2, v4
	v_ashrrev_i32_e32 v5, 31, v4
	v_lshlrev_b64 v[4:5], 3, v[4:5]
	v_add_co_u32_e32 v27, vcc, s8, v4
	v_addc_co_u32_e32 v28, vcc, v29, v5, vcc
	global_load_dwordx4 v[42:45], v[27:28], off
	s_waitcnt vmcnt(0)
	v_fmac_f32_e32 v7, v38, v42
	v_fmac_f32_e32 v23, v39, v42
	;; [unrolled: 1-line block ×4, first 2 shown]
	v_fma_f32 v10, -v39, v43, v7
	v_fmac_f32_e32 v23, v38, v43
	v_fma_f32 v9, -v41, v43, v9
	v_fmac_f32_e32 v24, v40, v43
	global_load_dwordx4 v[38:41], v[21:22], off offset:48
	v_fmac_f32_e32 v8, v30, v42
	v_fmac_f32_e32 v37, v31, v42
	;; [unrolled: 1-line block ×3, first 2 shown]
	v_fma_f32 v8, -v31, v43, v8
	v_fmac_f32_e32 v37, v30, v43
	v_fma_f32 v11, -v33, v43, v6
	v_fmac_f32_e32 v10, v0, v44
	v_fmac_f32_e32 v23, v1, v44
	;; [unrolled: 1-line block ×5, first 2 shown]
	v_fma_f32 v34, -v1, v45, v10
	v_fmac_f32_e32 v23, v0, v45
	v_fma_f32 v42, -v3, v45, v9
	v_fmac_f32_e32 v24, v2, v45
	global_load_dwordx4 v[0:3], v[21:22], off offset:80
	v_fmac_f32_e32 v36, v32, v43
	global_load_dwordx4 v[4:7], v[21:22], off offset:96
	s_waitcnt vmcnt(2)
	v_fmac_f32_e32 v8, v38, v44
	v_fmac_f32_e32 v37, v39, v44
	;; [unrolled: 1-line block ×3, first 2 shown]
	v_fma_f32 v39, -v39, v45, v8
	v_fmac_f32_e32 v37, v38, v45
	v_fma_f32 v38, -v41, v45, v11
	global_load_dwordx4 v[8:11], v[21:22], off offset:64
	global_load_dwordx4 v[30:33], v[27:28], off offset:16
	v_fmac_f32_e32 v36, v41, v44
	v_fmac_f32_e32 v36, v40, v45
	s_waitcnt vmcnt(0)
	v_fmac_f32_e32 v34, v8, v30
	v_fmac_f32_e32 v23, v9, v30
	;; [unrolled: 1-line block ×4, first 2 shown]
	v_fma_f32 v27, -v9, v31, v34
	v_fmac_f32_e32 v23, v8, v31
	v_fma_f32 v28, -v11, v31, v42
	v_fmac_f32_e32 v24, v10, v31
	global_load_dwordx4 v[8:11], v[21:22], off offset:112
	global_load_dword v34, v[25:26], off offset:-64
	v_fmac_f32_e32 v39, v0, v30
	v_fmac_f32_e32 v27, v4, v32
	v_fmac_f32_e32 v37, v1, v30
	v_fmac_f32_e32 v38, v2, v30
	v_fmac_f32_e32 v36, v3, v30
	v_fma_f32 v30, -v1, v31, v39
	v_fma_f32 v39, -v5, v33, v27
	v_fmac_f32_e32 v28, v6, v32
	v_fma_f32 v40, -v7, v33, v28
	v_fmac_f32_e32 v37, v0, v31
	;; [unrolled: 2-line block ×3, first 2 shown]
	v_fmac_f32_e32 v23, v5, v32
	v_fmac_f32_e32 v24, v7, v32
	;; [unrolled: 1-line block ×4, first 2 shown]
	global_load_dwordx4 v[4:7], v[21:22], off offset:2064
	global_load_dwordx4 v[0:3], v[21:22], off offset:2080
	s_waitcnt vmcnt(3)
	v_fmac_f32_e32 v30, v8, v32
	s_waitcnt vmcnt(2)
	v_subrev_u32_e32 v27, s16, v34
	v_lshlrev_b32_e32 v27, 2, v27
	v_ashrrev_i32_e32 v28, 31, v27
	v_lshlrev_b64 v[27:28], 3, v[27:28]
	v_fmac_f32_e32 v37, v9, v32
	v_add_co_u32_e32 v27, vcc, s8, v27
	v_fmac_f32_e32 v38, v10, v32
	v_fmac_f32_e32 v36, v11, v32
	v_addc_co_u32_e32 v28, vcc, v29, v28, vcc
	v_fma_f32 v41, -v9, v33, v30
	v_fmac_f32_e32 v37, v8, v33
	v_fma_f32 v38, -v11, v33, v38
	v_fmac_f32_e32 v36, v10, v33
	global_load_dwordx4 v[8:11], v[21:22], off offset:2048
	global_load_dwordx4 v[30:33], v[27:28], off
	s_waitcnt vmcnt(0)
	v_fmac_f32_e32 v39, v8, v30
	v_fmac_f32_e32 v23, v9, v30
	v_fmac_f32_e32 v40, v10, v30
	v_fmac_f32_e32 v24, v11, v30
	v_fma_f32 v34, -v9, v31, v39
	v_fmac_f32_e32 v23, v8, v31
	v_fma_f32 v39, -v11, v31, v40
	v_fmac_f32_e32 v24, v10, v31
	global_load_dwordx4 v[8:11], v[21:22], off offset:2096
	v_fmac_f32_e32 v41, v4, v30
	v_fmac_f32_e32 v37, v5, v30
	;; [unrolled: 1-line block ×4, first 2 shown]
	v_fma_f32 v30, -v5, v31, v41
	v_fmac_f32_e32 v37, v4, v31
	v_fma_f32 v42, -v7, v31, v38
	v_fmac_f32_e32 v36, v6, v31
	v_fmac_f32_e32 v34, v0, v32
	;; [unrolled: 1-line block ×5, first 2 shown]
	global_load_dwordx4 v[4:7], v[21:22], off offset:2144
	v_fma_f32 v31, -v1, v33, v34
	v_fmac_f32_e32 v23, v0, v33
	v_fma_f32 v34, -v3, v33, v39
	v_fmac_f32_e32 v24, v2, v33
	global_load_dwordx4 v[38:41], v[21:22], off offset:2128
	s_waitcnt vmcnt(2)
	v_fmac_f32_e32 v30, v8, v32
	v_fmac_f32_e32 v37, v9, v32
	;; [unrolled: 1-line block ×4, first 2 shown]
	v_fma_f32 v32, -v9, v33, v30
	v_fmac_f32_e32 v37, v8, v33
	v_fma_f32 v42, -v11, v33, v42
	v_fmac_f32_e32 v36, v10, v33
	global_load_dwordx4 v[8:11], v[21:22], off offset:2112
	global_load_dwordx4 v[0:3], v[27:28], off offset:16
	v_add_co_u32_e32 v27, vcc, s9, v21
	v_addc_co_u32_e32 v28, vcc, 0, v22, vcc
	s_waitcnt vmcnt(0)
	v_fmac_f32_e32 v31, v8, v0
	v_fmac_f32_e32 v23, v9, v0
	v_fmac_f32_e32 v34, v10, v0
	v_fmac_f32_e32 v24, v11, v0
	v_fma_f32 v30, -v9, v1, v31
	v_fmac_f32_e32 v23, v8, v1
	v_fma_f32 v31, -v11, v1, v34
	v_fmac_f32_e32 v24, v10, v1
	global_load_dwordx4 v[8:11], v[21:22], off offset:2160
	global_load_dword v33, v[25:26], off
	v_fmac_f32_e32 v32, v38, v0
	v_fmac_f32_e32 v37, v39, v0
	;; [unrolled: 1-line block ×4, first 2 shown]
	v_fma_f32 v32, -v39, v1, v32
	v_fmac_f32_e32 v37, v38, v1
	v_fma_f32 v34, -v41, v1, v42
	v_fmac_f32_e32 v36, v40, v1
	v_fmac_f32_e32 v30, v4, v2
	;; [unrolled: 1-line block ×5, first 2 shown]
	v_fma_f32 v38, -v5, v3, v30
	v_fmac_f32_e32 v23, v4, v3
	v_fma_f32 v39, -v7, v3, v31
	v_fmac_f32_e32 v24, v6, v3
	global_load_dwordx4 v[4:7], v[27:28], off
	global_load_dword v0, v[25:26], off offset:64
	s_waitcnt vmcnt(3)
	v_fmac_f32_e32 v32, v8, v2
	s_waitcnt vmcnt(2)
	v_subrev_u32_e32 v1, s16, v33
	v_lshlrev_b32_e32 v1, 2, v1
	v_fmac_f32_e32 v37, v9, v2
	v_fmac_f32_e32 v34, v10, v2
	;; [unrolled: 1-line block ×3, first 2 shown]
	v_ashrrev_i32_e32 v2, 31, v1
	v_lshlrev_b64 v[1:2], 3, v[1:2]
	v_fma_f32 v40, -v9, v3, v32
	v_add_co_u32_e32 v42, vcc, s8, v1
	v_addc_co_u32_e32 v43, vcc, v29, v2, vcc
	v_fmac_f32_e32 v37, v8, v3
	v_fma_f32 v34, -v11, v3, v34
	v_fmac_f32_e32 v36, v10, v3
	global_load_dwordx4 v[8:11], v[27:28], off offset:16
	global_load_dwordx4 v[30:33], v[42:43], off
	s_waitcnt vmcnt(2)
	v_subrev_u32_e32 v0, s16, v0
	s_waitcnt vmcnt(0)
	v_fmac_f32_e32 v38, v4, v30
	v_fmac_f32_e32 v23, v5, v30
	;; [unrolled: 1-line block ×5, first 2 shown]
	v_fma_f32 v38, -v5, v31, v38
	v_fmac_f32_e32 v23, v4, v31
	v_fma_f32 v39, -v7, v31, v39
	v_fmac_f32_e32 v24, v6, v31
	global_load_dwordx4 v[1:4], v[27:28], off offset:32
	v_fmac_f32_e32 v40, v8, v30
	v_fmac_f32_e32 v37, v8, v31
	global_load_dwordx4 v[5:8], v[27:28], off offset:48
	v_fmac_f32_e32 v34, v10, v30
	v_fmac_f32_e32 v36, v11, v30
	v_fma_f32 v9, -v9, v31, v40
	v_fma_f32 v11, -v11, v31, v34
	v_fmac_f32_e32 v36, v10, v31
	s_waitcnt vmcnt(1)
	v_fmac_f32_e32 v38, v1, v32
	v_fmac_f32_e32 v23, v2, v32
	;; [unrolled: 1-line block ×4, first 2 shown]
	s_waitcnt vmcnt(0)
	v_fmac_f32_e32 v9, v5, v32
	v_fmac_f32_e32 v37, v6, v32
	;; [unrolled: 1-line block ×4, first 2 shown]
	v_fma_f32 v10, -v2, v33, v38
	v_fmac_f32_e32 v23, v1, v33
	v_fma_f32 v34, -v4, v33, v39
	v_fmac_f32_e32 v24, v3, v33
	global_load_dwordx4 v[1:4], v[27:28], off offset:96
	v_fma_f32 v9, -v6, v33, v9
	v_fmac_f32_e32 v37, v5, v33
	v_fma_f32 v11, -v8, v33, v11
	v_fmac_f32_e32 v36, v7, v33
	global_load_dwordx4 v[5:8], v[27:28], off offset:80
	global_load_dwordx4 v[30:33], v[27:28], off offset:64
	;; [unrolled: 1-line block ×3, first 2 shown]
	s_waitcnt vmcnt(0)
	v_fmac_f32_e32 v10, v30, v38
	v_fmac_f32_e32 v23, v31, v38
	v_fmac_f32_e32 v34, v32, v38
	v_fmac_f32_e32 v24, v33, v38
	v_fma_f32 v10, -v31, v39, v10
	v_fmac_f32_e32 v23, v30, v39
	v_fma_f32 v34, -v33, v39, v34
	v_fmac_f32_e32 v24, v32, v39
	global_load_dwordx4 v[30:33], v[27:28], off offset:112
	v_fmac_f32_e32 v9, v5, v38
	v_fmac_f32_e32 v37, v6, v38
	;; [unrolled: 1-line block ×4, first 2 shown]
	v_fma_f32 v9, -v6, v39, v9
	v_fmac_f32_e32 v10, v1, v40
	v_fmac_f32_e32 v23, v2, v40
	;; [unrolled: 1-line block ×5, first 2 shown]
	v_fma_f32 v11, -v8, v39, v11
	v_fmac_f32_e32 v36, v7, v39
	v_fma_f32 v42, -v2, v41, v10
	v_fmac_f32_e32 v23, v1, v41
	v_fma_f32 v34, -v4, v41, v34
	v_fmac_f32_e32 v24, v3, v41
	global_load_dwordx4 v[1:4], v[27:28], off offset:2048
	global_load_dwordx4 v[5:8], v[27:28], off offset:2064
	s_waitcnt vmcnt(2)
	v_fmac_f32_e32 v9, v30, v40
	v_fmac_f32_e32 v37, v31, v40
	;; [unrolled: 1-line block ×4, first 2 shown]
	v_fma_f32 v40, -v31, v41, v9
	v_lshlrev_b32_e32 v9, 2, v0
	v_ashrrev_i32_e32 v10, 31, v9
	v_lshlrev_b64 v[9:10], 3, v[9:10]
	v_fmac_f32_e32 v37, v30, v41
	v_add_co_u32_e32 v38, vcc, s8, v9
	v_addc_co_u32_e32 v39, vcc, v29, v10, vcc
	v_fma_f32 v11, -v33, v41, v11
	v_fmac_f32_e32 v36, v32, v41
	global_load_dwordx4 v[30:33], v[38:39], off
	v_add_co_u32_e32 v25, vcc, 0x100, v25
	s_mov_b64 s[2:3], vcc
	v_addc_co_u32_e64 v18, vcc, 0, v18, s[0:1]
	v_addc_co_u32_e64 v26, s[0:1], 0, v26, s[2:3]
	v_cmp_ge_i64_e64 s[0:1], v[17:18], v[19:20]
	v_add_co_u32_e32 v21, vcc, 0x2000, v21
	v_addc_co_u32_e32 v22, vcc, 0, v22, vcc
	s_or_b64 s[12:13], s[0:1], s[12:13]
	s_waitcnt vmcnt(0)
	v_fmac_f32_e32 v42, v1, v30
	v_fmac_f32_e32 v23, v2, v30
	v_fmac_f32_e32 v24, v4, v30
	v_fmac_f32_e32 v34, v3, v30
	v_fma_f32 v9, -v2, v31, v42
	v_fmac_f32_e32 v23, v1, v31
	v_fmac_f32_e32 v24, v3, v31
	global_load_dwordx4 v[0:3], v[27:28], off offset:2080
	v_fmac_f32_e32 v40, v5, v30
	v_fmac_f32_e32 v37, v6, v30
	;; [unrolled: 1-line block ×3, first 2 shown]
	v_fma_f32 v10, -v4, v31, v34
	v_fmac_f32_e32 v11, v7, v30
	v_fma_f32 v30, -v6, v31, v40
	v_fmac_f32_e32 v37, v5, v31
	v_fmac_f32_e32 v36, v7, v31
	global_load_dwordx4 v[4:7], v[27:28], off offset:2096
	v_fma_f32 v8, -v8, v31, v11
	s_waitcnt vmcnt(1)
	v_fmac_f32_e32 v9, v0, v32
	v_fmac_f32_e32 v23, v1, v32
	;; [unrolled: 1-line block ×4, first 2 shown]
	v_fma_f32 v34, -v1, v33, v9
	v_fmac_f32_e32 v23, v0, v33
	v_fma_f32 v40, -v3, v33, v10
	v_fmac_f32_e32 v24, v2, v33
	global_load_dwordx4 v[0:3], v[27:28], off offset:2144
	s_waitcnt vmcnt(1)
	v_fmac_f32_e32 v30, v4, v32
	v_fmac_f32_e32 v37, v5, v32
	;; [unrolled: 1-line block ×4, first 2 shown]
	v_fma_f32 v42, -v5, v33, v30
	v_fmac_f32_e32 v37, v4, v33
	v_fma_f32 v43, -v7, v33, v8
	v_fmac_f32_e32 v36, v6, v33
	global_load_dwordx4 v[4:7], v[27:28], off offset:2128
	global_load_dwordx4 v[8:11], v[27:28], off offset:2112
	;; [unrolled: 1-line block ×3, first 2 shown]
	s_waitcnt vmcnt(0)
	v_fmac_f32_e32 v23, v9, v30
	v_fmac_f32_e32 v40, v10, v30
	;; [unrolled: 1-line block ×4, first 2 shown]
	v_fma_f32 v8, -v11, v31, v40
	global_load_dwordx4 v[38:41], v[27:28], off offset:2160
	v_fmac_f32_e32 v24, v11, v30
	v_fmac_f32_e32 v42, v4, v30
	;; [unrolled: 1-line block ×5, first 2 shown]
	v_fma_f32 v9, -v9, v31, v34
	v_fmac_f32_e32 v24, v10, v31
	v_fma_f32 v5, -v5, v31, v42
	v_fmac_f32_e32 v37, v4, v31
	;; [unrolled: 2-line block ×3, first 2 shown]
	v_fmac_f32_e32 v9, v0, v32
	v_fmac_f32_e32 v23, v1, v32
	;; [unrolled: 1-line block ×4, first 2 shown]
	v_fma_f32 v7, -v1, v33, v9
	v_fmac_f32_e32 v23, v0, v33
	v_fma_f32 v9, -v3, v33, v8
	v_fmac_f32_e32 v24, v2, v33
	s_waitcnt vmcnt(0)
	v_fmac_f32_e32 v5, v38, v32
	v_fmac_f32_e32 v37, v39, v32
	;; [unrolled: 1-line block ×4, first 2 shown]
	v_fma_f32 v8, -v39, v33, v5
	v_fmac_f32_e32 v37, v38, v33
	v_fma_f32 v6, -v41, v33, v4
	v_fmac_f32_e32 v36, v40, v33
	s_andn2_b64 exec, exec, s[12:13]
	s_cbranch_execnz .LBB32_31
; %bb.32:
	s_or_b64 exec, exec, s[12:13]
.LBB32_33:
	s_or_b64 exec, exec, s[6:7]
.LBB32_34:
	s_or_b64 exec, exec, s[10:11]
.LBB32_35:
	v_mov_b32_dpp v0, v7 row_shr:1 row_mask:0xf bank_mask:0xf
	v_add_f32_e32 v0, v7, v0
	v_mov_b32_dpp v2, v23 row_shr:1 row_mask:0xf bank_mask:0xf
	v_mov_b32_dpp v4, v9 row_shr:1 row_mask:0xf bank_mask:0xf
	;; [unrolled: 1-line block ×7, first 2 shown]
	v_add_f32_e32 v2, v23, v2
	v_add_f32_e32 v4, v9, v4
	;; [unrolled: 1-line block ×7, first 2 shown]
	v_mov_b32_dpp v1, v0 row_shr:2 row_mask:0xf bank_mask:0xf
	v_mov_b32_dpp v3, v2 row_shr:2 row_mask:0xf bank_mask:0xf
	;; [unrolled: 1-line block ×8, first 2 shown]
	v_add_f32_e32 v0, v0, v1
	v_add_f32_e32 v2, v2, v3
	;; [unrolled: 1-line block ×8, first 2 shown]
	v_mov_b32_dpp v1, v0 row_shr:4 row_mask:0xf bank_mask:0xe
	v_mov_b32_dpp v3, v2 row_shr:4 row_mask:0xf bank_mask:0xe
	;; [unrolled: 1-line block ×8, first 2 shown]
	v_add_f32_e32 v0, v0, v1
	v_add_f32_e32 v2, v2, v3
	;; [unrolled: 1-line block ×8, first 2 shown]
	v_mov_b32_dpp v1, v0 row_shr:8 row_mask:0xf bank_mask:0xc
	v_mov_b32_dpp v3, v2 row_shr:8 row_mask:0xf bank_mask:0xc
	;; [unrolled: 1-line block ×8, first 2 shown]
	v_cmp_eq_u32_e32 vcc, 15, v35
	s_and_b64 exec, exec, vcc
	s_cbranch_execz .LBB32_8
; %bb.36:
	s_load_dwordx2 s[2:3], s[4:5], 0x50
	v_add_f32_e32 v21, v0, v1
	v_add_f32_e32 v0, v2, v3
	;; [unrolled: 1-line block ×8, first 2 shown]
	v_cmp_eq_f32_e32 vcc, 0, v12
	v_cmp_eq_f32_e64 s[0:1], 0, v13
	v_mul_f32_e64 v4, v0, -v15
	v_mul_f32_e32 v5, v14, v0
	v_mul_f32_e64 v6, v1, -v15
	v_mul_f32_e32 v7, v14, v1
	;; [unrolled: 2-line block ×4, first 2 shown]
	s_and_b64 s[0:1], vcc, s[0:1]
	v_fmac_f32_e32 v4, v14, v21
	v_fmac_f32_e32 v5, v15, v21
	v_lshlrev_b32_e32 v8, 2, v16
	v_fmac_f32_e32 v6, v14, v22
	v_fmac_f32_e32 v7, v15, v22
	;; [unrolled: 1-line block ×6, first 2 shown]
	s_and_saveexec_b64 s[4:5], s[0:1]
	s_xor_b64 s[0:1], exec, s[4:5]
	s_cbranch_execz .LBB32_38
; %bb.37:
	v_ashrrev_i32_e32 v9, 31, v8
	v_lshlrev_b64 v[8:9], 3, v[8:9]
	s_waitcnt lgkmcnt(0)
	v_mov_b32_e32 v10, s3
	v_add_co_u32_e32 v8, vcc, s2, v8
	v_addc_co_u32_e32 v9, vcc, v10, v9, vcc
	global_store_dwordx4 v[8:9], v[4:7], off
	global_store_dwordx4 v[8:9], v[0:3], off offset:16
                                        ; implicit-def: $vgpr12_vgpr13
                                        ; implicit-def: $vgpr4
                                        ; implicit-def: $vgpr8
                                        ; implicit-def: $vgpr0
.LBB32_38:
	s_andn2_saveexec_b64 s[0:1], s[0:1]
	s_cbranch_execz .LBB32_8
; %bb.39:
	v_ashrrev_i32_e32 v9, 31, v8
	v_lshlrev_b64 v[8:9], 3, v[8:9]
	s_waitcnt lgkmcnt(0)
	v_mov_b32_e32 v10, s3
	v_add_co_u32_e32 v18, vcc, s2, v8
	v_addc_co_u32_e32 v19, vcc, v10, v9, vcc
	global_load_dwordx4 v[8:11], v[18:19], off
	global_load_dwordx4 v[14:17], v[18:19], off offset:16
	s_waitcnt vmcnt(1)
	v_fmac_f32_e32 v4, v12, v8
	v_fmac_f32_e32 v5, v13, v8
	v_fmac_f32_e32 v6, v12, v10
	v_fmac_f32_e32 v7, v13, v10
	s_waitcnt vmcnt(0)
	v_fmac_f32_e32 v0, v12, v14
	v_fmac_f32_e32 v1, v13, v14
	;; [unrolled: 1-line block ×4, first 2 shown]
	v_fma_f32 v4, -v13, v9, v4
	v_fmac_f32_e32 v5, v12, v9
	v_fma_f32 v6, -v13, v11, v6
	v_fmac_f32_e32 v7, v12, v11
	;; [unrolled: 2-line block ×4, first 2 shown]
	global_store_dwordx4 v[18:19], v[4:7], off
	global_store_dwordx4 v[18:19], v[0:3], off offset:16
	s_endpgm
	.section	.rodata,"a",@progbits
	.p2align	6, 0x0
	.amdhsa_kernel _ZN9rocsparseL18bsrxmvn_4x4_kernelILj128ELj16E21rocsparse_complex_numIfEliS2_S2_S2_EEvT3_20rocsparse_direction_NS_24const_host_device_scalarIT1_EES3_PKS3_PKT2_SC_S9_PKT4_PKT5_S7_PT6_21rocsparse_index_base_b
		.amdhsa_group_segment_fixed_size 0
		.amdhsa_private_segment_fixed_size 0
		.amdhsa_kernarg_size 96
		.amdhsa_user_sgpr_count 6
		.amdhsa_user_sgpr_private_segment_buffer 1
		.amdhsa_user_sgpr_dispatch_ptr 0
		.amdhsa_user_sgpr_queue_ptr 0
		.amdhsa_user_sgpr_kernarg_segment_ptr 1
		.amdhsa_user_sgpr_dispatch_id 0
		.amdhsa_user_sgpr_flat_scratch_init 0
		.amdhsa_user_sgpr_private_segment_size 0
		.amdhsa_uses_dynamic_stack 0
		.amdhsa_system_sgpr_private_segment_wavefront_offset 0
		.amdhsa_system_sgpr_workgroup_id_x 1
		.amdhsa_system_sgpr_workgroup_id_y 0
		.amdhsa_system_sgpr_workgroup_id_z 0
		.amdhsa_system_sgpr_workgroup_info 0
		.amdhsa_system_vgpr_workitem_id 0
		.amdhsa_next_free_vgpr 52
		.amdhsa_next_free_sgpr 20
		.amdhsa_reserve_vcc 1
		.amdhsa_reserve_flat_scratch 0
		.amdhsa_float_round_mode_32 0
		.amdhsa_float_round_mode_16_64 0
		.amdhsa_float_denorm_mode_32 3
		.amdhsa_float_denorm_mode_16_64 3
		.amdhsa_dx10_clamp 1
		.amdhsa_ieee_mode 1
		.amdhsa_fp16_overflow 0
		.amdhsa_exception_fp_ieee_invalid_op 0
		.amdhsa_exception_fp_denorm_src 0
		.amdhsa_exception_fp_ieee_div_zero 0
		.amdhsa_exception_fp_ieee_overflow 0
		.amdhsa_exception_fp_ieee_underflow 0
		.amdhsa_exception_fp_ieee_inexact 0
		.amdhsa_exception_int_div_zero 0
	.end_amdhsa_kernel
	.section	.text._ZN9rocsparseL18bsrxmvn_4x4_kernelILj128ELj16E21rocsparse_complex_numIfEliS2_S2_S2_EEvT3_20rocsparse_direction_NS_24const_host_device_scalarIT1_EES3_PKS3_PKT2_SC_S9_PKT4_PKT5_S7_PT6_21rocsparse_index_base_b,"axG",@progbits,_ZN9rocsparseL18bsrxmvn_4x4_kernelILj128ELj16E21rocsparse_complex_numIfEliS2_S2_S2_EEvT3_20rocsparse_direction_NS_24const_host_device_scalarIT1_EES3_PKS3_PKT2_SC_S9_PKT4_PKT5_S7_PT6_21rocsparse_index_base_b,comdat
.Lfunc_end32:
	.size	_ZN9rocsparseL18bsrxmvn_4x4_kernelILj128ELj16E21rocsparse_complex_numIfEliS2_S2_S2_EEvT3_20rocsparse_direction_NS_24const_host_device_scalarIT1_EES3_PKS3_PKT2_SC_S9_PKT4_PKT5_S7_PT6_21rocsparse_index_base_b, .Lfunc_end32-_ZN9rocsparseL18bsrxmvn_4x4_kernelILj128ELj16E21rocsparse_complex_numIfEliS2_S2_S2_EEvT3_20rocsparse_direction_NS_24const_host_device_scalarIT1_EES3_PKS3_PKT2_SC_S9_PKT4_PKT5_S7_PT6_21rocsparse_index_base_b
                                        ; -- End function
	.set _ZN9rocsparseL18bsrxmvn_4x4_kernelILj128ELj16E21rocsparse_complex_numIfEliS2_S2_S2_EEvT3_20rocsparse_direction_NS_24const_host_device_scalarIT1_EES3_PKS3_PKT2_SC_S9_PKT4_PKT5_S7_PT6_21rocsparse_index_base_b.num_vgpr, 52
	.set _ZN9rocsparseL18bsrxmvn_4x4_kernelILj128ELj16E21rocsparse_complex_numIfEliS2_S2_S2_EEvT3_20rocsparse_direction_NS_24const_host_device_scalarIT1_EES3_PKS3_PKT2_SC_S9_PKT4_PKT5_S7_PT6_21rocsparse_index_base_b.num_agpr, 0
	.set _ZN9rocsparseL18bsrxmvn_4x4_kernelILj128ELj16E21rocsparse_complex_numIfEliS2_S2_S2_EEvT3_20rocsparse_direction_NS_24const_host_device_scalarIT1_EES3_PKS3_PKT2_SC_S9_PKT4_PKT5_S7_PT6_21rocsparse_index_base_b.numbered_sgpr, 20
	.set _ZN9rocsparseL18bsrxmvn_4x4_kernelILj128ELj16E21rocsparse_complex_numIfEliS2_S2_S2_EEvT3_20rocsparse_direction_NS_24const_host_device_scalarIT1_EES3_PKS3_PKT2_SC_S9_PKT4_PKT5_S7_PT6_21rocsparse_index_base_b.num_named_barrier, 0
	.set _ZN9rocsparseL18bsrxmvn_4x4_kernelILj128ELj16E21rocsparse_complex_numIfEliS2_S2_S2_EEvT3_20rocsparse_direction_NS_24const_host_device_scalarIT1_EES3_PKS3_PKT2_SC_S9_PKT4_PKT5_S7_PT6_21rocsparse_index_base_b.private_seg_size, 0
	.set _ZN9rocsparseL18bsrxmvn_4x4_kernelILj128ELj16E21rocsparse_complex_numIfEliS2_S2_S2_EEvT3_20rocsparse_direction_NS_24const_host_device_scalarIT1_EES3_PKS3_PKT2_SC_S9_PKT4_PKT5_S7_PT6_21rocsparse_index_base_b.uses_vcc, 1
	.set _ZN9rocsparseL18bsrxmvn_4x4_kernelILj128ELj16E21rocsparse_complex_numIfEliS2_S2_S2_EEvT3_20rocsparse_direction_NS_24const_host_device_scalarIT1_EES3_PKS3_PKT2_SC_S9_PKT4_PKT5_S7_PT6_21rocsparse_index_base_b.uses_flat_scratch, 0
	.set _ZN9rocsparseL18bsrxmvn_4x4_kernelILj128ELj16E21rocsparse_complex_numIfEliS2_S2_S2_EEvT3_20rocsparse_direction_NS_24const_host_device_scalarIT1_EES3_PKS3_PKT2_SC_S9_PKT4_PKT5_S7_PT6_21rocsparse_index_base_b.has_dyn_sized_stack, 0
	.set _ZN9rocsparseL18bsrxmvn_4x4_kernelILj128ELj16E21rocsparse_complex_numIfEliS2_S2_S2_EEvT3_20rocsparse_direction_NS_24const_host_device_scalarIT1_EES3_PKS3_PKT2_SC_S9_PKT4_PKT5_S7_PT6_21rocsparse_index_base_b.has_recursion, 0
	.set _ZN9rocsparseL18bsrxmvn_4x4_kernelILj128ELj16E21rocsparse_complex_numIfEliS2_S2_S2_EEvT3_20rocsparse_direction_NS_24const_host_device_scalarIT1_EES3_PKS3_PKT2_SC_S9_PKT4_PKT5_S7_PT6_21rocsparse_index_base_b.has_indirect_call, 0
	.section	.AMDGPU.csdata,"",@progbits
; Kernel info:
; codeLenInByte = 6812
; TotalNumSgprs: 24
; NumVgprs: 52
; ScratchSize: 0
; MemoryBound: 0
; FloatMode: 240
; IeeeMode: 1
; LDSByteSize: 0 bytes/workgroup (compile time only)
; SGPRBlocks: 2
; VGPRBlocks: 12
; NumSGPRsForWavesPerEU: 24
; NumVGPRsForWavesPerEU: 52
; Occupancy: 4
; WaveLimiterHint : 1
; COMPUTE_PGM_RSRC2:SCRATCH_EN: 0
; COMPUTE_PGM_RSRC2:USER_SGPR: 6
; COMPUTE_PGM_RSRC2:TRAP_HANDLER: 0
; COMPUTE_PGM_RSRC2:TGID_X_EN: 1
; COMPUTE_PGM_RSRC2:TGID_Y_EN: 0
; COMPUTE_PGM_RSRC2:TGID_Z_EN: 0
; COMPUTE_PGM_RSRC2:TIDIG_COMP_CNT: 0
	.section	.text._ZN9rocsparseL18bsrxmvn_4x4_kernelILj128ELj32E21rocsparse_complex_numIfEliS2_S2_S2_EEvT3_20rocsparse_direction_NS_24const_host_device_scalarIT1_EES3_PKS3_PKT2_SC_S9_PKT4_PKT5_S7_PT6_21rocsparse_index_base_b,"axG",@progbits,_ZN9rocsparseL18bsrxmvn_4x4_kernelILj128ELj32E21rocsparse_complex_numIfEliS2_S2_S2_EEvT3_20rocsparse_direction_NS_24const_host_device_scalarIT1_EES3_PKS3_PKT2_SC_S9_PKT4_PKT5_S7_PT6_21rocsparse_index_base_b,comdat
	.globl	_ZN9rocsparseL18bsrxmvn_4x4_kernelILj128ELj32E21rocsparse_complex_numIfEliS2_S2_S2_EEvT3_20rocsparse_direction_NS_24const_host_device_scalarIT1_EES3_PKS3_PKT2_SC_S9_PKT4_PKT5_S7_PT6_21rocsparse_index_base_b ; -- Begin function _ZN9rocsparseL18bsrxmvn_4x4_kernelILj128ELj32E21rocsparse_complex_numIfEliS2_S2_S2_EEvT3_20rocsparse_direction_NS_24const_host_device_scalarIT1_EES3_PKS3_PKT2_SC_S9_PKT4_PKT5_S7_PT6_21rocsparse_index_base_b
	.p2align	8
	.type	_ZN9rocsparseL18bsrxmvn_4x4_kernelILj128ELj32E21rocsparse_complex_numIfEliS2_S2_S2_EEvT3_20rocsparse_direction_NS_24const_host_device_scalarIT1_EES3_PKS3_PKT2_SC_S9_PKT4_PKT5_S7_PT6_21rocsparse_index_base_b,@function
_ZN9rocsparseL18bsrxmvn_4x4_kernelILj128ELj32E21rocsparse_complex_numIfEliS2_S2_S2_EEvT3_20rocsparse_direction_NS_24const_host_device_scalarIT1_EES3_PKS3_PKT2_SC_S9_PKT4_PKT5_S7_PT6_21rocsparse_index_base_b: ; @_ZN9rocsparseL18bsrxmvn_4x4_kernelILj128ELj32E21rocsparse_complex_numIfEliS2_S2_S2_EEvT3_20rocsparse_direction_NS_24const_host_device_scalarIT1_EES3_PKS3_PKT2_SC_S9_PKT4_PKT5_S7_PT6_21rocsparse_index_base_b
; %bb.0:
	s_load_dwordx2 s[0:1], s[4:5], 0x8
	s_load_dwordx2 s[16:17], s[4:5], 0x58
	s_add_u32 s7, s4, 8
	s_addc_u32 s8, s5, 0
	s_add_u32 s9, s4, 0x48
	s_load_dwordx2 s[2:3], s[4:5], 0x48
	s_addc_u32 s10, s5, 0
	s_waitcnt lgkmcnt(0)
	s_bitcmp1_b32 s17, 0
	s_cselect_b32 s1, s8, s1
	s_cselect_b32 s0, s7, s0
	v_mov_b32_e32 v1, s0
	v_mov_b32_e32 v2, s1
	flat_load_dwordx2 v[14:15], v[1:2]
	s_cselect_b32 s0, s10, s3
	s_cselect_b32 s1, s9, s2
	v_mov_b32_e32 v1, s1
	v_mov_b32_e32 v2, s0
	flat_load_dwordx2 v[12:13], v[1:2]
	s_waitcnt vmcnt(0) lgkmcnt(0)
	v_cmp_eq_f32_e32 vcc, 0, v14
	v_cmp_eq_f32_e64 s[0:1], 0, v15
	s_and_b64 s[8:9], vcc, s[0:1]
	s_mov_b64 s[0:1], -1
	s_and_saveexec_b64 s[2:3], s[8:9]
; %bb.1:
	v_cmp_neq_f32_e32 vcc, 1.0, v12
	v_cmp_neq_f32_e64 s[0:1], 0, v13
	s_or_b64 s[0:1], vcc, s[0:1]
	s_orn2_b64 s[0:1], s[0:1], exec
; %bb.2:
	s_or_b64 exec, exec, s[2:3]
	s_and_saveexec_b64 s[2:3], s[0:1]
	s_cbranch_execz .LBB33_8
; %bb.3:
	s_load_dwordx2 s[8:9], s[4:5], 0x18
	s_load_dwordx2 s[0:1], s[4:5], 0x0
	v_lshrrev_b32_e32 v1, 5, v0
	v_lshl_or_b32 v16, s6, 2, v1
	s_mov_b64 s[2:3], 0
	s_waitcnt lgkmcnt(0)
	s_cmp_lg_u64 s[8:9], 0
	s_cbranch_scc0 .LBB33_9
; %bb.4:
	s_load_dword s6, s[4:5], 0x10
                                        ; implicit-def: $vgpr1
	s_waitcnt lgkmcnt(0)
	v_cmp_gt_i32_e32 vcc, s6, v16
	s_and_saveexec_b64 s[6:7], vcc
	s_xor_b64 s[6:7], exec, s[6:7]
	s_cbranch_execz .LBB33_6
; %bb.5:
	v_ashrrev_i32_e32 v17, 31, v16
	v_lshlrev_b64 v[1:2], 2, v[16:17]
	v_mov_b32_e32 v3, s9
	v_add_co_u32_e32 v1, vcc, s8, v1
	v_addc_co_u32_e32 v2, vcc, v3, v2, vcc
	global_load_dword v1, v[1:2], off
	s_mov_b64 s[2:3], exec
	s_waitcnt vmcnt(0)
	v_subrev_u32_e32 v1, s16, v1
.LBB33_6:
	s_or_b64 exec, exec, s[6:7]
	s_branch .LBB33_10
.LBB33_7:
	v_cmp_gt_i32_e32 vcc, s0, v16
	s_andn2_b64 s[2:3], s[2:3], exec
	s_and_b64 s[6:7], vcc, exec
	s_or_b64 s[2:3], s[2:3], s[6:7]
	s_and_b64 exec, exec, s[2:3]
	s_cbranch_execnz .LBB33_11
.LBB33_8:
	s_endpgm
.LBB33_9:
                                        ; implicit-def: $vgpr1
	s_cbranch_execnz .LBB33_7
.LBB33_10:
	v_mov_b32_e32 v16, v1
	s_and_b64 exec, exec, s[2:3]
	s_cbranch_execz .LBB33_8
.LBB33_11:
	s_load_dwordx8 s[8:15], s[4:5], 0x20
	v_ashrrev_i32_e32 v17, 31, v16
	v_lshlrev_b64 v[1:2], 3, v[16:17]
	v_and_b32_e32 v37, 31, v0
	v_mov_b32_e32 v23, 0
	s_waitcnt lgkmcnt(0)
	v_mov_b32_e32 v4, s9
	v_add_co_u32_e32 v3, vcc, s8, v1
	v_addc_co_u32_e32 v4, vcc, v4, v2, vcc
	global_load_dwordx2 v[25:26], v[3:4], off
	v_add_co_u32_e32 v3, vcc, 8, v3
	v_addc_co_u32_e32 v4, vcc, 0, v4, vcc
	v_mov_b32_e32 v5, s11
	v_add_co_u32_e32 v1, vcc, s10, v1
	s_cmp_eq_u64 s[10:11], 0
	v_addc_co_u32_e32 v2, vcc, v5, v2, vcc
	s_cselect_b64 vcc, -1, 0
	v_cndmask_b32_e32 v2, v2, v4, vcc
	v_cndmask_b32_e32 v1, v1, v3, vcc
	global_load_dwordx2 v[1:2], v[1:2], off
	s_load_dwordx2 s[8:9], s[4:5], 0x40
	v_mov_b32_e32 v3, s15
	s_cmp_eq_u32 s1, 1
	s_waitcnt vmcnt(1)
	v_subrev_co_u32_e32 v0, vcc, s16, v25
	v_subbrev_co_u32_e32 v4, vcc, 0, v26, vcc
	v_add_co_u32_e32 v17, vcc, v0, v37
	v_addc_co_u32_e32 v18, vcc, 0, v4, vcc
	s_waitcnt vmcnt(0)
	v_subrev_co_u32_e32 v19, vcc, s16, v1
	v_lshlrev_b64 v[0:1], 7, v[17:18]
	v_subbrev_co_u32_e32 v20, vcc, 0, v2, vcc
	v_cmp_lt_i64_e64 s[0:1], v[17:18], v[19:20]
	v_add_co_u32_e32 v21, vcc, s14, v0
	v_addc_co_u32_e32 v22, vcc, v3, v1, vcc
	s_cbranch_scc1 .LBB33_23
; %bb.12:
	v_mov_b32_e32 v7, 0
	v_mov_b32_e32 v6, 0
	;; [unrolled: 1-line block ×7, first 2 shown]
	s_and_saveexec_b64 s[10:11], s[0:1]
	s_cbranch_execz .LBB33_22
; %bb.13:
	v_or_b32_e32 v0, 32, v37
	v_subrev_co_u32_e32 v0, vcc, s16, v0
	v_subb_co_u32_e64 v1, s[2:3], 0, 0, vcc
	v_add_co_u32_e32 v0, vcc, v0, v25
	v_addc_co_u32_e32 v1, vcc, v1, v26, vcc
	v_cmp_gt_i64_e32 vcc, v[0:1], v[19:20]
	v_not_b32_e32 v3, v25
	v_cndmask_b32_e32 v1, v20, v1, vcc
	v_cndmask_b32_e32 v0, v19, v0, vcc
	v_sub_co_u32_e32 v4, vcc, s16, v37
	v_not_b32_e32 v2, v26
	v_subb_co_u32_e64 v5, s[2:3], 0, 0, vcc
	v_add_co_u32_e32 v3, vcc, v4, v3
	v_addc_co_u32_e32 v2, vcc, v5, v2, vcc
	v_add_co_u32_e32 v0, vcc, v3, v0
	v_addc_co_u32_e32 v1, vcc, v2, v1, vcc
	v_and_b32_e32 v23, 0x60, v0
	v_mov_b32_e32 v24, 0
	s_mov_b64 s[2:3], 0x60
	v_cmp_ne_u64_e32 vcc, s[2:3], v[23:24]
	v_mov_b32_e32 v28, v22
	v_mov_b32_e32 v30, v18
	;; [unrolled: 1-line block ×11, first 2 shown]
	s_and_saveexec_b64 s[6:7], vcc
	s_cbranch_execz .LBB33_17
; %bb.14:
	v_lshrrev_b32_e32 v2, 5, v0
	v_add_u32_e32 v2, 1, v2
	v_and_b32_e32 v4, 3, v2
	v_lshlrev_b64 v[2:3], 2, v[17:18]
	v_mov_b32_e32 v5, s13
	v_add_co_u32_e32 v2, vcc, s12, v2
	v_addc_co_u32_e32 v3, vcc, v5, v3, vcc
	v_sub_co_u32_e32 v4, vcc, 0, v4
	v_mov_b32_e32 v30, v18
	v_mov_b32_e32 v28, v22
	;; [unrolled: 1-line block ×3, first 2 shown]
	s_mov_b64 s[14:15], 0
	v_subb_co_u32_e64 v5, s[2:3], 0, 0, vcc
	s_movk_i32 s17, 0x1000
	s_waitcnt lgkmcnt(0)
	v_mov_b32_e32 v10, s9
	v_mov_b32_e32 v29, v17
	;; [unrolled: 1-line block ×10, first 2 shown]
.LBB33_15:                              ; =>This Inner Loop Header: Depth=1
	global_load_dword v11, v[2:3], off
	global_load_dwordx4 v[31:34], v[27:28], off offset:32
	global_load_dwordx4 v[40:43], v[27:28], off
	v_add_co_u32_e64 v29, s[2:3], 32, v29
	v_addc_co_u32_e64 v30, s[2:3], 0, v30, s[2:3]
	v_add_co_u32_e64 v4, s[2:3], 1, v4
	v_addc_co_u32_e64 v5, s[2:3], 0, v5, s[2:3]
	v_cmp_eq_u64_e64 s[2:3], 0, v[4:5]
	s_or_b64 s[14:15], s[2:3], s[14:15]
	s_waitcnt vmcnt(2)
	v_subrev_u32_e32 v11, s16, v11
	v_lshlrev_b32_e32 v35, 2, v11
	v_ashrrev_i32_e32 v36, 31, v35
	v_lshlrev_b64 v[35:36], 3, v[35:36]
	v_add_co_u32_e32 v35, vcc, s8, v35
	v_addc_co_u32_e32 v36, vcc, v10, v36, vcc
	global_load_dwordx4 v[44:47], v[35:36], off
	s_waitcnt vmcnt(0)
	v_fmac_f32_e32 v7, v40, v44
	v_fmac_f32_e32 v23, v41, v44
	v_fma_f32 v7, -v41, v45, v7
	v_fmac_f32_e32 v23, v40, v45
	v_fmac_f32_e32 v7, v42, v46
	;; [unrolled: 1-line block ×3, first 2 shown]
	v_fma_f32 v11, -v43, v47, v7
	v_fmac_f32_e32 v23, v42, v47
	global_load_dwordx4 v[40:43], v[27:28], off offset:64
	v_fmac_f32_e32 v9, v31, v44
	v_fmac_f32_e32 v24, v32, v44
	v_fma_f32 v7, -v32, v45, v9
	v_fmac_f32_e32 v24, v31, v45
	v_fmac_f32_e32 v7, v33, v46
	;; [unrolled: 1-line block ×3, first 2 shown]
	v_fma_f32 v48, -v34, v47, v7
	v_fmac_f32_e32 v24, v33, v47
	global_load_dwordx4 v[31:34], v[27:28], off offset:96
	s_waitcnt vmcnt(1)
	v_fmac_f32_e32 v8, v40, v44
	v_fmac_f32_e32 v39, v41, v44
	v_fma_f32 v7, -v41, v45, v8
	v_fmac_f32_e32 v39, v40, v45
	v_fmac_f32_e32 v7, v42, v46
	;; [unrolled: 1-line block ×3, first 2 shown]
	v_fma_f32 v49, -v43, v47, v7
	v_fmac_f32_e32 v39, v42, v47
	global_load_dwordx4 v[40:43], v[27:28], off offset:48
	s_waitcnt vmcnt(1)
	v_fmac_f32_e32 v6, v31, v44
	v_fmac_f32_e32 v38, v32, v44
	v_fma_f32 v6, -v32, v45, v6
	v_fmac_f32_e32 v38, v31, v45
	v_fmac_f32_e32 v6, v33, v46
	;; [unrolled: 1-line block ×3, first 2 shown]
	v_fma_f32 v50, -v34, v47, v6
	v_fmac_f32_e32 v38, v33, v47
	global_load_dwordx4 v[6:9], v[27:28], off offset:16
	global_load_dwordx4 v[31:34], v[35:36], off offset:16
	;; [unrolled: 1-line block ×3, first 2 shown]
	s_waitcnt vmcnt(1)
	v_fmac_f32_e32 v11, v6, v31
	v_fmac_f32_e32 v23, v7, v31
	;; [unrolled: 1-line block ×4, first 2 shown]
	v_fma_f32 v7, -v7, v32, v11
	v_fmac_f32_e32 v23, v6, v32
	v_fma_f32 v6, -v41, v32, v48
	v_fmac_f32_e32 v24, v40, v32
	v_fmac_f32_e32 v7, v8, v33
	;; [unrolled: 1-line block ×5, first 2 shown]
	v_fma_f32 v7, -v9, v34, v7
	v_fma_f32 v9, -v43, v34, v6
	v_fmac_f32_e32 v24, v42, v34
	global_load_dwordx4 v[40:43], v[27:28], off offset:112
	v_add_co_u32_e32 v27, vcc, s17, v27
	s_waitcnt vmcnt(1)
	v_fmac_f32_e32 v49, v44, v31
	v_fmac_f32_e32 v39, v45, v31
	v_addc_co_u32_e32 v28, vcc, 0, v28, vcc
	v_fma_f32 v6, -v45, v32, v49
	v_fmac_f32_e32 v39, v44, v32
	v_add_co_u32_e32 v2, vcc, 0x80, v2
	v_fmac_f32_e32 v6, v46, v33
	v_fmac_f32_e32 v39, v47, v33
	;; [unrolled: 1-line block ×3, first 2 shown]
	v_addc_co_u32_e32 v3, vcc, 0, v3, vcc
	v_fma_f32 v8, -v47, v34, v6
	v_fmac_f32_e32 v39, v46, v34
	s_waitcnt vmcnt(0)
	v_fmac_f32_e32 v50, v40, v31
	v_fmac_f32_e32 v38, v41, v31
	v_fma_f32 v11, -v41, v32, v50
	v_fmac_f32_e32 v38, v40, v32
	v_fmac_f32_e32 v11, v42, v33
	;; [unrolled: 1-line block ×3, first 2 shown]
	v_fma_f32 v6, -v43, v34, v11
	v_fmac_f32_e32 v38, v42, v34
	s_andn2_b64 exec, exec, s[14:15]
	s_cbranch_execnz .LBB33_15
; %bb.16:
	s_or_b64 exec, exec, s[14:15]
.LBB33_17:
	s_or_b64 exec, exec, s[6:7]
	s_mov_b64 s[2:3], 0x5f
	v_cmp_lt_u64_e32 vcc, s[2:3], v[0:1]
	s_and_saveexec_b64 s[14:15], vcc
	s_cbranch_execz .LBB33_21
; %bb.18:
	v_lshlrev_b64 v[0:1], 2, v[29:30]
	v_mov_b32_e32 v2, s13
	v_add_co_u32_e32 v0, vcc, s12, v0
	v_addc_co_u32_e32 v1, vcc, v2, v1, vcc
	v_add_co_u32_e32 v31, vcc, 0x100, v0
	v_addc_co_u32_e32 v32, vcc, 0, v1, vcc
	s_mov_b64 s[18:19], 0
	s_waitcnt lgkmcnt(0)
	v_mov_b32_e32 v40, s9
	s_movk_i32 s17, 0x1000
	s_movk_i32 s20, 0x2000
	;; [unrolled: 1-line block ×3, first 2 shown]
.LBB33_19:                              ; =>This Inner Loop Header: Depth=1
	global_load_dword v4, v[31:32], off offset:-256
	global_load_dwordx4 v[0:3], v[27:28], off offset:32
	global_load_dwordx4 v[33:36], v[27:28], off
	global_load_dwordx4 v[41:44], v[27:28], off offset:64
	global_load_dwordx4 v[49:52], v[27:28], off offset:96
	global_load_dwordx4 v[53:56], v[27:28], off offset:48
	global_load_dwordx4 v[57:60], v[27:28], off offset:16
	s_waitcnt vmcnt(6)
	v_subrev_u32_e32 v4, s16, v4
	v_lshlrev_b32_e32 v4, 2, v4
	v_ashrrev_i32_e32 v5, 31, v4
	v_lshlrev_b64 v[4:5], 3, v[4:5]
	v_add_co_u32_e32 v4, vcc, s8, v4
	v_addc_co_u32_e32 v5, vcc, v40, v5, vcc
	global_load_dwordx4 v[45:48], v[4:5], off
	s_waitcnt vmcnt(0)
	v_fmac_f32_e32 v24, v1, v45
	v_fmac_f32_e32 v8, v41, v45
	;; [unrolled: 1-line block ×4, first 2 shown]
	v_fma_f32 v0, -v42, v46, v8
	v_fmac_f32_e32 v7, v33, v45
	v_fmac_f32_e32 v39, v42, v45
	;; [unrolled: 1-line block ×5, first 2 shown]
	v_fma_f32 v7, -v34, v46, v7
	v_fma_f32 v1, -v1, v46, v9
	v_fmac_f32_e32 v39, v41, v46
	v_fma_f32 v34, -v44, v48, v0
	v_fma_f32 v0, -v50, v46, v6
	v_fmac_f32_e32 v1, v2, v47
	v_fmac_f32_e32 v24, v3, v47
	;; [unrolled: 1-line block ×5, first 2 shown]
	v_fma_f32 v33, -v3, v48, v1
	v_fmac_f32_e32 v24, v2, v48
	v_fmac_f32_e32 v39, v43, v48
	v_fma_f32 v43, -v52, v48, v0
	global_load_dwordx4 v[8:11], v[27:28], off offset:80
	global_load_dwordx4 v[0:3], v[4:5], off offset:16
	v_fmac_f32_e32 v7, v35, v47
	v_fma_f32 v7, -v36, v48, v7
	v_fmac_f32_e32 v38, v50, v45
	v_fmac_f32_e32 v38, v49, v46
	;; [unrolled: 1-line block ×6, first 2 shown]
	v_add_co_u32_e64 v35, s[2:3], s17, v27
	v_addc_co_u32_e64 v36, s[2:3], 0, v28, s[2:3]
	s_waitcnt vmcnt(0)
	v_fmac_f32_e32 v7, v57, v0
	v_fma_f32 v4, -v58, v1, v7
	v_fmac_f32_e32 v4, v59, v2
	v_fma_f32 v42, -v60, v3, v4
	global_load_dwordx4 v[4:7], v[27:28], off offset:112
	global_load_dword v45, v[31:32], off offset:-128
	v_fmac_f32_e32 v33, v53, v0
	v_fma_f32 v33, -v54, v1, v33
	v_fmac_f32_e32 v34, v8, v0
	v_fmac_f32_e32 v23, v58, v0
	;; [unrolled: 1-line block ×5, first 2 shown]
	v_fma_f32 v9, -v9, v1, v34
	v_fma_f32 v44, -v56, v3, v33
	v_add_co_u32_e32 v33, vcc, s20, v27
	v_fmac_f32_e32 v39, v8, v1
	v_fmac_f32_e32 v9, v10, v2
	v_add_co_u32_e64 v8, s[6:7], s21, v27
	v_fmac_f32_e32 v39, v11, v2
	v_fma_f32 v47, -v11, v3, v9
	v_addc_co_u32_e32 v34, vcc, 0, v28, vcc
	v_addc_co_u32_e64 v9, vcc, 0, v28, s[6:7]
	v_fmac_f32_e32 v23, v57, v1
	v_fmac_f32_e32 v24, v53, v1
	;; [unrolled: 1-line block ×7, first 2 shown]
	global_load_dword v46, v[31:32], off
	global_load_dword v41, v[31:32], off offset:128
	s_waitcnt vmcnt(3)
	v_fmac_f32_e32 v38, v5, v0
	v_fmac_f32_e32 v43, v4, v0
	;; [unrolled: 1-line block ×3, first 2 shown]
	s_waitcnt vmcnt(2)
	v_subrev_u32_e32 v4, s16, v45
	v_lshlrev_b32_e32 v4, 2, v4
	v_fma_f32 v0, -v5, v1, v43
	v_ashrrev_i32_e32 v5, 31, v4
	v_lshlrev_b64 v[4:5], 3, v[4:5]
	v_fmac_f32_e32 v0, v6, v2
	v_add_co_u32_e32 v10, vcc, s8, v4
	v_fmac_f32_e32 v38, v7, v2
	v_addc_co_u32_e32 v11, vcc, v40, v5, vcc
	v_fma_f32 v43, -v7, v3, v0
	v_fmac_f32_e32 v38, v6, v3
	global_load_dwordx4 v[0:3], v[33:34], off offset:-4096
	global_load_dwordx4 v[4:7], v[10:11], off
	s_waitcnt vmcnt(0)
	v_fmac_f32_e32 v42, v0, v4
	v_fmac_f32_e32 v23, v1, v4
	v_fma_f32 v1, -v1, v5, v42
	v_fmac_f32_e32 v23, v0, v5
	v_fmac_f32_e32 v1, v2, v6
	v_fmac_f32_e32 v23, v3, v6
	v_fma_f32 v42, -v3, v7, v1
	v_fmac_f32_e32 v23, v2, v7
	global_load_dwordx4 v[0:3], v[35:36], off offset:32
	s_waitcnt vmcnt(0)
	v_fmac_f32_e32 v44, v0, v4
	v_fmac_f32_e32 v24, v1, v4
	v_fma_f32 v1, -v1, v5, v44
	v_fmac_f32_e32 v24, v0, v5
	v_fmac_f32_e32 v1, v2, v6
	v_fmac_f32_e32 v24, v3, v6
	v_fma_f32 v44, -v3, v7, v1
	v_fmac_f32_e32 v24, v2, v7
	global_load_dwordx4 v[0:3], v[35:36], off offset:64
	;; [unrolled: 10-line block ×4, first 2 shown]
	global_load_dwordx4 v[4:7], v[10:11], off offset:16
	v_subrev_u32_e32 v10, s16, v46
	v_lshlrev_b32_e32 v10, 2, v10
	v_ashrrev_i32_e32 v11, 31, v10
	v_lshlrev_b64 v[10:11], 3, v[10:11]
	v_add_co_u32_e32 v10, vcc, s8, v10
	v_addc_co_u32_e32 v11, vcc, v40, v11, vcc
	s_waitcnt vmcnt(0)
	v_fmac_f32_e32 v42, v0, v4
	v_fmac_f32_e32 v23, v1, v4
	v_fma_f32 v1, -v1, v5, v42
	v_fmac_f32_e32 v23, v0, v5
	v_fmac_f32_e32 v1, v2, v6
	;; [unrolled: 1-line block ×3, first 2 shown]
	v_fma_f32 v49, -v3, v7, v1
	v_fmac_f32_e32 v23, v2, v7
	global_load_dwordx4 v[0:3], v[35:36], off offset:48
	s_waitcnt vmcnt(0)
	v_fmac_f32_e32 v44, v0, v4
	v_fmac_f32_e32 v24, v1, v4
	v_fma_f32 v1, -v1, v5, v44
	v_fmac_f32_e32 v24, v0, v5
	v_fmac_f32_e32 v1, v2, v6
	;; [unrolled: 1-line block ×3, first 2 shown]
	v_fma_f32 v50, -v3, v7, v1
	v_fmac_f32_e32 v24, v2, v7
	global_load_dwordx4 v[0:3], v[35:36], off offset:80
	global_load_dwordx4 v[42:45], v[35:36], off offset:112
	s_waitcnt vmcnt(1)
	v_fmac_f32_e32 v47, v0, v4
	v_fmac_f32_e32 v39, v1, v4
	s_waitcnt vmcnt(0)
	v_fmac_f32_e32 v48, v42, v4
	v_fmac_f32_e32 v38, v43, v4
	v_fma_f32 v1, -v1, v5, v47
	v_fmac_f32_e32 v39, v0, v5
	v_fma_f32 v4, -v43, v5, v48
	v_fmac_f32_e32 v38, v42, v5
	v_fmac_f32_e32 v1, v2, v6
	;; [unrolled: 1-line block ×5, first 2 shown]
	v_fma_f32 v35, -v3, v7, v1
	v_fmac_f32_e32 v39, v2, v7
	global_load_dwordx4 v[0:3], v[33:34], off
	v_fma_f32 v36, -v45, v7, v4
	v_fmac_f32_e32 v38, v44, v7
	global_load_dwordx4 v[42:45], v[10:11], off
	global_load_dwordx4 v[4:7], v[33:34], off offset:32
	s_waitcnt vmcnt(1)
	v_fmac_f32_e32 v49, v0, v42
	v_fmac_f32_e32 v23, v1, v42
	v_fma_f32 v1, -v1, v43, v49
	v_fmac_f32_e32 v23, v0, v43
	v_fmac_f32_e32 v1, v2, v44
	;; [unrolled: 1-line block ×3, first 2 shown]
	v_fma_f32 v54, -v3, v45, v1
	v_fmac_f32_e32 v23, v2, v45
	global_load_dwordx4 v[0:3], v[33:34], off offset:64
	global_load_dwordx4 v[46:49], v[33:34], off offset:96
	s_waitcnt vmcnt(2)
	v_fmac_f32_e32 v50, v4, v42
	v_fmac_f32_e32 v24, v5, v42
	v_fma_f32 v5, -v5, v43, v50
	global_load_dwordx4 v[50:53], v[33:34], off offset:48
	v_fmac_f32_e32 v24, v4, v43
	v_fmac_f32_e32 v5, v6, v44
	;; [unrolled: 1-line block ×3, first 2 shown]
	v_fma_f32 v4, -v7, v45, v5
	v_fmac_f32_e32 v24, v6, v45
	s_waitcnt vmcnt(2)
	v_fmac_f32_e32 v35, v0, v42
	v_fmac_f32_e32 v39, v1, v42
	s_waitcnt vmcnt(1)
	v_fmac_f32_e32 v36, v46, v42
	v_fmac_f32_e32 v38, v47, v42
	v_fma_f32 v1, -v1, v43, v35
	v_fmac_f32_e32 v39, v0, v43
	v_fma_f32 v0, -v47, v43, v36
	v_fmac_f32_e32 v38, v46, v43
	v_fmac_f32_e32 v1, v2, v44
	;; [unrolled: 1-line block ×5, first 2 shown]
	v_fma_f32 v7, -v3, v45, v1
	v_fmac_f32_e32 v39, v2, v45
	v_fma_f32 v6, -v49, v45, v0
	v_fmac_f32_e32 v38, v48, v45
	global_load_dwordx4 v[42:45], v[33:34], off offset:16
	global_load_dwordx4 v[0:3], v[10:11], off offset:16
	s_waitcnt vmcnt(0)
	v_fmac_f32_e32 v54, v42, v0
	v_fmac_f32_e32 v23, v43, v0
	v_fma_f32 v5, -v43, v1, v54
	v_fmac_f32_e32 v23, v42, v1
	v_fmac_f32_e32 v5, v44, v2
	;; [unrolled: 1-line block ×3, first 2 shown]
	v_fma_f32 v5, -v45, v3, v5
	v_fmac_f32_e32 v23, v44, v3
	global_load_dwordx4 v[42:45], v[33:34], off offset:80
	global_load_dwordx4 v[46:49], v[33:34], off offset:112
	v_fmac_f32_e32 v4, v50, v0
	v_fmac_f32_e32 v24, v51, v0
	;; [unrolled: 1-line block ×3, first 2 shown]
	v_fma_f32 v4, -v51, v1, v4
	v_fmac_f32_e32 v4, v52, v2
	v_fmac_f32_e32 v24, v53, v2
	v_fma_f32 v4, -v53, v3, v4
	v_fmac_f32_e32 v24, v52, v3
	global_load_dwordx4 v[33:36], v[8:9], off
	s_waitcnt vmcnt(2)
	v_fmac_f32_e32 v7, v42, v0
	v_fma_f32 v7, -v43, v1, v7
	s_waitcnt vmcnt(1)
	v_fmac_f32_e32 v6, v46, v0
	v_fmac_f32_e32 v39, v43, v0
	;; [unrolled: 1-line block ×4, first 2 shown]
	v_fma_f32 v0, -v47, v1, v6
	v_fma_f32 v50, -v45, v3, v7
	v_subrev_u32_e32 v7, s16, v41
	v_fmac_f32_e32 v0, v48, v2
	v_fma_f32 v41, -v49, v3, v0
	v_lshlrev_b32_e32 v0, 2, v7
	v_fmac_f32_e32 v39, v42, v1
	v_fmac_f32_e32 v38, v46, v1
	v_ashrrev_i32_e32 v1, 31, v0
	v_lshlrev_b64 v[0:1], 3, v[0:1]
	v_fmac_f32_e32 v39, v45, v2
	v_add_co_u32_e32 v10, vcc, s8, v0
	v_fmac_f32_e32 v38, v49, v2
	v_addc_co_u32_e32 v11, vcc, v40, v1, vcc
	v_fmac_f32_e32 v39, v44, v3
	v_fmac_f32_e32 v38, v48, v3
	global_load_dwordx4 v[0:3], v[10:11], off
	global_load_dwordx4 v[42:45], v[8:9], off offset:32
	v_add_co_u32_e32 v29, vcc, 0x80, v29
	s_mov_b64 s[2:3], vcc
	v_add_co_u32_e32 v31, vcc, 0x200, v31
	s_mov_b64 s[6:7], vcc
	v_addc_co_u32_e64 v30, vcc, 0, v30, s[2:3]
	v_addc_co_u32_e64 v32, s[2:3], 0, v32, s[6:7]
	v_cmp_ge_i64_e64 s[2:3], v[29:30], v[19:20]
	v_add_co_u32_e32 v27, vcc, 0x4000, v27
	v_addc_co_u32_e32 v28, vcc, 0, v28, vcc
	s_or_b64 s[18:19], s[2:3], s[18:19]
	s_waitcnt vmcnt(1)
	v_fmac_f32_e32 v5, v33, v0
	v_fmac_f32_e32 v23, v34, v0
	v_fma_f32 v5, -v34, v1, v5
	v_fmac_f32_e32 v23, v33, v1
	v_fmac_f32_e32 v5, v35, v2
	;; [unrolled: 1-line block ×3, first 2 shown]
	v_fma_f32 v49, -v36, v3, v5
	v_fmac_f32_e32 v23, v35, v3
	global_load_dwordx4 v[33:36], v[8:9], off offset:64
	s_waitcnt vmcnt(1)
	v_fmac_f32_e32 v4, v42, v0
	v_fma_f32 v4, -v43, v1, v4
	v_fmac_f32_e32 v4, v44, v2
	v_fma_f32 v51, -v45, v3, v4
	global_load_dwordx4 v[4:7], v[8:9], off offset:96
	v_fmac_f32_e32 v24, v43, v0
	v_fmac_f32_e32 v24, v42, v1
	;; [unrolled: 1-line block ×4, first 2 shown]
	s_waitcnt vmcnt(1)
	v_fmac_f32_e32 v50, v33, v0
	v_fmac_f32_e32 v39, v34, v0
	v_fma_f32 v34, -v34, v1, v50
	v_fmac_f32_e32 v39, v33, v1
	v_fmac_f32_e32 v34, v35, v2
	;; [unrolled: 1-line block ×3, first 2 shown]
	v_fma_f32 v50, -v36, v3, v34
	v_fmac_f32_e32 v39, v35, v3
	global_load_dwordx4 v[33:36], v[8:9], off offset:48
	s_waitcnt vmcnt(1)
	v_fmac_f32_e32 v41, v4, v0
	v_fmac_f32_e32 v38, v5, v0
	v_fma_f32 v0, -v5, v1, v41
	v_fmac_f32_e32 v38, v4, v1
	v_fmac_f32_e32 v0, v6, v2
	;; [unrolled: 1-line block ×3, first 2 shown]
	v_fma_f32 v4, -v7, v3, v0
	v_fmac_f32_e32 v38, v6, v3
	global_load_dwordx4 v[0:3], v[8:9], off offset:16
	global_load_dwordx4 v[41:44], v[8:9], off offset:80
	global_load_dwordx4 v[45:48], v[10:11], off offset:16
	s_waitcnt vmcnt(0)
	v_fmac_f32_e32 v49, v0, v45
	v_fmac_f32_e32 v23, v1, v45
	v_fma_f32 v1, -v1, v46, v49
	v_fmac_f32_e32 v23, v0, v46
	v_fmac_f32_e32 v1, v2, v47
	;; [unrolled: 1-line block ×3, first 2 shown]
	v_fma_f32 v7, -v3, v48, v1
	v_fmac_f32_e32 v23, v2, v48
	global_load_dwordx4 v[0:3], v[8:9], off offset:112
	v_fmac_f32_e32 v51, v33, v45
	v_fmac_f32_e32 v24, v34, v45
	;; [unrolled: 1-line block ×4, first 2 shown]
	v_fma_f32 v5, -v34, v46, v51
	v_fmac_f32_e32 v24, v33, v46
	v_fma_f32 v6, -v42, v46, v50
	v_fmac_f32_e32 v39, v41, v46
	v_fmac_f32_e32 v5, v35, v47
	;; [unrolled: 1-line block ×5, first 2 shown]
	v_fma_f32 v9, -v36, v48, v5
	v_fmac_f32_e32 v24, v35, v48
	v_fma_f32 v8, -v44, v48, v6
	v_fmac_f32_e32 v39, v43, v48
	s_waitcnt vmcnt(0)
	v_fmac_f32_e32 v4, v0, v45
	v_fmac_f32_e32 v38, v1, v45
	v_fma_f32 v1, -v1, v46, v4
	v_fmac_f32_e32 v38, v0, v46
	v_fmac_f32_e32 v1, v2, v47
	;; [unrolled: 1-line block ×3, first 2 shown]
	v_fma_f32 v6, -v3, v48, v1
	v_fmac_f32_e32 v38, v2, v48
	s_andn2_b64 exec, exec, s[18:19]
	s_cbranch_execnz .LBB33_19
; %bb.20:
	s_or_b64 exec, exec, s[18:19]
.LBB33_21:
	s_or_b64 exec, exec, s[14:15]
.LBB33_22:
	s_or_b64 exec, exec, s[10:11]
	s_cbranch_execz .LBB33_24
	s_branch .LBB33_35
.LBB33_23:
                                        ; implicit-def: $vgpr23
                                        ; implicit-def: $vgpr7
                                        ; implicit-def: $vgpr6
                                        ; implicit-def: $vgpr38
                                        ; implicit-def: $vgpr8
                                        ; implicit-def: $vgpr39
                                        ; implicit-def: $vgpr9
                                        ; implicit-def: $vgpr24
.LBB33_24:
	v_mov_b32_e32 v23, 0
	v_mov_b32_e32 v7, 0
	;; [unrolled: 1-line block ×8, first 2 shown]
	s_and_saveexec_b64 s[6:7], s[0:1]
	s_cbranch_execz .LBB33_34
; %bb.25:
	v_or_b32_e32 v0, 32, v37
	v_subrev_co_u32_e32 v0, vcc, s16, v0
	v_subb_co_u32_e64 v1, s[0:1], 0, 0, vcc
	v_add_co_u32_e32 v0, vcc, v0, v25
	v_addc_co_u32_e32 v1, vcc, v1, v26, vcc
	v_cmp_gt_i64_e32 vcc, v[0:1], v[19:20]
	v_not_b32_e32 v3, v25
	v_cndmask_b32_e32 v1, v20, v1, vcc
	v_cndmask_b32_e32 v0, v19, v0, vcc
	v_sub_co_u32_e32 v4, vcc, s16, v37
	v_not_b32_e32 v2, v26
	v_subb_co_u32_e64 v5, s[0:1], 0, 0, vcc
	v_add_co_u32_e32 v3, vcc, v4, v3
	v_addc_co_u32_e32 v2, vcc, v5, v2, vcc
	v_add_co_u32_e32 v0, vcc, v3, v0
	v_addc_co_u32_e32 v1, vcc, v2, v1, vcc
	v_and_b32_e32 v23, 0x60, v0
	v_mov_b32_e32 v24, 0
	s_mov_b64 s[0:1], 0x60
	v_cmp_ne_u64_e32 vcc, s[0:1], v[23:24]
	v_mov_b32_e32 v9, v24
	v_mov_b32_e32 v39, v24
	v_mov_b32_e32 v8, v24
	v_mov_b32_e32 v38, v24
	v_mov_b32_e32 v6, v24
	v_mov_b32_e32 v7, v24
	v_mov_b32_e32 v23, v24
	s_and_saveexec_b64 s[10:11], vcc
	s_cbranch_execz .LBB33_29
; %bb.26:
	v_lshrrev_b32_e32 v2, 5, v0
	v_add_u32_e32 v2, 1, v2
	v_and_b32_e32 v4, 3, v2
	v_lshlrev_b64 v[2:3], 2, v[17:18]
	v_mov_b32_e32 v5, s13
	v_add_co_u32_e32 v2, vcc, s12, v2
	v_addc_co_u32_e32 v3, vcc, v5, v3, vcc
	v_sub_co_u32_e32 v4, vcc, 0, v4
	v_mov_b32_e32 v23, 0
	s_mov_b64 s[14:15], 0
	v_subb_co_u32_e64 v5, s[0:1], 0, 0, vcc
	s_movk_i32 s17, 0x1000
	s_waitcnt lgkmcnt(0)
	v_mov_b32_e32 v10, s9
	v_mov_b32_e32 v7, 0
	;; [unrolled: 1-line block ×8, first 2 shown]
.LBB33_27:                              ; =>This Inner Loop Header: Depth=1
	global_load_dword v11, v[2:3], off
	global_load_dwordx4 v[25:28], v[21:22], off offset:32
	global_load_dwordx4 v[29:32], v[21:22], off offset:16
	global_load_dwordx4 v[33:36], v[21:22], off
	v_add_co_u32_e64 v4, s[2:3], 1, v4
	s_waitcnt vmcnt(3)
	v_subrev_u32_e32 v11, s16, v11
	v_lshlrev_b32_e32 v40, 2, v11
	v_ashrrev_i32_e32 v41, 31, v40
	v_lshlrev_b64 v[40:41], 3, v[40:41]
	v_add_co_u32_e32 v44, vcc, s8, v40
	v_addc_co_u32_e32 v45, vcc, v10, v41, vcc
	global_load_dwordx4 v[40:43], v[44:45], off
	s_waitcnt vmcnt(0)
	v_fmac_f32_e32 v7, v33, v40
	v_fmac_f32_e32 v23, v34, v40
	;; [unrolled: 1-line block ×4, first 2 shown]
	v_fma_f32 v11, -v34, v41, v7
	v_fmac_f32_e32 v23, v33, v41
	v_fma_f32 v46, -v36, v41, v9
	v_fmac_f32_e32 v24, v35, v41
	global_load_dwordx4 v[33:36], v[21:22], off offset:48
	v_fmac_f32_e32 v8, v29, v40
	v_fmac_f32_e32 v39, v30, v40
	v_fmac_f32_e32 v6, v31, v40
	v_fmac_f32_e32 v38, v32, v40
	v_fma_f32 v30, -v30, v41, v8
	v_fmac_f32_e32 v39, v29, v41
	v_fma_f32 v29, -v32, v41, v6
	v_fmac_f32_e32 v38, v31, v41
	v_fmac_f32_e32 v11, v25, v42
	;; [unrolled: 1-line block ×5, first 2 shown]
	v_fma_f32 v11, -v26, v43, v11
	v_fmac_f32_e32 v23, v25, v43
	v_fma_f32 v40, -v28, v43, v46
	v_fmac_f32_e32 v24, v27, v43
	global_load_dwordx4 v[25:28], v[21:22], off offset:80
	global_load_dwordx4 v[6:9], v[21:22], off offset:96
	s_waitcnt vmcnt(2)
	v_fmac_f32_e32 v30, v33, v42
	v_fmac_f32_e32 v39, v34, v42
	;; [unrolled: 1-line block ×4, first 2 shown]
	v_fma_f32 v41, -v34, v43, v30
	v_fmac_f32_e32 v39, v33, v43
	v_fma_f32 v42, -v36, v43, v29
	v_fmac_f32_e32 v38, v35, v43
	global_load_dwordx4 v[29:32], v[21:22], off offset:64
	global_load_dwordx4 v[33:36], v[44:45], off offset:16
	s_waitcnt vmcnt(0)
	v_fmac_f32_e32 v11, v29, v33
	v_fmac_f32_e32 v23, v30, v33
	;; [unrolled: 1-line block ×4, first 2 shown]
	v_fma_f32 v11, -v30, v34, v11
	v_fmac_f32_e32 v23, v29, v34
	v_fma_f32 v40, -v32, v34, v40
	v_fmac_f32_e32 v24, v31, v34
	global_load_dwordx4 v[29:32], v[21:22], off offset:112
	v_add_co_u32_e32 v21, vcc, s17, v21
	s_mov_b64 s[0:1], vcc
	v_add_co_u32_e32 v17, vcc, 32, v17
	v_addc_co_u32_e32 v18, vcc, 0, v18, vcc
	v_addc_co_u32_e64 v5, vcc, 0, v5, s[2:3]
	v_addc_co_u32_e64 v22, s[0:1], 0, v22, s[0:1]
	v_fmac_f32_e32 v41, v25, v33
	v_fmac_f32_e32 v39, v26, v33
	;; [unrolled: 1-line block ×4, first 2 shown]
	v_cmp_eq_u64_e64 s[0:1], 0, v[4:5]
	v_fma_f32 v26, -v26, v34, v41
	v_fmac_f32_e32 v39, v25, v34
	v_fma_f32 v25, -v28, v34, v42
	v_fmac_f32_e32 v38, v27, v34
	v_add_co_u32_e32 v2, vcc, 0x80, v2
	v_fmac_f32_e32 v11, v6, v35
	v_fmac_f32_e32 v23, v7, v35
	;; [unrolled: 1-line block ×4, first 2 shown]
	v_addc_co_u32_e32 v3, vcc, 0, v3, vcc
	s_or_b64 s[14:15], s[0:1], s[14:15]
	v_fma_f32 v7, -v7, v36, v11
	v_fmac_f32_e32 v23, v6, v36
	v_fma_f32 v9, -v9, v36, v40
	v_fmac_f32_e32 v24, v8, v36
	s_waitcnt vmcnt(0)
	v_fmac_f32_e32 v26, v29, v35
	v_fmac_f32_e32 v39, v30, v35
	v_fmac_f32_e32 v25, v31, v35
	v_fmac_f32_e32 v38, v32, v35
	v_fma_f32 v8, -v30, v36, v26
	v_fmac_f32_e32 v39, v29, v36
	v_fma_f32 v6, -v32, v36, v25
	v_fmac_f32_e32 v38, v31, v36
	s_andn2_b64 exec, exec, s[14:15]
	s_cbranch_execnz .LBB33_27
; %bb.28:
	s_or_b64 exec, exec, s[14:15]
.LBB33_29:
	s_or_b64 exec, exec, s[10:11]
	s_mov_b64 s[0:1], 0x5f
	v_cmp_lt_u64_e32 vcc, s[0:1], v[0:1]
	s_and_saveexec_b64 s[10:11], vcc
	s_cbranch_execz .LBB33_33
; %bb.30:
	v_lshlrev_b64 v[0:1], 2, v[17:18]
	v_mov_b32_e32 v2, s13
	v_add_co_u32_e32 v0, vcc, s12, v0
	v_addc_co_u32_e32 v1, vcc, v2, v1, vcc
	v_add_co_u32_e32 v25, vcc, 0x100, v0
	v_addc_co_u32_e32 v26, vcc, 0, v1, vcc
	s_mov_b64 s[12:13], 0
	s_waitcnt lgkmcnt(0)
	v_mov_b32_e32 v31, s9
	s_movk_i32 s9, 0x1000
	s_movk_i32 s14, 0x2000
	;; [unrolled: 1-line block ×3, first 2 shown]
.LBB33_31:                              ; =>This Inner Loop Header: Depth=1
	global_load_dword v4, v[25:26], off offset:-256
	global_load_dwordx4 v[27:30], v[21:22], off offset:32
	global_load_dwordx4 v[0:3], v[21:22], off offset:16
	global_load_dwordx4 v[32:35], v[21:22], off
	global_load_dwordx4 v[44:47], v[21:22], off offset:80
	s_waitcnt vmcnt(4)
	v_subrev_u32_e32 v4, s16, v4
	v_lshlrev_b32_e32 v4, 2, v4
	v_ashrrev_i32_e32 v5, 31, v4
	v_lshlrev_b64 v[4:5], 3, v[4:5]
	v_add_co_u32_e32 v48, vcc, s8, v4
	v_addc_co_u32_e32 v49, vcc, v31, v5, vcc
	global_load_dwordx4 v[40:43], v[48:49], off
	s_waitcnt vmcnt(0)
	v_fmac_f32_e32 v7, v32, v40
	v_fmac_f32_e32 v23, v33, v40
	;; [unrolled: 1-line block ×4, first 2 shown]
	v_fma_f32 v4, -v33, v41, v7
	v_fmac_f32_e32 v23, v32, v41
	v_fma_f32 v5, -v35, v41, v9
	v_fmac_f32_e32 v24, v34, v41
	global_load_dwordx4 v[32:35], v[21:22], off offset:48
	v_fmac_f32_e32 v8, v0, v40
	v_fmac_f32_e32 v39, v1, v40
	;; [unrolled: 1-line block ×3, first 2 shown]
	v_fma_f32 v7, -v1, v41, v8
	v_fmac_f32_e32 v39, v0, v41
	v_fma_f32 v6, -v3, v41, v6
	v_fmac_f32_e32 v38, v3, v40
	v_fmac_f32_e32 v4, v27, v42
	;; [unrolled: 1-line block ×5, first 2 shown]
	global_load_dwordx4 v[0:3], v[21:22], off offset:96
	v_fma_f32 v28, -v28, v43, v4
	v_fmac_f32_e32 v23, v27, v43
	v_fma_f32 v27, -v30, v43, v5
	v_fmac_f32_e32 v24, v30, v42
	v_fmac_f32_e32 v24, v29, v43
	v_add_co_u32_e64 v29, s[0:1], s9, v21
	s_waitcnt vmcnt(1)
	v_fmac_f32_e32 v7, v32, v42
	v_fmac_f32_e32 v39, v33, v42
	;; [unrolled: 1-line block ×3, first 2 shown]
	v_fma_f32 v36, -v33, v43, v7
	v_fmac_f32_e32 v39, v32, v43
	v_fma_f32 v32, -v35, v43, v6
	global_load_dwordx4 v[8:11], v[21:22], off offset:64
	global_load_dwordx4 v[4:7], v[48:49], off offset:16
	v_fmac_f32_e32 v38, v35, v42
	v_fmac_f32_e32 v38, v34, v43
	s_waitcnt vmcnt(0)
	v_fmac_f32_e32 v28, v8, v4
	v_fmac_f32_e32 v23, v9, v4
	;; [unrolled: 1-line block ×4, first 2 shown]
	v_fma_f32 v28, -v9, v5, v28
	v_fmac_f32_e32 v23, v8, v5
	v_fma_f32 v30, -v11, v5, v27
	v_fmac_f32_e32 v24, v10, v5
	global_load_dwordx4 v[8:11], v[21:22], off offset:112
	global_load_dword v33, v[25:26], off offset:-128
	v_fmac_f32_e32 v36, v44, v4
	v_fmac_f32_e32 v39, v45, v4
	;; [unrolled: 1-line block ×4, first 2 shown]
	v_fma_f32 v34, -v45, v5, v36
	v_fmac_f32_e32 v39, v44, v5
	v_fma_f32 v35, -v47, v5, v32
	v_fmac_f32_e32 v38, v46, v5
	v_fmac_f32_e32 v28, v0, v6
	;; [unrolled: 1-line block ×5, first 2 shown]
	v_fma_f32 v36, -v1, v7, v28
	v_fmac_f32_e32 v23, v0, v7
	v_fma_f32 v41, -v3, v7, v30
	v_fmac_f32_e32 v24, v2, v7
	v_add_co_u32_e32 v27, vcc, s14, v21
	v_add_co_u32_e64 v4, s[2:3], s15, v21
	v_addc_co_u32_e32 v28, vcc, 0, v22, vcc
	v_addc_co_u32_e64 v5, vcc, 0, v22, s[2:3]
	global_load_dword v40, v[25:26], off
	global_load_dword v32, v[25:26], off offset:128
	global_load_dwordx4 v[0:3], v[27:28], off offset:-4096
	v_addc_co_u32_e64 v30, s[0:1], 0, v22, s[0:1]
	s_waitcnt vmcnt(4)
	v_fmac_f32_e32 v34, v8, v6
	v_fmac_f32_e32 v39, v9, v6
	;; [unrolled: 1-line block ×4, first 2 shown]
	s_waitcnt vmcnt(3)
	v_subrev_u32_e32 v6, s16, v33
	v_lshlrev_b32_e32 v6, 2, v6
	v_fma_f32 v34, -v9, v7, v34
	v_fmac_f32_e32 v39, v8, v7
	v_fma_f32 v35, -v11, v7, v35
	v_fmac_f32_e32 v38, v10, v7
	v_ashrrev_i32_e32 v7, 31, v6
	v_lshlrev_b64 v[6:7], 3, v[6:7]
	v_add_co_u32_e32 v10, vcc, s8, v6
	v_addc_co_u32_e32 v11, vcc, v31, v7, vcc
	global_load_dwordx4 v[6:9], v[10:11], off
	s_waitcnt vmcnt(0)
	v_fmac_f32_e32 v36, v0, v6
	v_fmac_f32_e32 v23, v1, v6
	v_fmac_f32_e32 v41, v2, v6
	v_fmac_f32_e32 v24, v3, v6
	v_fma_f32 v33, -v1, v7, v36
	v_fmac_f32_e32 v23, v0, v7
	v_fma_f32 v36, -v3, v7, v41
	v_fmac_f32_e32 v24, v2, v7
	global_load_dwordx4 v[0:3], v[29:30], off offset:16
	s_waitcnt vmcnt(0)
	v_fmac_f32_e32 v34, v0, v6
	v_fmac_f32_e32 v39, v1, v6
	v_fmac_f32_e32 v35, v2, v6
	v_fmac_f32_e32 v38, v3, v6
	v_fma_f32 v6, -v1, v7, v34
	v_fmac_f32_e32 v39, v0, v7
	v_fma_f32 v34, -v3, v7, v35
	v_fmac_f32_e32 v38, v2, v7
	global_load_dwordx4 v[0:3], v[29:30], off offset:32
	;; [unrolled: 10-line block ×4, first 2 shown]
	global_load_dwordx4 v[6:9], v[10:11], off offset:16
	s_waitcnt vmcnt(0)
	v_fmac_f32_e32 v33, v0, v6
	v_fmac_f32_e32 v23, v1, v6
	;; [unrolled: 1-line block ×4, first 2 shown]
	v_fma_f32 v10, -v1, v7, v33
	v_fmac_f32_e32 v23, v0, v7
	v_fma_f32 v11, -v3, v7, v35
	v_fmac_f32_e32 v24, v2, v7
	global_load_dwordx4 v[0:3], v[29:30], off offset:80
	s_waitcnt vmcnt(0)
	v_fmac_f32_e32 v36, v0, v6
	v_fmac_f32_e32 v39, v1, v6
	;; [unrolled: 1-line block ×4, first 2 shown]
	v_fma_f32 v6, -v1, v7, v36
	v_fmac_f32_e32 v39, v0, v7
	v_fma_f32 v41, -v3, v7, v34
	v_fmac_f32_e32 v38, v2, v7
	global_load_dwordx4 v[0:3], v[29:30], off offset:96
	global_load_dwordx4 v[33:36], v[29:30], off offset:112
	s_waitcnt vmcnt(1)
	v_fmac_f32_e32 v10, v0, v8
	v_fma_f32 v29, -v1, v9, v10
	v_subrev_u32_e32 v10, s16, v40
	v_fmac_f32_e32 v11, v2, v8
	v_lshlrev_b32_e32 v10, 2, v10
	v_fma_f32 v30, -v3, v9, v11
	v_ashrrev_i32_e32 v11, 31, v10
	v_lshlrev_b64 v[10:11], 3, v[10:11]
	v_fmac_f32_e32 v23, v1, v8
	v_add_co_u32_e32 v10, vcc, s8, v10
	v_fmac_f32_e32 v24, v3, v8
	s_waitcnt vmcnt(0)
	v_fmac_f32_e32 v6, v33, v8
	v_fmac_f32_e32 v39, v34, v8
	;; [unrolled: 1-line block ×4, first 2 shown]
	v_addc_co_u32_e32 v11, vcc, v31, v11, vcc
	v_fmac_f32_e32 v23, v0, v9
	v_fmac_f32_e32 v24, v2, v9
	global_load_dwordx4 v[0:3], v[27:28], off
	v_fma_f32 v42, -v34, v9, v6
	v_fmac_f32_e32 v39, v33, v9
	v_fma_f32 v41, -v36, v9, v41
	v_fmac_f32_e32 v38, v35, v9
	global_load_dwordx4 v[6:9], v[27:28], off offset:16
	global_load_dwordx4 v[33:36], v[10:11], off
	s_waitcnt vmcnt(0)
	v_fmac_f32_e32 v29, v0, v33
	v_fmac_f32_e32 v23, v1, v33
	;; [unrolled: 1-line block ×8, first 2 shown]
	v_fma_f32 v29, -v1, v34, v29
	v_fmac_f32_e32 v23, v0, v34
	v_fma_f32 v30, -v3, v34, v30
	v_fmac_f32_e32 v24, v2, v34
	global_load_dwordx4 v[0:3], v[27:28], off offset:32
	v_fma_f32 v33, -v7, v34, v42
	v_fmac_f32_e32 v39, v6, v34
	v_fma_f32 v44, -v9, v34, v41
	v_fmac_f32_e32 v38, v8, v34
	global_load_dwordx4 v[6:9], v[27:28], off offset:48
	global_load_dwordx4 v[40:43], v[27:28], off offset:80
	s_waitcnt vmcnt(2)
	v_fmac_f32_e32 v29, v0, v35
	v_fmac_f32_e32 v23, v1, v35
	v_fmac_f32_e32 v30, v2, v35
	v_fmac_f32_e32 v24, v3, v35
	v_fma_f32 v29, -v1, v36, v29
	s_waitcnt vmcnt(1)
	v_fmac_f32_e32 v33, v6, v35
	v_fmac_f32_e32 v39, v7, v35
	;; [unrolled: 1-line block ×5, first 2 shown]
	v_fma_f32 v30, -v3, v36, v30
	v_fmac_f32_e32 v24, v2, v36
	v_fma_f32 v45, -v7, v36, v33
	v_fmac_f32_e32 v39, v6, v36
	;; [unrolled: 2-line block ×3, first 2 shown]
	global_load_dwordx4 v[6:9], v[27:28], off offset:64
	global_load_dwordx4 v[0:3], v[10:11], off offset:16
	s_waitcnt vmcnt(0)
	v_fmac_f32_e32 v29, v6, v0
	v_fmac_f32_e32 v23, v7, v0
	v_fmac_f32_e32 v30, v8, v0
	v_fmac_f32_e32 v24, v9, v0
	v_fma_f32 v10, -v7, v1, v29
	v_fmac_f32_e32 v23, v6, v1
	v_fma_f32 v11, -v9, v1, v30
	v_fmac_f32_e32 v24, v8, v1
	global_load_dwordx4 v[6:9], v[27:28], off offset:96
	global_load_dwordx4 v[33:36], v[27:28], off offset:112
	v_fmac_f32_e32 v45, v40, v0
	v_fmac_f32_e32 v39, v41, v0
	;; [unrolled: 1-line block ×4, first 2 shown]
	v_fma_f32 v0, -v41, v1, v45
	v_fmac_f32_e32 v39, v40, v1
	v_fma_f32 v40, -v43, v1, v44
	v_fmac_f32_e32 v38, v42, v1
	v_subrev_u32_e32 v1, s16, v32
	global_load_dwordx4 v[27:30], v[4:5], off
	s_waitcnt vmcnt(2)
	v_fmac_f32_e32 v10, v6, v2
	s_waitcnt vmcnt(1)
	v_fmac_f32_e32 v0, v33, v2
	v_fma_f32 v32, -v34, v3, v0
	v_lshlrev_b32_e32 v0, 2, v1
	v_ashrrev_i32_e32 v1, 31, v0
	v_lshlrev_b64 v[0:1], 3, v[0:1]
	v_fmac_f32_e32 v11, v8, v2
	v_fma_f32 v41, -v7, v3, v10
	v_add_co_u32_e32 v10, vcc, s8, v0
	v_fmac_f32_e32 v23, v7, v2
	v_fmac_f32_e32 v24, v9, v2
	v_fma_f32 v42, -v9, v3, v11
	v_fmac_f32_e32 v39, v34, v2
	v_fmac_f32_e32 v40, v35, v2
	;; [unrolled: 1-line block ×3, first 2 shown]
	v_addc_co_u32_e32 v11, vcc, v31, v1, vcc
	v_fmac_f32_e32 v23, v6, v3
	v_fmac_f32_e32 v24, v8, v3
	global_load_dwordx4 v[6:9], v[4:5], off offset:16
	v_fmac_f32_e32 v39, v33, v3
	v_fma_f32 v33, -v36, v3, v40
	v_fmac_f32_e32 v38, v35, v3
	global_load_dwordx4 v[0:3], v[10:11], off
	v_add_co_u32_e32 v17, vcc, 0x80, v17
	s_mov_b64 s[0:1], vcc
	v_add_co_u32_e32 v25, vcc, 0x200, v25
	s_mov_b64 s[2:3], vcc
	v_addc_co_u32_e64 v18, vcc, 0, v18, s[0:1]
	v_addc_co_u32_e64 v26, s[0:1], 0, v26, s[2:3]
	v_cmp_ge_i64_e64 s[0:1], v[17:18], v[19:20]
	v_add_co_u32_e32 v21, vcc, 0x4000, v21
	v_addc_co_u32_e32 v22, vcc, 0, v22, vcc
	s_or_b64 s[12:13], s[0:1], s[12:13]
	s_waitcnt vmcnt(0)
	v_fmac_f32_e32 v41, v27, v0
	v_fmac_f32_e32 v23, v28, v0
	;; [unrolled: 1-line block ×8, first 2 shown]
	v_fma_f32 v34, -v28, v1, v41
	v_fmac_f32_e32 v23, v27, v1
	v_fma_f32 v35, -v30, v1, v42
	v_fmac_f32_e32 v24, v29, v1
	global_load_dwordx4 v[27:30], v[4:5], off offset:32
	v_fma_f32 v0, -v7, v1, v32
	v_fmac_f32_e32 v39, v6, v1
	v_fma_f32 v32, -v9, v1, v33
	v_fmac_f32_e32 v38, v8, v1
	global_load_dwordx4 v[6:9], v[4:5], off offset:48
	s_waitcnt vmcnt(1)
	v_fmac_f32_e32 v34, v27, v2
	v_fmac_f32_e32 v23, v28, v2
	;; [unrolled: 1-line block ×4, first 2 shown]
	v_fma_f32 v36, -v28, v3, v34
	s_waitcnt vmcnt(0)
	v_fmac_f32_e32 v0, v6, v2
	v_fmac_f32_e32 v39, v7, v2
	;; [unrolled: 1-line block ×5, first 2 shown]
	v_fma_f32 v40, -v30, v3, v35
	v_fmac_f32_e32 v24, v29, v3
	global_load_dwordx4 v[27:30], v[4:5], off offset:96
	v_fma_f32 v44, -v7, v3, v0
	v_fmac_f32_e32 v39, v6, v3
	v_fma_f32 v45, -v9, v3, v32
	v_fmac_f32_e32 v38, v8, v3
	global_load_dwordx4 v[0:3], v[4:5], off offset:80
	global_load_dwordx4 v[6:9], v[4:5], off offset:64
	;; [unrolled: 1-line block ×3, first 2 shown]
	s_waitcnt vmcnt(0)
	v_fmac_f32_e32 v23, v7, v32
	v_fmac_f32_e32 v40, v8, v32
	;; [unrolled: 1-line block ×4, first 2 shown]
	v_fma_f32 v6, -v9, v33, v40
	global_load_dwordx4 v[40:43], v[4:5], off offset:112
	v_fmac_f32_e32 v24, v9, v32
	v_fmac_f32_e32 v44, v0, v32
	;; [unrolled: 1-line block ×5, first 2 shown]
	v_fma_f32 v7, -v7, v33, v36
	v_fmac_f32_e32 v24, v8, v33
	v_fma_f32 v1, -v1, v33, v44
	v_fmac_f32_e32 v39, v0, v33
	;; [unrolled: 2-line block ×3, first 2 shown]
	v_fmac_f32_e32 v7, v27, v34
	v_fmac_f32_e32 v23, v28, v34
	;; [unrolled: 1-line block ×4, first 2 shown]
	v_fma_f32 v7, -v28, v35, v7
	v_fmac_f32_e32 v23, v27, v35
	v_fma_f32 v9, -v30, v35, v6
	v_fmac_f32_e32 v24, v29, v35
	s_waitcnt vmcnt(0)
	v_fmac_f32_e32 v1, v40, v34
	v_fmac_f32_e32 v39, v41, v34
	;; [unrolled: 1-line block ×4, first 2 shown]
	v_fma_f32 v8, -v41, v35, v1
	v_fmac_f32_e32 v39, v40, v35
	v_fma_f32 v6, -v43, v35, v0
	v_fmac_f32_e32 v38, v42, v35
	s_andn2_b64 exec, exec, s[12:13]
	s_cbranch_execnz .LBB33_31
; %bb.32:
	s_or_b64 exec, exec, s[12:13]
.LBB33_33:
	s_or_b64 exec, exec, s[10:11]
.LBB33_34:
	s_or_b64 exec, exec, s[6:7]
.LBB33_35:
	v_mov_b32_dpp v0, v7 row_shr:1 row_mask:0xf bank_mask:0xf
	v_add_f32_e32 v0, v7, v0
	v_mov_b32_dpp v2, v23 row_shr:1 row_mask:0xf bank_mask:0xf
	v_mov_b32_dpp v4, v9 row_shr:1 row_mask:0xf bank_mask:0xf
	;; [unrolled: 1-line block ×7, first 2 shown]
	v_add_f32_e32 v2, v23, v2
	v_add_f32_e32 v4, v9, v4
	v_add_f32_e32 v7, v24, v7
	v_add_f32_e32 v8, v8, v10
	v_add_f32_e32 v11, v39, v11
	v_add_f32_e32 v6, v6, v18
	v_add_f32_e32 v19, v38, v19
	v_mov_b32_dpp v1, v0 row_shr:2 row_mask:0xf bank_mask:0xf
	v_mov_b32_dpp v3, v2 row_shr:2 row_mask:0xf bank_mask:0xf
	v_mov_b32_dpp v5, v4 row_shr:2 row_mask:0xf bank_mask:0xf
	v_mov_b32_dpp v9, v7 row_shr:2 row_mask:0xf bank_mask:0xf
	v_mov_b32_dpp v10, v8 row_shr:2 row_mask:0xf bank_mask:0xf
	v_mov_b32_dpp v17, v11 row_shr:2 row_mask:0xf bank_mask:0xf
	v_mov_b32_dpp v18, v6 row_shr:2 row_mask:0xf bank_mask:0xf
	v_mov_b32_dpp v20, v19 row_shr:2 row_mask:0xf bank_mask:0xf
	v_add_f32_e32 v0, v0, v1
	v_add_f32_e32 v2, v2, v3
	v_add_f32_e32 v4, v4, v5
	v_add_f32_e32 v7, v7, v9
	v_add_f32_e32 v8, v8, v10
	v_add_f32_e32 v11, v11, v17
	v_add_f32_e32 v6, v6, v18
	v_add_f32_e32 v19, v19, v20
	v_mov_b32_dpp v1, v0 row_shr:4 row_mask:0xf bank_mask:0xe
	v_mov_b32_dpp v3, v2 row_shr:4 row_mask:0xf bank_mask:0xe
	v_mov_b32_dpp v5, v4 row_shr:4 row_mask:0xf bank_mask:0xe
	v_mov_b32_dpp v9, v7 row_shr:4 row_mask:0xf bank_mask:0xe
	v_mov_b32_dpp v10, v8 row_shr:4 row_mask:0xf bank_mask:0xe
	v_mov_b32_dpp v17, v11 row_shr:4 row_mask:0xf bank_mask:0xe
	v_mov_b32_dpp v18, v6 row_shr:4 row_mask:0xf bank_mask:0xe
	v_mov_b32_dpp v20, v19 row_shr:4 row_mask:0xf bank_mask:0xe
	v_add_f32_e32 v0, v0, v1
	;; [unrolled: 16-line block ×3, first 2 shown]
	v_add_f32_e32 v2, v2, v3
	v_add_f32_e32 v4, v4, v5
	;; [unrolled: 1-line block ×7, first 2 shown]
	v_mov_b32_dpp v1, v0 row_bcast:15 row_mask:0xa bank_mask:0xf
	v_mov_b32_dpp v3, v2 row_bcast:15 row_mask:0xa bank_mask:0xf
	;; [unrolled: 1-line block ×8, first 2 shown]
	v_cmp_eq_u32_e32 vcc, 31, v37
	s_and_b64 exec, exec, vcc
	s_cbranch_execz .LBB33_8
; %bb.36:
	s_load_dwordx2 s[2:3], s[4:5], 0x50
	v_add_f32_e32 v21, v0, v1
	v_add_f32_e32 v0, v2, v3
	;; [unrolled: 1-line block ×8, first 2 shown]
	v_cmp_eq_f32_e32 vcc, 0, v12
	v_cmp_eq_f32_e64 s[0:1], 0, v13
	v_mul_f32_e64 v4, v0, -v15
	v_mul_f32_e32 v5, v14, v0
	v_mul_f32_e64 v6, v1, -v15
	v_mul_f32_e32 v7, v14, v1
	;; [unrolled: 2-line block ×4, first 2 shown]
	s_and_b64 s[0:1], vcc, s[0:1]
	v_fmac_f32_e32 v4, v14, v21
	v_fmac_f32_e32 v5, v15, v21
	v_lshlrev_b32_e32 v8, 2, v16
	v_fmac_f32_e32 v6, v14, v22
	v_fmac_f32_e32 v7, v15, v22
	;; [unrolled: 1-line block ×6, first 2 shown]
	s_and_saveexec_b64 s[4:5], s[0:1]
	s_xor_b64 s[0:1], exec, s[4:5]
	s_cbranch_execz .LBB33_38
; %bb.37:
	v_ashrrev_i32_e32 v9, 31, v8
	v_lshlrev_b64 v[8:9], 3, v[8:9]
	s_waitcnt lgkmcnt(0)
	v_mov_b32_e32 v10, s3
	v_add_co_u32_e32 v8, vcc, s2, v8
	v_addc_co_u32_e32 v9, vcc, v10, v9, vcc
	global_store_dwordx4 v[8:9], v[4:7], off
	global_store_dwordx4 v[8:9], v[0:3], off offset:16
                                        ; implicit-def: $vgpr12_vgpr13
                                        ; implicit-def: $vgpr4
                                        ; implicit-def: $vgpr8
                                        ; implicit-def: $vgpr0
.LBB33_38:
	s_andn2_saveexec_b64 s[0:1], s[0:1]
	s_cbranch_execz .LBB33_8
; %bb.39:
	v_ashrrev_i32_e32 v9, 31, v8
	v_lshlrev_b64 v[8:9], 3, v[8:9]
	s_waitcnt lgkmcnt(0)
	v_mov_b32_e32 v10, s3
	v_add_co_u32_e32 v18, vcc, s2, v8
	v_addc_co_u32_e32 v19, vcc, v10, v9, vcc
	global_load_dwordx4 v[8:11], v[18:19], off
	global_load_dwordx4 v[14:17], v[18:19], off offset:16
	s_waitcnt vmcnt(1)
	v_fmac_f32_e32 v4, v12, v8
	v_fmac_f32_e32 v5, v13, v8
	;; [unrolled: 1-line block ×4, first 2 shown]
	s_waitcnt vmcnt(0)
	v_fmac_f32_e32 v0, v12, v14
	v_fmac_f32_e32 v1, v13, v14
	;; [unrolled: 1-line block ×4, first 2 shown]
	v_fma_f32 v4, -v13, v9, v4
	v_fmac_f32_e32 v5, v12, v9
	v_fma_f32 v6, -v13, v11, v6
	v_fmac_f32_e32 v7, v12, v11
	;; [unrolled: 2-line block ×4, first 2 shown]
	global_store_dwordx4 v[18:19], v[4:7], off
	global_store_dwordx4 v[18:19], v[0:3], off offset:16
	s_endpgm
	.section	.rodata,"a",@progbits
	.p2align	6, 0x0
	.amdhsa_kernel _ZN9rocsparseL18bsrxmvn_4x4_kernelILj128ELj32E21rocsparse_complex_numIfEliS2_S2_S2_EEvT3_20rocsparse_direction_NS_24const_host_device_scalarIT1_EES3_PKS3_PKT2_SC_S9_PKT4_PKT5_S7_PT6_21rocsparse_index_base_b
		.amdhsa_group_segment_fixed_size 0
		.amdhsa_private_segment_fixed_size 0
		.amdhsa_kernarg_size 96
		.amdhsa_user_sgpr_count 6
		.amdhsa_user_sgpr_private_segment_buffer 1
		.amdhsa_user_sgpr_dispatch_ptr 0
		.amdhsa_user_sgpr_queue_ptr 0
		.amdhsa_user_sgpr_kernarg_segment_ptr 1
		.amdhsa_user_sgpr_dispatch_id 0
		.amdhsa_user_sgpr_flat_scratch_init 0
		.amdhsa_user_sgpr_private_segment_size 0
		.amdhsa_uses_dynamic_stack 0
		.amdhsa_system_sgpr_private_segment_wavefront_offset 0
		.amdhsa_system_sgpr_workgroup_id_x 1
		.amdhsa_system_sgpr_workgroup_id_y 0
		.amdhsa_system_sgpr_workgroup_id_z 0
		.amdhsa_system_sgpr_workgroup_info 0
		.amdhsa_system_vgpr_workitem_id 0
		.amdhsa_next_free_vgpr 61
		.amdhsa_next_free_sgpr 22
		.amdhsa_reserve_vcc 1
		.amdhsa_reserve_flat_scratch 0
		.amdhsa_float_round_mode_32 0
		.amdhsa_float_round_mode_16_64 0
		.amdhsa_float_denorm_mode_32 3
		.amdhsa_float_denorm_mode_16_64 3
		.amdhsa_dx10_clamp 1
		.amdhsa_ieee_mode 1
		.amdhsa_fp16_overflow 0
		.amdhsa_exception_fp_ieee_invalid_op 0
		.amdhsa_exception_fp_denorm_src 0
		.amdhsa_exception_fp_ieee_div_zero 0
		.amdhsa_exception_fp_ieee_overflow 0
		.amdhsa_exception_fp_ieee_underflow 0
		.amdhsa_exception_fp_ieee_inexact 0
		.amdhsa_exception_int_div_zero 0
	.end_amdhsa_kernel
	.section	.text._ZN9rocsparseL18bsrxmvn_4x4_kernelILj128ELj32E21rocsparse_complex_numIfEliS2_S2_S2_EEvT3_20rocsparse_direction_NS_24const_host_device_scalarIT1_EES3_PKS3_PKT2_SC_S9_PKT4_PKT5_S7_PT6_21rocsparse_index_base_b,"axG",@progbits,_ZN9rocsparseL18bsrxmvn_4x4_kernelILj128ELj32E21rocsparse_complex_numIfEliS2_S2_S2_EEvT3_20rocsparse_direction_NS_24const_host_device_scalarIT1_EES3_PKS3_PKT2_SC_S9_PKT4_PKT5_S7_PT6_21rocsparse_index_base_b,comdat
.Lfunc_end33:
	.size	_ZN9rocsparseL18bsrxmvn_4x4_kernelILj128ELj32E21rocsparse_complex_numIfEliS2_S2_S2_EEvT3_20rocsparse_direction_NS_24const_host_device_scalarIT1_EES3_PKS3_PKT2_SC_S9_PKT4_PKT5_S7_PT6_21rocsparse_index_base_b, .Lfunc_end33-_ZN9rocsparseL18bsrxmvn_4x4_kernelILj128ELj32E21rocsparse_complex_numIfEliS2_S2_S2_EEvT3_20rocsparse_direction_NS_24const_host_device_scalarIT1_EES3_PKS3_PKT2_SC_S9_PKT4_PKT5_S7_PT6_21rocsparse_index_base_b
                                        ; -- End function
	.set _ZN9rocsparseL18bsrxmvn_4x4_kernelILj128ELj32E21rocsparse_complex_numIfEliS2_S2_S2_EEvT3_20rocsparse_direction_NS_24const_host_device_scalarIT1_EES3_PKS3_PKT2_SC_S9_PKT4_PKT5_S7_PT6_21rocsparse_index_base_b.num_vgpr, 61
	.set _ZN9rocsparseL18bsrxmvn_4x4_kernelILj128ELj32E21rocsparse_complex_numIfEliS2_S2_S2_EEvT3_20rocsparse_direction_NS_24const_host_device_scalarIT1_EES3_PKS3_PKT2_SC_S9_PKT4_PKT5_S7_PT6_21rocsparse_index_base_b.num_agpr, 0
	.set _ZN9rocsparseL18bsrxmvn_4x4_kernelILj128ELj32E21rocsparse_complex_numIfEliS2_S2_S2_EEvT3_20rocsparse_direction_NS_24const_host_device_scalarIT1_EES3_PKS3_PKT2_SC_S9_PKT4_PKT5_S7_PT6_21rocsparse_index_base_b.numbered_sgpr, 22
	.set _ZN9rocsparseL18bsrxmvn_4x4_kernelILj128ELj32E21rocsparse_complex_numIfEliS2_S2_S2_EEvT3_20rocsparse_direction_NS_24const_host_device_scalarIT1_EES3_PKS3_PKT2_SC_S9_PKT4_PKT5_S7_PT6_21rocsparse_index_base_b.num_named_barrier, 0
	.set _ZN9rocsparseL18bsrxmvn_4x4_kernelILj128ELj32E21rocsparse_complex_numIfEliS2_S2_S2_EEvT3_20rocsparse_direction_NS_24const_host_device_scalarIT1_EES3_PKS3_PKT2_SC_S9_PKT4_PKT5_S7_PT6_21rocsparse_index_base_b.private_seg_size, 0
	.set _ZN9rocsparseL18bsrxmvn_4x4_kernelILj128ELj32E21rocsparse_complex_numIfEliS2_S2_S2_EEvT3_20rocsparse_direction_NS_24const_host_device_scalarIT1_EES3_PKS3_PKT2_SC_S9_PKT4_PKT5_S7_PT6_21rocsparse_index_base_b.uses_vcc, 1
	.set _ZN9rocsparseL18bsrxmvn_4x4_kernelILj128ELj32E21rocsparse_complex_numIfEliS2_S2_S2_EEvT3_20rocsparse_direction_NS_24const_host_device_scalarIT1_EES3_PKS3_PKT2_SC_S9_PKT4_PKT5_S7_PT6_21rocsparse_index_base_b.uses_flat_scratch, 0
	.set _ZN9rocsparseL18bsrxmvn_4x4_kernelILj128ELj32E21rocsparse_complex_numIfEliS2_S2_S2_EEvT3_20rocsparse_direction_NS_24const_host_device_scalarIT1_EES3_PKS3_PKT2_SC_S9_PKT4_PKT5_S7_PT6_21rocsparse_index_base_b.has_dyn_sized_stack, 0
	.set _ZN9rocsparseL18bsrxmvn_4x4_kernelILj128ELj32E21rocsparse_complex_numIfEliS2_S2_S2_EEvT3_20rocsparse_direction_NS_24const_host_device_scalarIT1_EES3_PKS3_PKT2_SC_S9_PKT4_PKT5_S7_PT6_21rocsparse_index_base_b.has_recursion, 0
	.set _ZN9rocsparseL18bsrxmvn_4x4_kernelILj128ELj32E21rocsparse_complex_numIfEliS2_S2_S2_EEvT3_20rocsparse_direction_NS_24const_host_device_scalarIT1_EES3_PKS3_PKT2_SC_S9_PKT4_PKT5_S7_PT6_21rocsparse_index_base_b.has_indirect_call, 0
	.section	.AMDGPU.csdata,"",@progbits
; Kernel info:
; codeLenInByte = 7052
; TotalNumSgprs: 26
; NumVgprs: 61
; ScratchSize: 0
; MemoryBound: 0
; FloatMode: 240
; IeeeMode: 1
; LDSByteSize: 0 bytes/workgroup (compile time only)
; SGPRBlocks: 3
; VGPRBlocks: 15
; NumSGPRsForWavesPerEU: 26
; NumVGPRsForWavesPerEU: 61
; Occupancy: 4
; WaveLimiterHint : 1
; COMPUTE_PGM_RSRC2:SCRATCH_EN: 0
; COMPUTE_PGM_RSRC2:USER_SGPR: 6
; COMPUTE_PGM_RSRC2:TRAP_HANDLER: 0
; COMPUTE_PGM_RSRC2:TGID_X_EN: 1
; COMPUTE_PGM_RSRC2:TGID_Y_EN: 0
; COMPUTE_PGM_RSRC2:TGID_Z_EN: 0
; COMPUTE_PGM_RSRC2:TIDIG_COMP_CNT: 0
	.section	.text._ZN9rocsparseL18bsrxmvn_4x4_kernelILj128ELj64E21rocsparse_complex_numIfEliS2_S2_S2_EEvT3_20rocsparse_direction_NS_24const_host_device_scalarIT1_EES3_PKS3_PKT2_SC_S9_PKT4_PKT5_S7_PT6_21rocsparse_index_base_b,"axG",@progbits,_ZN9rocsparseL18bsrxmvn_4x4_kernelILj128ELj64E21rocsparse_complex_numIfEliS2_S2_S2_EEvT3_20rocsparse_direction_NS_24const_host_device_scalarIT1_EES3_PKS3_PKT2_SC_S9_PKT4_PKT5_S7_PT6_21rocsparse_index_base_b,comdat
	.globl	_ZN9rocsparseL18bsrxmvn_4x4_kernelILj128ELj64E21rocsparse_complex_numIfEliS2_S2_S2_EEvT3_20rocsparse_direction_NS_24const_host_device_scalarIT1_EES3_PKS3_PKT2_SC_S9_PKT4_PKT5_S7_PT6_21rocsparse_index_base_b ; -- Begin function _ZN9rocsparseL18bsrxmvn_4x4_kernelILj128ELj64E21rocsparse_complex_numIfEliS2_S2_S2_EEvT3_20rocsparse_direction_NS_24const_host_device_scalarIT1_EES3_PKS3_PKT2_SC_S9_PKT4_PKT5_S7_PT6_21rocsparse_index_base_b
	.p2align	8
	.type	_ZN9rocsparseL18bsrxmvn_4x4_kernelILj128ELj64E21rocsparse_complex_numIfEliS2_S2_S2_EEvT3_20rocsparse_direction_NS_24const_host_device_scalarIT1_EES3_PKS3_PKT2_SC_S9_PKT4_PKT5_S7_PT6_21rocsparse_index_base_b,@function
_ZN9rocsparseL18bsrxmvn_4x4_kernelILj128ELj64E21rocsparse_complex_numIfEliS2_S2_S2_EEvT3_20rocsparse_direction_NS_24const_host_device_scalarIT1_EES3_PKS3_PKT2_SC_S9_PKT4_PKT5_S7_PT6_21rocsparse_index_base_b: ; @_ZN9rocsparseL18bsrxmvn_4x4_kernelILj128ELj64E21rocsparse_complex_numIfEliS2_S2_S2_EEvT3_20rocsparse_direction_NS_24const_host_device_scalarIT1_EES3_PKS3_PKT2_SC_S9_PKT4_PKT5_S7_PT6_21rocsparse_index_base_b
; %bb.0:
	s_load_dwordx2 s[0:1], s[4:5], 0x8
	s_load_dwordx2 s[16:17], s[4:5], 0x58
	s_add_u32 s7, s4, 8
	s_addc_u32 s8, s5, 0
	s_add_u32 s9, s4, 0x48
	s_load_dwordx2 s[2:3], s[4:5], 0x48
	s_addc_u32 s10, s5, 0
	s_waitcnt lgkmcnt(0)
	s_bitcmp1_b32 s17, 0
	s_cselect_b32 s1, s8, s1
	s_cselect_b32 s0, s7, s0
	v_mov_b32_e32 v1, s0
	v_mov_b32_e32 v2, s1
	flat_load_dwordx2 v[14:15], v[1:2]
	s_cselect_b32 s0, s10, s3
	s_cselect_b32 s1, s9, s2
	v_mov_b32_e32 v1, s1
	v_mov_b32_e32 v2, s0
	flat_load_dwordx2 v[12:13], v[1:2]
	s_waitcnt vmcnt(0) lgkmcnt(0)
	v_cmp_eq_f32_e32 vcc, 0, v14
	v_cmp_eq_f32_e64 s[0:1], 0, v15
	s_and_b64 s[8:9], vcc, s[0:1]
	s_mov_b64 s[0:1], -1
	s_and_saveexec_b64 s[2:3], s[8:9]
; %bb.1:
	v_cmp_neq_f32_e32 vcc, 1.0, v12
	v_cmp_neq_f32_e64 s[0:1], 0, v13
	s_or_b64 s[0:1], vcc, s[0:1]
	s_orn2_b64 s[0:1], s[0:1], exec
; %bb.2:
	s_or_b64 exec, exec, s[2:3]
	s_and_saveexec_b64 s[2:3], s[0:1]
	s_cbranch_execz .LBB34_8
; %bb.3:
	s_load_dwordx2 s[8:9], s[4:5], 0x18
	s_load_dwordx2 s[0:1], s[4:5], 0x0
	v_lshrrev_b32_e32 v1, 6, v0
	v_lshl_or_b32 v16, s6, 1, v1
	s_mov_b64 s[2:3], 0
	s_waitcnt lgkmcnt(0)
	s_cmp_lg_u64 s[8:9], 0
	s_cbranch_scc0 .LBB34_9
; %bb.4:
	s_load_dword s6, s[4:5], 0x10
                                        ; implicit-def: $vgpr1
	s_waitcnt lgkmcnt(0)
	v_cmp_gt_i32_e32 vcc, s6, v16
	s_and_saveexec_b64 s[6:7], vcc
	s_xor_b64 s[6:7], exec, s[6:7]
	s_cbranch_execz .LBB34_6
; %bb.5:
	v_ashrrev_i32_e32 v17, 31, v16
	v_lshlrev_b64 v[1:2], 2, v[16:17]
	v_mov_b32_e32 v3, s9
	v_add_co_u32_e32 v1, vcc, s8, v1
	v_addc_co_u32_e32 v2, vcc, v3, v2, vcc
	global_load_dword v1, v[1:2], off
	s_mov_b64 s[2:3], exec
	s_waitcnt vmcnt(0)
	v_subrev_u32_e32 v1, s16, v1
.LBB34_6:
	s_or_b64 exec, exec, s[6:7]
	s_branch .LBB34_10
.LBB34_7:
	v_cmp_gt_i32_e32 vcc, s0, v16
	s_andn2_b64 s[2:3], s[2:3], exec
	s_and_b64 s[6:7], vcc, exec
	s_or_b64 s[2:3], s[2:3], s[6:7]
	s_and_b64 exec, exec, s[2:3]
	s_cbranch_execnz .LBB34_11
.LBB34_8:
	s_endpgm
.LBB34_9:
                                        ; implicit-def: $vgpr1
	s_cbranch_execnz .LBB34_7
.LBB34_10:
	v_mov_b32_e32 v16, v1
	s_and_b64 exec, exec, s[2:3]
	s_cbranch_execz .LBB34_8
.LBB34_11:
	s_load_dwordx8 s[8:15], s[4:5], 0x20
	v_ashrrev_i32_e32 v17, 31, v16
	v_lshlrev_b64 v[1:2], 3, v[16:17]
	v_and_b32_e32 v37, 63, v0
	v_mov_b32_e32 v23, 0
	s_waitcnt lgkmcnt(0)
	v_mov_b32_e32 v4, s9
	v_add_co_u32_e32 v3, vcc, s8, v1
	v_addc_co_u32_e32 v4, vcc, v4, v2, vcc
	global_load_dwordx2 v[25:26], v[3:4], off
	v_add_co_u32_e32 v3, vcc, 8, v3
	v_addc_co_u32_e32 v4, vcc, 0, v4, vcc
	v_mov_b32_e32 v5, s11
	v_add_co_u32_e32 v1, vcc, s10, v1
	s_cmp_eq_u64 s[10:11], 0
	v_addc_co_u32_e32 v2, vcc, v5, v2, vcc
	s_cselect_b64 vcc, -1, 0
	v_cndmask_b32_e32 v2, v2, v4, vcc
	v_cndmask_b32_e32 v1, v1, v3, vcc
	global_load_dwordx2 v[1:2], v[1:2], off
	s_load_dwordx2 s[8:9], s[4:5], 0x40
	v_mov_b32_e32 v3, s15
	s_cmp_eq_u32 s1, 1
	s_waitcnt vmcnt(1)
	v_subrev_co_u32_e32 v0, vcc, s16, v25
	v_subbrev_co_u32_e32 v4, vcc, 0, v26, vcc
	v_add_co_u32_e32 v17, vcc, v0, v37
	v_addc_co_u32_e32 v18, vcc, 0, v4, vcc
	s_waitcnt vmcnt(0)
	v_subrev_co_u32_e32 v19, vcc, s16, v1
	v_lshlrev_b64 v[0:1], 7, v[17:18]
	v_subbrev_co_u32_e32 v20, vcc, 0, v2, vcc
	v_cmp_lt_i64_e64 s[0:1], v[17:18], v[19:20]
	v_add_co_u32_e32 v21, vcc, s14, v0
	v_addc_co_u32_e32 v22, vcc, v3, v1, vcc
	s_cbranch_scc1 .LBB34_23
; %bb.12:
	v_mov_b32_e32 v7, 0
	v_mov_b32_e32 v6, 0
	;; [unrolled: 1-line block ×7, first 2 shown]
	s_and_saveexec_b64 s[10:11], s[0:1]
	s_cbranch_execz .LBB34_22
; %bb.13:
	v_or_b32_e32 v0, 64, v37
	v_subrev_co_u32_e32 v0, vcc, s16, v0
	v_subb_co_u32_e64 v1, s[2:3], 0, 0, vcc
	v_add_co_u32_e32 v0, vcc, v0, v25
	v_addc_co_u32_e32 v1, vcc, v1, v26, vcc
	v_cmp_gt_i64_e32 vcc, v[0:1], v[19:20]
	v_not_b32_e32 v3, v25
	v_cndmask_b32_e32 v1, v20, v1, vcc
	v_cndmask_b32_e32 v0, v19, v0, vcc
	v_sub_co_u32_e32 v4, vcc, s16, v37
	v_not_b32_e32 v2, v26
	v_subb_co_u32_e64 v5, s[2:3], 0, 0, vcc
	v_add_co_u32_e32 v3, vcc, v4, v3
	v_addc_co_u32_e32 v2, vcc, v5, v2, vcc
	v_add_co_u32_e32 v0, vcc, v3, v0
	v_addc_co_u32_e32 v1, vcc, v2, v1, vcc
	v_and_b32_e32 v23, 0xc0, v0
	v_mov_b32_e32 v24, 0
	s_mov_b64 s[2:3], 0xc0
	v_cmp_ne_u64_e32 vcc, s[2:3], v[23:24]
	v_mov_b32_e32 v28, v22
	v_mov_b32_e32 v30, v18
	;; [unrolled: 1-line block ×11, first 2 shown]
	s_and_saveexec_b64 s[6:7], vcc
	s_cbranch_execz .LBB34_17
; %bb.14:
	v_lshrrev_b32_e32 v2, 6, v0
	v_add_u32_e32 v2, 1, v2
	v_and_b32_e32 v4, 3, v2
	v_lshlrev_b64 v[2:3], 2, v[17:18]
	v_mov_b32_e32 v5, s13
	v_add_co_u32_e32 v2, vcc, s12, v2
	v_addc_co_u32_e32 v3, vcc, v5, v3, vcc
	v_sub_co_u32_e32 v4, vcc, 0, v4
	v_mov_b32_e32 v30, v18
	v_mov_b32_e32 v28, v22
	;; [unrolled: 1-line block ×3, first 2 shown]
	s_mov_b64 s[14:15], 0
	v_subb_co_u32_e64 v5, s[2:3], 0, 0, vcc
	s_movk_i32 s17, 0x2000
	s_waitcnt lgkmcnt(0)
	v_mov_b32_e32 v10, s9
	v_mov_b32_e32 v29, v17
	;; [unrolled: 1-line block ×10, first 2 shown]
.LBB34_15:                              ; =>This Inner Loop Header: Depth=1
	global_load_dword v11, v[2:3], off
	global_load_dwordx4 v[31:34], v[27:28], off offset:32
	global_load_dwordx4 v[40:43], v[27:28], off
	v_add_co_u32_e64 v29, s[2:3], 64, v29
	v_addc_co_u32_e64 v30, s[2:3], 0, v30, s[2:3]
	v_add_co_u32_e64 v4, s[2:3], 1, v4
	v_addc_co_u32_e64 v5, s[2:3], 0, v5, s[2:3]
	v_cmp_eq_u64_e64 s[2:3], 0, v[4:5]
	s_or_b64 s[14:15], s[2:3], s[14:15]
	s_waitcnt vmcnt(2)
	v_subrev_u32_e32 v11, s16, v11
	v_lshlrev_b32_e32 v35, 2, v11
	v_ashrrev_i32_e32 v36, 31, v35
	v_lshlrev_b64 v[35:36], 3, v[35:36]
	v_add_co_u32_e32 v35, vcc, s8, v35
	v_addc_co_u32_e32 v36, vcc, v10, v36, vcc
	global_load_dwordx4 v[44:47], v[35:36], off
	s_waitcnt vmcnt(0)
	v_fmac_f32_e32 v7, v40, v44
	v_fmac_f32_e32 v23, v41, v44
	v_fma_f32 v7, -v41, v45, v7
	v_fmac_f32_e32 v23, v40, v45
	v_fmac_f32_e32 v7, v42, v46
	;; [unrolled: 1-line block ×3, first 2 shown]
	v_fma_f32 v11, -v43, v47, v7
	v_fmac_f32_e32 v23, v42, v47
	global_load_dwordx4 v[40:43], v[27:28], off offset:64
	v_fmac_f32_e32 v9, v31, v44
	v_fmac_f32_e32 v24, v32, v44
	v_fma_f32 v7, -v32, v45, v9
	v_fmac_f32_e32 v24, v31, v45
	v_fmac_f32_e32 v7, v33, v46
	;; [unrolled: 1-line block ×3, first 2 shown]
	v_fma_f32 v48, -v34, v47, v7
	v_fmac_f32_e32 v24, v33, v47
	global_load_dwordx4 v[31:34], v[27:28], off offset:96
	s_waitcnt vmcnt(1)
	v_fmac_f32_e32 v8, v40, v44
	v_fmac_f32_e32 v39, v41, v44
	v_fma_f32 v7, -v41, v45, v8
	v_fmac_f32_e32 v39, v40, v45
	v_fmac_f32_e32 v7, v42, v46
	;; [unrolled: 1-line block ×3, first 2 shown]
	v_fma_f32 v49, -v43, v47, v7
	v_fmac_f32_e32 v39, v42, v47
	global_load_dwordx4 v[40:43], v[27:28], off offset:48
	s_waitcnt vmcnt(1)
	v_fmac_f32_e32 v6, v31, v44
	v_fmac_f32_e32 v38, v32, v44
	v_fma_f32 v6, -v32, v45, v6
	v_fmac_f32_e32 v38, v31, v45
	v_fmac_f32_e32 v6, v33, v46
	v_fmac_f32_e32 v38, v34, v46
	v_fma_f32 v50, -v34, v47, v6
	v_fmac_f32_e32 v38, v33, v47
	global_load_dwordx4 v[6:9], v[27:28], off offset:16
	global_load_dwordx4 v[31:34], v[35:36], off offset:16
	;; [unrolled: 1-line block ×3, first 2 shown]
	s_waitcnt vmcnt(1)
	v_fmac_f32_e32 v11, v6, v31
	v_fmac_f32_e32 v23, v7, v31
	v_fmac_f32_e32 v48, v40, v31
	v_fmac_f32_e32 v24, v41, v31
	v_fma_f32 v7, -v7, v32, v11
	v_fmac_f32_e32 v23, v6, v32
	v_fma_f32 v6, -v41, v32, v48
	v_fmac_f32_e32 v24, v40, v32
	v_fmac_f32_e32 v7, v8, v33
	;; [unrolled: 1-line block ×5, first 2 shown]
	v_fma_f32 v7, -v9, v34, v7
	v_fma_f32 v9, -v43, v34, v6
	v_fmac_f32_e32 v24, v42, v34
	global_load_dwordx4 v[40:43], v[27:28], off offset:112
	v_add_co_u32_e32 v27, vcc, s17, v27
	s_waitcnt vmcnt(1)
	v_fmac_f32_e32 v49, v44, v31
	v_fmac_f32_e32 v39, v45, v31
	v_addc_co_u32_e32 v28, vcc, 0, v28, vcc
	v_fma_f32 v6, -v45, v32, v49
	v_fmac_f32_e32 v39, v44, v32
	v_add_co_u32_e32 v2, vcc, 0x100, v2
	v_fmac_f32_e32 v6, v46, v33
	v_fmac_f32_e32 v39, v47, v33
	;; [unrolled: 1-line block ×3, first 2 shown]
	v_addc_co_u32_e32 v3, vcc, 0, v3, vcc
	v_fma_f32 v8, -v47, v34, v6
	v_fmac_f32_e32 v39, v46, v34
	s_waitcnt vmcnt(0)
	v_fmac_f32_e32 v50, v40, v31
	v_fmac_f32_e32 v38, v41, v31
	v_fma_f32 v11, -v41, v32, v50
	v_fmac_f32_e32 v38, v40, v32
	v_fmac_f32_e32 v11, v42, v33
	;; [unrolled: 1-line block ×3, first 2 shown]
	v_fma_f32 v6, -v43, v34, v11
	v_fmac_f32_e32 v38, v42, v34
	s_andn2_b64 exec, exec, s[14:15]
	s_cbranch_execnz .LBB34_15
; %bb.16:
	s_or_b64 exec, exec, s[14:15]
.LBB34_17:
	s_or_b64 exec, exec, s[6:7]
	s_mov_b64 s[2:3], 0xbf
	v_cmp_lt_u64_e32 vcc, s[2:3], v[0:1]
	s_and_saveexec_b64 s[14:15], vcc
	s_cbranch_execz .LBB34_21
; %bb.18:
	v_lshlrev_b64 v[0:1], 2, v[29:30]
	v_mov_b32_e32 v2, s13
	v_add_co_u32_e32 v0, vcc, s12, v0
	v_addc_co_u32_e32 v1, vcc, v2, v1, vcc
	v_add_co_u32_e32 v31, vcc, 0x200, v0
	v_addc_co_u32_e32 v32, vcc, 0, v1, vcc
	s_mov_b64 s[18:19], 0
	s_waitcnt lgkmcnt(0)
	v_mov_b32_e32 v40, s9
	s_movk_i32 s17, 0x2000
	s_movk_i32 s20, 0x4000
	;; [unrolled: 1-line block ×3, first 2 shown]
.LBB34_19:                              ; =>This Inner Loop Header: Depth=1
	global_load_dword v4, v[31:32], off offset:-512
	global_load_dwordx4 v[0:3], v[27:28], off offset:32
	global_load_dwordx4 v[33:36], v[27:28], off
	global_load_dwordx4 v[41:44], v[27:28], off offset:64
	global_load_dwordx4 v[49:52], v[27:28], off offset:96
	;; [unrolled: 1-line block ×4, first 2 shown]
	s_waitcnt vmcnt(6)
	v_subrev_u32_e32 v4, s16, v4
	v_lshlrev_b32_e32 v4, 2, v4
	v_ashrrev_i32_e32 v5, 31, v4
	v_lshlrev_b64 v[4:5], 3, v[4:5]
	v_add_co_u32_e32 v4, vcc, s8, v4
	v_addc_co_u32_e32 v5, vcc, v40, v5, vcc
	global_load_dwordx4 v[45:48], v[4:5], off
	s_waitcnt vmcnt(0)
	v_fmac_f32_e32 v24, v1, v45
	v_fmac_f32_e32 v8, v41, v45
	;; [unrolled: 1-line block ×4, first 2 shown]
	v_fma_f32 v0, -v42, v46, v8
	v_fmac_f32_e32 v7, v33, v45
	v_fmac_f32_e32 v23, v34, v45
	;; [unrolled: 1-line block ×5, first 2 shown]
	v_fma_f32 v7, -v34, v46, v7
	v_fmac_f32_e32 v23, v33, v46
	v_fma_f32 v1, -v1, v46, v9
	v_fmac_f32_e32 v39, v41, v46
	v_fma_f32 v34, -v44, v48, v0
	v_fma_f32 v0, -v50, v46, v6
	v_fmac_f32_e32 v23, v36, v47
	v_fmac_f32_e32 v1, v2, v47
	;; [unrolled: 1-line block ×7, first 2 shown]
	v_fma_f32 v35, -v3, v48, v1
	v_fmac_f32_e32 v24, v2, v48
	v_fmac_f32_e32 v39, v43, v48
	v_fma_f32 v43, -v52, v48, v0
	global_load_dwordx4 v[8:11], v[27:28], off offset:80
	global_load_dwordx4 v[0:3], v[4:5], off offset:16
	v_fma_f32 v7, -v36, v48, v7
	v_fmac_f32_e32 v38, v50, v45
	v_fmac_f32_e32 v38, v49, v46
	;; [unrolled: 1-line block ×4, first 2 shown]
	v_add_co_u32_e32 v33, vcc, s17, v27
	s_waitcnt vmcnt(0)
	v_fmac_f32_e32 v7, v57, v0
	v_fma_f32 v4, -v58, v1, v7
	v_fmac_f32_e32 v4, v59, v2
	v_fma_f32 v42, -v60, v3, v4
	global_load_dwordx4 v[4:7], v[27:28], off offset:112
	global_load_dword v45, v[31:32], off offset:-256
	v_fmac_f32_e32 v35, v53, v0
	v_fma_f32 v35, -v54, v1, v35
	v_fmac_f32_e32 v34, v8, v0
	v_fmac_f32_e32 v23, v58, v0
	;; [unrolled: 1-line block ×5, first 2 shown]
	v_fma_f32 v9, -v9, v1, v34
	v_fma_f32 v44, -v56, v3, v35
	v_add_co_u32_e64 v35, s[2:3], s20, v27
	v_fmac_f32_e32 v39, v8, v1
	v_fmac_f32_e32 v9, v10, v2
	v_add_co_u32_e64 v8, s[6:7], s21, v27
	v_fmac_f32_e32 v39, v11, v2
	v_fma_f32 v47, -v11, v3, v9
	v_addc_co_u32_e32 v34, vcc, 0, v28, vcc
	v_addc_co_u32_e64 v36, vcc, 0, v28, s[2:3]
	v_addc_co_u32_e64 v9, vcc, 0, v28, s[6:7]
	v_fmac_f32_e32 v23, v57, v1
	v_fmac_f32_e32 v24, v53, v1
	;; [unrolled: 1-line block ×7, first 2 shown]
	global_load_dword v46, v[31:32], off
	global_load_dword v41, v[31:32], off offset:256
	s_waitcnt vmcnt(3)
	v_fmac_f32_e32 v38, v5, v0
	v_fmac_f32_e32 v43, v4, v0
	;; [unrolled: 1-line block ×3, first 2 shown]
	s_waitcnt vmcnt(2)
	v_subrev_u32_e32 v4, s16, v45
	v_lshlrev_b32_e32 v4, 2, v4
	v_fma_f32 v0, -v5, v1, v43
	v_ashrrev_i32_e32 v5, 31, v4
	v_lshlrev_b64 v[4:5], 3, v[4:5]
	v_fmac_f32_e32 v0, v6, v2
	v_add_co_u32_e32 v10, vcc, s8, v4
	v_fmac_f32_e32 v38, v7, v2
	v_addc_co_u32_e32 v11, vcc, v40, v5, vcc
	v_fma_f32 v43, -v7, v3, v0
	v_fmac_f32_e32 v38, v6, v3
	global_load_dwordx4 v[0:3], v[33:34], off
	global_load_dwordx4 v[4:7], v[10:11], off
	s_waitcnt vmcnt(0)
	v_fmac_f32_e32 v42, v0, v4
	v_fmac_f32_e32 v23, v1, v4
	v_fma_f32 v1, -v1, v5, v42
	v_fmac_f32_e32 v23, v0, v5
	v_fmac_f32_e32 v1, v2, v6
	v_fmac_f32_e32 v23, v3, v6
	v_fma_f32 v42, -v3, v7, v1
	v_fmac_f32_e32 v23, v2, v7
	global_load_dwordx4 v[0:3], v[33:34], off offset:32
	s_waitcnt vmcnt(0)
	v_fmac_f32_e32 v44, v0, v4
	v_fmac_f32_e32 v24, v1, v4
	v_fma_f32 v1, -v1, v5, v44
	v_fmac_f32_e32 v24, v0, v5
	v_fmac_f32_e32 v1, v2, v6
	v_fmac_f32_e32 v24, v3, v6
	v_fma_f32 v44, -v3, v7, v1
	v_fmac_f32_e32 v24, v2, v7
	global_load_dwordx4 v[0:3], v[33:34], off offset:64
	;; [unrolled: 10-line block ×4, first 2 shown]
	global_load_dwordx4 v[4:7], v[10:11], off offset:16
	v_subrev_u32_e32 v10, s16, v46
	v_lshlrev_b32_e32 v10, 2, v10
	v_ashrrev_i32_e32 v11, 31, v10
	v_lshlrev_b64 v[10:11], 3, v[10:11]
	v_add_co_u32_e32 v10, vcc, s8, v10
	v_addc_co_u32_e32 v11, vcc, v40, v11, vcc
	s_waitcnt vmcnt(0)
	v_fmac_f32_e32 v42, v0, v4
	v_fmac_f32_e32 v23, v1, v4
	v_fma_f32 v1, -v1, v5, v42
	v_fmac_f32_e32 v23, v0, v5
	v_fmac_f32_e32 v1, v2, v6
	;; [unrolled: 1-line block ×3, first 2 shown]
	v_fma_f32 v49, -v3, v7, v1
	v_fmac_f32_e32 v23, v2, v7
	global_load_dwordx4 v[0:3], v[33:34], off offset:48
	s_waitcnt vmcnt(0)
	v_fmac_f32_e32 v44, v0, v4
	v_fmac_f32_e32 v24, v1, v4
	v_fma_f32 v1, -v1, v5, v44
	v_fmac_f32_e32 v24, v0, v5
	v_fmac_f32_e32 v1, v2, v6
	;; [unrolled: 1-line block ×3, first 2 shown]
	v_fma_f32 v50, -v3, v7, v1
	v_fmac_f32_e32 v24, v2, v7
	global_load_dwordx4 v[0:3], v[33:34], off offset:80
	global_load_dwordx4 v[42:45], v[33:34], off offset:112
	s_waitcnt vmcnt(1)
	v_fmac_f32_e32 v47, v0, v4
	v_fmac_f32_e32 v39, v1, v4
	s_waitcnt vmcnt(0)
	v_fmac_f32_e32 v48, v42, v4
	v_fmac_f32_e32 v38, v43, v4
	v_fma_f32 v1, -v1, v5, v47
	v_fmac_f32_e32 v39, v0, v5
	v_fma_f32 v4, -v43, v5, v48
	v_fmac_f32_e32 v38, v42, v5
	v_fmac_f32_e32 v1, v2, v6
	v_fmac_f32_e32 v39, v3, v6
	v_fmac_f32_e32 v4, v44, v6
	v_fmac_f32_e32 v38, v45, v6
	v_fma_f32 v33, -v3, v7, v1
	v_fmac_f32_e32 v39, v2, v7
	global_load_dwordx4 v[0:3], v[35:36], off
	v_fma_f32 v34, -v45, v7, v4
	v_fmac_f32_e32 v38, v44, v7
	global_load_dwordx4 v[42:45], v[10:11], off
	global_load_dwordx4 v[4:7], v[35:36], off offset:32
	s_waitcnt vmcnt(1)
	v_fmac_f32_e32 v49, v0, v42
	v_fmac_f32_e32 v23, v1, v42
	v_fma_f32 v1, -v1, v43, v49
	v_fmac_f32_e32 v23, v0, v43
	v_fmac_f32_e32 v1, v2, v44
	v_fmac_f32_e32 v23, v3, v44
	v_fma_f32 v46, -v3, v45, v1
	v_fmac_f32_e32 v23, v2, v45
	global_load_dwordx4 v[0:3], v[35:36], off offset:64
	s_waitcnt vmcnt(1)
	v_fmac_f32_e32 v50, v4, v42
	v_fmac_f32_e32 v24, v5, v42
	v_fma_f32 v5, -v5, v43, v50
	v_fmac_f32_e32 v24, v4, v43
	v_fmac_f32_e32 v5, v6, v44
	v_fmac_f32_e32 v24, v7, v44
	v_fma_f32 v50, -v7, v45, v5
	v_fmac_f32_e32 v24, v6, v45
	;; [unrolled: 10-line block ×4, first 2 shown]
	global_load_dwordx4 v[4:7], v[35:36], off offset:16
	global_load_dwordx4 v[42:45], v[10:11], off offset:16
	v_subrev_u32_e32 v10, s16, v41
	v_lshlrev_b32_e32 v10, 2, v10
	s_waitcnt vmcnt(0)
	v_fmac_f32_e32 v46, v4, v42
	v_fmac_f32_e32 v23, v5, v42
	v_fma_f32 v5, -v5, v43, v46
	v_fmac_f32_e32 v23, v4, v43
	v_fmac_f32_e32 v5, v6, v44
	;; [unrolled: 1-line block ×3, first 2 shown]
	v_fma_f32 v51, -v7, v45, v5
	v_fmac_f32_e32 v23, v6, v45
	global_load_dwordx4 v[4:7], v[35:36], off offset:80
	global_load_dwordx4 v[46:49], v[35:36], off offset:112
	v_fmac_f32_e32 v50, v0, v42
	v_fmac_f32_e32 v24, v1, v42
	v_fma_f32 v1, -v1, v43, v50
	v_fmac_f32_e32 v24, v0, v43
	v_fmac_f32_e32 v1, v2, v44
	;; [unrolled: 1-line block ×3, first 2 shown]
	v_fma_f32 v50, -v3, v45, v1
	v_fmac_f32_e32 v24, v2, v45
	global_load_dwordx4 v[0:3], v[8:9], off
	s_waitcnt vmcnt(2)
	v_fmac_f32_e32 v33, v4, v42
	s_waitcnt vmcnt(1)
	v_fmac_f32_e32 v34, v46, v42
	v_fma_f32 v11, -v47, v43, v34
	v_fmac_f32_e32 v11, v48, v44
	v_fma_f32 v41, -v49, v45, v11
	v_ashrrev_i32_e32 v11, 31, v10
	v_lshlrev_b64 v[10:11], 3, v[10:11]
	v_fmac_f32_e32 v39, v5, v42
	v_add_co_u32_e32 v10, vcc, s8, v10
	v_addc_co_u32_e32 v11, vcc, v40, v11, vcc
	v_fma_f32 v5, -v5, v43, v33
	global_load_dwordx4 v[33:36], v[10:11], off
	v_fmac_f32_e32 v39, v4, v43
	v_fmac_f32_e32 v5, v6, v44
	;; [unrolled: 1-line block ×3, first 2 shown]
	v_fma_f32 v52, -v7, v45, v5
	v_fmac_f32_e32 v39, v6, v45
	global_load_dwordx4 v[4:7], v[8:9], off offset:32
	v_fmac_f32_e32 v38, v47, v42
	v_fmac_f32_e32 v38, v46, v43
	;; [unrolled: 1-line block ×4, first 2 shown]
	v_add_co_u32_e32 v29, vcc, 0x100, v29
	s_mov_b64 s[2:3], vcc
	v_add_co_u32_e32 v31, vcc, 0x400, v31
	s_mov_b64 s[6:7], vcc
	v_addc_co_u32_e64 v30, vcc, 0, v30, s[2:3]
	v_addc_co_u32_e64 v32, s[2:3], 0, v32, s[6:7]
	v_cmp_ge_i64_e64 s[2:3], v[29:30], v[19:20]
	v_add_co_u32_e32 v27, vcc, 0x8000, v27
	v_addc_co_u32_e32 v28, vcc, 0, v28, vcc
	s_or_b64 s[18:19], s[2:3], s[18:19]
	s_waitcnt vmcnt(1)
	v_fmac_f32_e32 v51, v0, v33
	v_fmac_f32_e32 v23, v1, v33
	v_fma_f32 v1, -v1, v34, v51
	v_fmac_f32_e32 v23, v0, v34
	v_fmac_f32_e32 v1, v2, v35
	v_fmac_f32_e32 v23, v3, v35
	v_fma_f32 v45, -v3, v36, v1
	v_fmac_f32_e32 v23, v2, v36
	global_load_dwordx4 v[0:3], v[8:9], off offset:64
	s_waitcnt vmcnt(1)
	v_fmac_f32_e32 v50, v4, v33
	v_fmac_f32_e32 v24, v5, v33
	v_fma_f32 v5, -v5, v34, v50
	v_fmac_f32_e32 v24, v4, v34
	v_fmac_f32_e32 v5, v6, v35
	v_fmac_f32_e32 v24, v7, v35
	v_fma_f32 v46, -v7, v36, v5
	v_fmac_f32_e32 v24, v6, v36
	global_load_dwordx4 v[4:7], v[8:9], off offset:96
	;; [unrolled: 10-line block ×4, first 2 shown]
	global_load_dwordx4 v[33:36], v[8:9], off offset:80
	global_load_dwordx4 v[41:44], v[10:11], off offset:16
	s_waitcnt vmcnt(0)
	v_fmac_f32_e32 v45, v4, v41
	global_load_dwordx4 v[8:11], v[8:9], off offset:112
	v_fmac_f32_e32 v23, v5, v41
	v_fmac_f32_e32 v46, v0, v41
	;; [unrolled: 1-line block ×5, first 2 shown]
	v_fma_f32 v5, -v5, v42, v45
	v_fmac_f32_e32 v23, v4, v42
	v_fma_f32 v1, -v1, v42, v46
	v_fmac_f32_e32 v24, v0, v42
	;; [unrolled: 2-line block ×3, first 2 shown]
	v_fmac_f32_e32 v5, v6, v43
	v_fmac_f32_e32 v23, v7, v43
	;; [unrolled: 1-line block ×6, first 2 shown]
	v_fma_f32 v7, -v7, v44, v5
	v_fmac_f32_e32 v23, v6, v44
	v_fmac_f32_e32 v24, v2, v44
	;; [unrolled: 1-line block ×3, first 2 shown]
	s_waitcnt vmcnt(0)
	v_fmac_f32_e32 v48, v8, v41
	v_fmac_f32_e32 v38, v9, v41
	v_fma_f32 v4, -v9, v42, v48
	v_fmac_f32_e32 v38, v8, v42
	v_fmac_f32_e32 v4, v10, v43
	;; [unrolled: 1-line block ×3, first 2 shown]
	v_fma_f32 v9, -v3, v44, v1
	v_fma_f32 v8, -v36, v44, v0
	;; [unrolled: 1-line block ×3, first 2 shown]
	v_fmac_f32_e32 v38, v10, v44
	s_andn2_b64 exec, exec, s[18:19]
	s_cbranch_execnz .LBB34_19
; %bb.20:
	s_or_b64 exec, exec, s[18:19]
.LBB34_21:
	s_or_b64 exec, exec, s[14:15]
.LBB34_22:
	s_or_b64 exec, exec, s[10:11]
	s_cbranch_execz .LBB34_24
	s_branch .LBB34_35
.LBB34_23:
                                        ; implicit-def: $vgpr23
                                        ; implicit-def: $vgpr7
                                        ; implicit-def: $vgpr6
                                        ; implicit-def: $vgpr38
                                        ; implicit-def: $vgpr8
                                        ; implicit-def: $vgpr39
                                        ; implicit-def: $vgpr9
                                        ; implicit-def: $vgpr24
.LBB34_24:
	v_mov_b32_e32 v23, 0
	v_mov_b32_e32 v7, 0
	;; [unrolled: 1-line block ×8, first 2 shown]
	s_and_saveexec_b64 s[6:7], s[0:1]
	s_cbranch_execz .LBB34_34
; %bb.25:
	v_or_b32_e32 v0, 64, v37
	v_subrev_co_u32_e32 v0, vcc, s16, v0
	v_subb_co_u32_e64 v1, s[0:1], 0, 0, vcc
	v_add_co_u32_e32 v0, vcc, v0, v25
	v_addc_co_u32_e32 v1, vcc, v1, v26, vcc
	v_cmp_gt_i64_e32 vcc, v[0:1], v[19:20]
	v_not_b32_e32 v3, v25
	v_cndmask_b32_e32 v1, v20, v1, vcc
	v_cndmask_b32_e32 v0, v19, v0, vcc
	v_sub_co_u32_e32 v4, vcc, s16, v37
	v_not_b32_e32 v2, v26
	v_subb_co_u32_e64 v5, s[0:1], 0, 0, vcc
	v_add_co_u32_e32 v3, vcc, v4, v3
	v_addc_co_u32_e32 v2, vcc, v5, v2, vcc
	v_add_co_u32_e32 v0, vcc, v3, v0
	v_addc_co_u32_e32 v1, vcc, v2, v1, vcc
	v_and_b32_e32 v23, 0xc0, v0
	v_mov_b32_e32 v24, 0
	s_mov_b64 s[0:1], 0xc0
	v_cmp_ne_u64_e32 vcc, s[0:1], v[23:24]
	v_mov_b32_e32 v9, v24
	v_mov_b32_e32 v39, v24
	;; [unrolled: 1-line block ×7, first 2 shown]
	s_and_saveexec_b64 s[10:11], vcc
	s_cbranch_execz .LBB34_29
; %bb.26:
	v_lshrrev_b32_e32 v2, 6, v0
	v_add_u32_e32 v2, 1, v2
	v_and_b32_e32 v4, 3, v2
	v_lshlrev_b64 v[2:3], 2, v[17:18]
	v_mov_b32_e32 v5, s13
	v_add_co_u32_e32 v2, vcc, s12, v2
	v_addc_co_u32_e32 v3, vcc, v5, v3, vcc
	v_sub_co_u32_e32 v4, vcc, 0, v4
	v_mov_b32_e32 v23, 0
	s_mov_b64 s[14:15], 0
	v_subb_co_u32_e64 v5, s[0:1], 0, 0, vcc
	s_movk_i32 s17, 0x2000
	s_waitcnt lgkmcnt(0)
	v_mov_b32_e32 v10, s9
	v_mov_b32_e32 v7, 0
	;; [unrolled: 1-line block ×8, first 2 shown]
.LBB34_27:                              ; =>This Inner Loop Header: Depth=1
	global_load_dword v11, v[2:3], off
	global_load_dwordx4 v[25:28], v[21:22], off offset:32
	global_load_dwordx4 v[29:32], v[21:22], off offset:16
	global_load_dwordx4 v[33:36], v[21:22], off
	v_add_co_u32_e64 v4, s[2:3], 1, v4
	s_waitcnt vmcnt(3)
	v_subrev_u32_e32 v11, s16, v11
	v_lshlrev_b32_e32 v40, 2, v11
	v_ashrrev_i32_e32 v41, 31, v40
	v_lshlrev_b64 v[40:41], 3, v[40:41]
	v_add_co_u32_e32 v44, vcc, s8, v40
	v_addc_co_u32_e32 v45, vcc, v10, v41, vcc
	global_load_dwordx4 v[40:43], v[44:45], off
	s_waitcnt vmcnt(0)
	v_fmac_f32_e32 v7, v33, v40
	v_fmac_f32_e32 v23, v34, v40
	;; [unrolled: 1-line block ×4, first 2 shown]
	v_fma_f32 v11, -v34, v41, v7
	v_fmac_f32_e32 v23, v33, v41
	v_fma_f32 v46, -v36, v41, v9
	v_fmac_f32_e32 v24, v35, v41
	global_load_dwordx4 v[33:36], v[21:22], off offset:48
	v_fmac_f32_e32 v8, v29, v40
	v_fmac_f32_e32 v39, v30, v40
	;; [unrolled: 1-line block ×4, first 2 shown]
	v_fma_f32 v30, -v30, v41, v8
	v_fmac_f32_e32 v39, v29, v41
	v_fma_f32 v29, -v32, v41, v6
	v_fmac_f32_e32 v38, v31, v41
	v_fmac_f32_e32 v11, v25, v42
	;; [unrolled: 1-line block ×5, first 2 shown]
	v_fma_f32 v11, -v26, v43, v11
	v_fmac_f32_e32 v23, v25, v43
	v_fma_f32 v40, -v28, v43, v46
	v_fmac_f32_e32 v24, v27, v43
	global_load_dwordx4 v[25:28], v[21:22], off offset:80
	global_load_dwordx4 v[6:9], v[21:22], off offset:96
	s_waitcnt vmcnt(2)
	v_fmac_f32_e32 v30, v33, v42
	v_fmac_f32_e32 v39, v34, v42
	;; [unrolled: 1-line block ×4, first 2 shown]
	v_fma_f32 v41, -v34, v43, v30
	v_fmac_f32_e32 v39, v33, v43
	v_fma_f32 v42, -v36, v43, v29
	v_fmac_f32_e32 v38, v35, v43
	global_load_dwordx4 v[29:32], v[21:22], off offset:64
	global_load_dwordx4 v[33:36], v[44:45], off offset:16
	s_waitcnt vmcnt(0)
	v_fmac_f32_e32 v11, v29, v33
	v_fmac_f32_e32 v23, v30, v33
	v_fmac_f32_e32 v40, v31, v33
	v_fmac_f32_e32 v24, v32, v33
	v_fma_f32 v11, -v30, v34, v11
	v_fmac_f32_e32 v23, v29, v34
	v_fma_f32 v40, -v32, v34, v40
	v_fmac_f32_e32 v24, v31, v34
	global_load_dwordx4 v[29:32], v[21:22], off offset:112
	v_add_co_u32_e32 v21, vcc, s17, v21
	s_mov_b64 s[0:1], vcc
	v_add_co_u32_e32 v17, vcc, 64, v17
	v_addc_co_u32_e32 v18, vcc, 0, v18, vcc
	v_addc_co_u32_e64 v5, vcc, 0, v5, s[2:3]
	v_addc_co_u32_e64 v22, s[0:1], 0, v22, s[0:1]
	v_fmac_f32_e32 v41, v25, v33
	v_fmac_f32_e32 v39, v26, v33
	;; [unrolled: 1-line block ×4, first 2 shown]
	v_cmp_eq_u64_e64 s[0:1], 0, v[4:5]
	v_fma_f32 v26, -v26, v34, v41
	v_fmac_f32_e32 v39, v25, v34
	v_fma_f32 v25, -v28, v34, v42
	v_fmac_f32_e32 v38, v27, v34
	v_add_co_u32_e32 v2, vcc, 0x100, v2
	v_fmac_f32_e32 v11, v6, v35
	v_fmac_f32_e32 v23, v7, v35
	;; [unrolled: 1-line block ×4, first 2 shown]
	v_addc_co_u32_e32 v3, vcc, 0, v3, vcc
	s_or_b64 s[14:15], s[0:1], s[14:15]
	v_fma_f32 v7, -v7, v36, v11
	v_fmac_f32_e32 v23, v6, v36
	v_fma_f32 v9, -v9, v36, v40
	v_fmac_f32_e32 v24, v8, v36
	s_waitcnt vmcnt(0)
	v_fmac_f32_e32 v26, v29, v35
	v_fmac_f32_e32 v39, v30, v35
	;; [unrolled: 1-line block ×4, first 2 shown]
	v_fma_f32 v8, -v30, v36, v26
	v_fmac_f32_e32 v39, v29, v36
	v_fma_f32 v6, -v32, v36, v25
	v_fmac_f32_e32 v38, v31, v36
	s_andn2_b64 exec, exec, s[14:15]
	s_cbranch_execnz .LBB34_27
; %bb.28:
	s_or_b64 exec, exec, s[14:15]
.LBB34_29:
	s_or_b64 exec, exec, s[10:11]
	s_mov_b64 s[0:1], 0xbf
	v_cmp_lt_u64_e32 vcc, s[0:1], v[0:1]
	s_and_saveexec_b64 s[10:11], vcc
	s_cbranch_execz .LBB34_33
; %bb.30:
	v_lshlrev_b64 v[0:1], 2, v[17:18]
	v_mov_b32_e32 v2, s13
	v_add_co_u32_e32 v0, vcc, s12, v0
	v_addc_co_u32_e32 v1, vcc, v2, v1, vcc
	v_add_co_u32_e32 v25, vcc, 0x200, v0
	v_addc_co_u32_e32 v26, vcc, 0, v1, vcc
	s_mov_b64 s[12:13], 0
	s_waitcnt lgkmcnt(0)
	v_mov_b32_e32 v31, s9
	s_movk_i32 s9, 0x2000
	s_movk_i32 s14, 0x4000
	;; [unrolled: 1-line block ×3, first 2 shown]
.LBB34_31:                              ; =>This Inner Loop Header: Depth=1
	global_load_dword v4, v[25:26], off offset:-512
	global_load_dwordx4 v[0:3], v[21:22], off offset:32
	global_load_dwordx4 v[27:30], v[21:22], off offset:16
	global_load_dwordx4 v[32:35], v[21:22], off
	global_load_dwordx4 v[44:47], v[21:22], off offset:80
	s_waitcnt vmcnt(4)
	v_subrev_u32_e32 v4, s16, v4
	v_lshlrev_b32_e32 v4, 2, v4
	v_ashrrev_i32_e32 v5, 31, v4
	v_lshlrev_b64 v[4:5], 3, v[4:5]
	v_add_co_u32_e32 v48, vcc, s8, v4
	v_addc_co_u32_e32 v49, vcc, v31, v5, vcc
	global_load_dwordx4 v[40:43], v[48:49], off
	s_waitcnt vmcnt(0)
	v_fmac_f32_e32 v7, v32, v40
	v_fmac_f32_e32 v23, v33, v40
	;; [unrolled: 1-line block ×4, first 2 shown]
	v_fma_f32 v4, -v33, v41, v7
	v_fmac_f32_e32 v23, v32, v41
	v_fma_f32 v5, -v35, v41, v9
	v_fmac_f32_e32 v24, v34, v41
	global_load_dwordx4 v[32:35], v[21:22], off offset:48
	v_fmac_f32_e32 v8, v27, v40
	v_fmac_f32_e32 v39, v28, v40
	;; [unrolled: 1-line block ×3, first 2 shown]
	v_fma_f32 v7, -v28, v41, v8
	v_fmac_f32_e32 v39, v27, v41
	v_fma_f32 v6, -v30, v41, v6
	v_fmac_f32_e32 v38, v30, v40
	v_fmac_f32_e32 v4, v0, v42
	;; [unrolled: 1-line block ×6, first 2 shown]
	global_load_dwordx4 v[8:11], v[21:22], off offset:96
	v_fma_f32 v27, -v1, v43, v4
	v_fmac_f32_e32 v23, v0, v43
	v_fma_f32 v29, -v3, v43, v5
	v_fmac_f32_e32 v24, v2, v43
	s_waitcnt vmcnt(1)
	v_fmac_f32_e32 v7, v32, v42
	v_fmac_f32_e32 v39, v33, v42
	;; [unrolled: 1-line block ×3, first 2 shown]
	v_fma_f32 v36, -v33, v43, v7
	v_fmac_f32_e32 v39, v32, v43
	v_fma_f32 v32, -v35, v43, v6
	global_load_dwordx4 v[4:7], v[21:22], off offset:64
	global_load_dwordx4 v[0:3], v[48:49], off offset:16
	v_fmac_f32_e32 v38, v35, v42
	v_fmac_f32_e32 v38, v34, v43
	s_waitcnt vmcnt(0)
	v_fmac_f32_e32 v27, v4, v0
	v_fmac_f32_e32 v23, v5, v0
	;; [unrolled: 1-line block ×4, first 2 shown]
	v_fma_f32 v28, -v5, v1, v27
	v_fmac_f32_e32 v23, v4, v1
	v_fma_f32 v30, -v7, v1, v29
	v_fmac_f32_e32 v24, v6, v1
	global_load_dwordx4 v[4:7], v[21:22], off offset:112
	global_load_dword v33, v[25:26], off offset:-256
	v_fmac_f32_e32 v38, v47, v0
	v_fmac_f32_e32 v36, v44, v0
	;; [unrolled: 1-line block ×4, first 2 shown]
	v_fma_f32 v35, -v45, v1, v36
	v_fma_f32 v36, -v47, v1, v32
	v_add_co_u32_e32 v27, vcc, s9, v21
	v_fmac_f32_e32 v39, v45, v0
	v_add_co_u32_e64 v29, s[0:1], s14, v21
	v_fmac_f32_e32 v28, v8, v2
	v_fmac_f32_e32 v30, v10, v2
	v_add_co_u32_e64 v0, s[2:3], s15, v21
	v_fmac_f32_e32 v39, v44, v1
	v_fmac_f32_e32 v24, v11, v2
	v_fma_f32 v40, -v9, v3, v28
	v_fma_f32 v41, -v11, v3, v30
	v_addc_co_u32_e32 v28, vcc, 0, v22, vcc
	v_addc_co_u32_e64 v30, vcc, 0, v22, s[0:1]
	v_addc_co_u32_e64 v1, vcc, 0, v22, s[2:3]
	v_fmac_f32_e32 v24, v10, v3
	v_fmac_f32_e32 v23, v9, v2
	;; [unrolled: 1-line block ×3, first 2 shown]
	global_load_dword v34, v[25:26], off
	global_load_dword v32, v[25:26], off offset:256
	s_waitcnt vmcnt(3)
	v_fmac_f32_e32 v38, v7, v2
	v_fmac_f32_e32 v36, v6, v2
	;; [unrolled: 1-line block ×3, first 2 shown]
	s_waitcnt vmcnt(2)
	v_subrev_u32_e32 v6, s16, v33
	v_lshlrev_b32_e32 v6, 2, v6
	v_fma_f32 v36, -v7, v3, v36
	v_ashrrev_i32_e32 v7, 31, v6
	v_lshlrev_b64 v[6:7], 3, v[6:7]
	v_fmac_f32_e32 v35, v4, v2
	v_add_co_u32_e32 v10, vcc, s8, v6
	v_fmac_f32_e32 v39, v5, v2
	v_addc_co_u32_e32 v11, vcc, v31, v7, vcc
	v_fma_f32 v35, -v5, v3, v35
	v_fmac_f32_e32 v39, v4, v3
	global_load_dwordx4 v[2:5], v[27:28], off
	global_load_dwordx4 v[6:9], v[10:11], off
	s_waitcnt vmcnt(0)
	v_fmac_f32_e32 v40, v2, v6
	v_fmac_f32_e32 v23, v3, v6
	v_fmac_f32_e32 v41, v4, v6
	v_fmac_f32_e32 v24, v5, v6
	v_fma_f32 v33, -v3, v7, v40
	v_fmac_f32_e32 v23, v2, v7
	v_fma_f32 v40, -v5, v7, v41
	v_fmac_f32_e32 v24, v4, v7
	global_load_dwordx4 v[2:5], v[27:28], off offset:16
	s_waitcnt vmcnt(0)
	v_fmac_f32_e32 v35, v2, v6
	v_fmac_f32_e32 v39, v3, v6
	v_fmac_f32_e32 v36, v4, v6
	v_fmac_f32_e32 v38, v5, v6
	v_fma_f32 v6, -v3, v7, v35
	v_fmac_f32_e32 v39, v2, v7
	v_fma_f32 v35, -v5, v7, v36
	v_fmac_f32_e32 v38, v4, v7
	global_load_dwordx4 v[2:5], v[27:28], off offset:32
	;; [unrolled: 10-line block ×4, first 2 shown]
	global_load_dwordx4 v[6:9], v[10:11], off offset:16
	s_waitcnt vmcnt(0)
	v_fmac_f32_e32 v33, v2, v6
	v_fmac_f32_e32 v23, v3, v6
	v_fmac_f32_e32 v36, v4, v6
	v_fmac_f32_e32 v24, v5, v6
	v_fma_f32 v10, -v3, v7, v33
	v_fmac_f32_e32 v23, v2, v7
	v_fma_f32 v11, -v5, v7, v36
	v_fmac_f32_e32 v24, v4, v7
	global_load_dwordx4 v[2:5], v[27:28], off offset:80
	s_waitcnt vmcnt(0)
	v_fmac_f32_e32 v40, v2, v6
	v_fmac_f32_e32 v39, v3, v6
	;; [unrolled: 1-line block ×4, first 2 shown]
	v_fma_f32 v6, -v3, v7, v40
	v_fmac_f32_e32 v39, v2, v7
	v_fma_f32 v33, -v5, v7, v35
	v_fmac_f32_e32 v38, v4, v7
	global_load_dwordx4 v[2:5], v[27:28], off offset:96
	global_load_dwordx4 v[40:43], v[27:28], off offset:112
	s_waitcnt vmcnt(1)
	v_fmac_f32_e32 v10, v2, v8
	v_fma_f32 v27, -v3, v9, v10
	v_subrev_u32_e32 v10, s16, v34
	v_fmac_f32_e32 v11, v4, v8
	v_lshlrev_b32_e32 v10, 2, v10
	v_fma_f32 v28, -v5, v9, v11
	v_ashrrev_i32_e32 v11, 31, v10
	v_lshlrev_b64 v[10:11], 3, v[10:11]
	v_fmac_f32_e32 v23, v3, v8
	v_add_co_u32_e32 v10, vcc, s8, v10
	v_fmac_f32_e32 v24, v5, v8
	s_waitcnt vmcnt(0)
	v_fmac_f32_e32 v6, v40, v8
	v_fmac_f32_e32 v39, v41, v8
	;; [unrolled: 1-line block ×4, first 2 shown]
	v_addc_co_u32_e32 v11, vcc, v31, v11, vcc
	v_fmac_f32_e32 v23, v2, v9
	v_fmac_f32_e32 v24, v4, v9
	global_load_dwordx4 v[2:5], v[29:30], off
	v_fma_f32 v41, -v41, v9, v6
	v_fmac_f32_e32 v39, v40, v9
	v_fma_f32 v40, -v43, v9, v33
	v_fmac_f32_e32 v38, v42, v9
	global_load_dwordx4 v[6:9], v[29:30], off offset:16
	global_load_dwordx4 v[33:36], v[10:11], off
	s_waitcnt vmcnt(0)
	v_fmac_f32_e32 v27, v2, v33
	v_fmac_f32_e32 v23, v3, v33
	;; [unrolled: 1-line block ×8, first 2 shown]
	v_fma_f32 v27, -v3, v34, v27
	v_fmac_f32_e32 v23, v2, v34
	v_fma_f32 v28, -v5, v34, v28
	v_fmac_f32_e32 v24, v4, v34
	global_load_dwordx4 v[2:5], v[29:30], off offset:32
	v_fma_f32 v33, -v7, v34, v41
	v_fmac_f32_e32 v39, v6, v34
	v_fma_f32 v40, -v9, v34, v40
	v_fmac_f32_e32 v38, v8, v34
	global_load_dwordx4 v[6:9], v[29:30], off offset:48
	s_waitcnt vmcnt(1)
	v_fmac_f32_e32 v27, v2, v35
	v_fmac_f32_e32 v23, v3, v35
	;; [unrolled: 1-line block ×4, first 2 shown]
	v_fma_f32 v27, -v3, v36, v27
	s_waitcnt vmcnt(0)
	v_fmac_f32_e32 v33, v6, v35
	v_fmac_f32_e32 v39, v7, v35
	;; [unrolled: 1-line block ×5, first 2 shown]
	v_fma_f32 v28, -v5, v36, v28
	v_fmac_f32_e32 v24, v4, v36
	global_load_dwordx4 v[2:5], v[29:30], off offset:80
	v_fma_f32 v44, -v7, v36, v33
	v_fmac_f32_e32 v39, v6, v36
	v_fma_f32 v45, -v9, v36, v40
	v_fmac_f32_e32 v38, v8, v36
	global_load_dwordx4 v[6:9], v[29:30], off offset:64
	global_load_dwordx4 v[33:36], v[10:11], off offset:16
	s_waitcnt vmcnt(0)
	v_fmac_f32_e32 v27, v6, v33
	v_fmac_f32_e32 v23, v7, v33
	;; [unrolled: 1-line block ×4, first 2 shown]
	v_fma_f32 v10, -v7, v34, v27
	v_fmac_f32_e32 v23, v6, v34
	v_fma_f32 v11, -v9, v34, v28
	v_fmac_f32_e32 v24, v8, v34
	global_load_dwordx4 v[6:9], v[29:30], off offset:96
	global_load_dwordx4 v[40:43], v[29:30], off offset:112
	v_fmac_f32_e32 v44, v2, v33
	v_fmac_f32_e32 v39, v3, v33
	;; [unrolled: 1-line block ×4, first 2 shown]
	v_fma_f32 v27, -v3, v34, v44
	v_fmac_f32_e32 v39, v2, v34
	v_fma_f32 v28, -v5, v34, v45
	v_fmac_f32_e32 v38, v4, v34
	global_load_dwordx4 v[2:5], v[0:1], off
	s_waitcnt vmcnt(2)
	v_fmac_f32_e32 v10, v6, v35
	v_fma_f32 v33, -v7, v36, v10
	v_subrev_u32_e32 v10, s16, v32
	v_fmac_f32_e32 v11, v8, v35
	v_lshlrev_b32_e32 v10, 2, v10
	v_fma_f32 v34, -v9, v36, v11
	v_ashrrev_i32_e32 v11, 31, v10
	v_lshlrev_b64 v[10:11], 3, v[10:11]
	v_fmac_f32_e32 v23, v7, v35
	v_add_co_u32_e32 v10, vcc, s8, v10
	v_fmac_f32_e32 v24, v9, v35
	s_waitcnt vmcnt(1)
	v_fmac_f32_e32 v27, v40, v35
	v_fmac_f32_e32 v28, v42, v35
	v_addc_co_u32_e32 v11, vcc, v31, v11, vcc
	v_fmac_f32_e32 v23, v6, v36
	v_fmac_f32_e32 v24, v8, v36
	global_load_dwordx4 v[6:9], v[0:1], off offset:16
	v_fmac_f32_e32 v39, v41, v35
	v_fmac_f32_e32 v38, v43, v35
	v_fma_f32 v32, -v41, v36, v27
	v_fma_f32 v35, -v43, v36, v28
	global_load_dwordx4 v[27:30], v[10:11], off
	v_fmac_f32_e32 v39, v40, v36
	v_fmac_f32_e32 v38, v42, v36
	v_add_co_u32_e32 v17, vcc, 0x100, v17
	s_mov_b64 s[0:1], vcc
	v_add_co_u32_e32 v25, vcc, 0x400, v25
	s_mov_b64 s[2:3], vcc
	v_addc_co_u32_e64 v18, vcc, 0, v18, s[0:1]
	v_addc_co_u32_e64 v26, s[0:1], 0, v26, s[2:3]
	v_cmp_ge_i64_e64 s[0:1], v[17:18], v[19:20]
	v_add_co_u32_e32 v21, vcc, 0x8000, v21
	v_addc_co_u32_e32 v22, vcc, 0, v22, vcc
	s_or_b64 s[12:13], s[0:1], s[12:13]
	s_waitcnt vmcnt(0)
	v_fmac_f32_e32 v33, v2, v27
	v_fmac_f32_e32 v23, v3, v27
	;; [unrolled: 1-line block ×8, first 2 shown]
	v_fma_f32 v33, -v3, v28, v33
	v_fmac_f32_e32 v23, v2, v28
	v_fma_f32 v34, -v5, v28, v34
	v_fmac_f32_e32 v24, v4, v28
	global_load_dwordx4 v[2:5], v[0:1], off offset:32
	v_fma_f32 v27, -v7, v28, v32
	v_fmac_f32_e32 v39, v6, v28
	v_fma_f32 v32, -v9, v28, v35
	v_fmac_f32_e32 v38, v8, v28
	global_load_dwordx4 v[6:9], v[0:1], off offset:48
	s_waitcnt vmcnt(1)
	v_fmac_f32_e32 v33, v2, v29
	v_fmac_f32_e32 v23, v3, v29
	;; [unrolled: 1-line block ×4, first 2 shown]
	v_fma_f32 v36, -v3, v30, v33
	s_waitcnt vmcnt(0)
	v_fmac_f32_e32 v27, v6, v29
	v_fmac_f32_e32 v39, v7, v29
	;; [unrolled: 1-line block ×5, first 2 shown]
	v_fma_f32 v40, -v5, v30, v34
	v_fmac_f32_e32 v24, v4, v30
	global_load_dwordx4 v[2:5], v[0:1], off offset:96
	v_fma_f32 v41, -v7, v30, v27
	v_fmac_f32_e32 v39, v6, v30
	v_fma_f32 v42, -v9, v30, v32
	v_fmac_f32_e32 v38, v8, v30
	global_load_dwordx4 v[6:9], v[0:1], off offset:80
	global_load_dwordx4 v[27:30], v[0:1], off offset:64
	;; [unrolled: 1-line block ×3, first 2 shown]
	s_waitcnt vmcnt(0)
	v_fmac_f32_e32 v36, v27, v32
	v_fmac_f32_e32 v23, v28, v32
	;; [unrolled: 1-line block ×4, first 2 shown]
	v_fma_f32 v10, -v28, v33, v36
	v_fmac_f32_e32 v23, v27, v33
	v_fma_f32 v11, -v30, v33, v40
	v_fmac_f32_e32 v24, v29, v33
	global_load_dwordx4 v[27:30], v[0:1], off offset:112
	v_fmac_f32_e32 v41, v6, v32
	v_fmac_f32_e32 v39, v7, v32
	;; [unrolled: 1-line block ×4, first 2 shown]
	v_fma_f32 v0, -v7, v33, v41
	v_fmac_f32_e32 v39, v6, v33
	v_fma_f32 v1, -v9, v33, v42
	v_fmac_f32_e32 v38, v8, v33
	v_fmac_f32_e32 v10, v2, v34
	;; [unrolled: 1-line block ×5, first 2 shown]
	v_fma_f32 v7, -v3, v35, v10
	v_fmac_f32_e32 v23, v2, v35
	v_fma_f32 v9, -v5, v35, v11
	v_fmac_f32_e32 v24, v4, v35
	s_waitcnt vmcnt(0)
	v_fmac_f32_e32 v0, v27, v34
	v_fmac_f32_e32 v39, v28, v34
	;; [unrolled: 1-line block ×4, first 2 shown]
	v_fma_f32 v8, -v28, v35, v0
	v_fmac_f32_e32 v39, v27, v35
	v_fma_f32 v6, -v30, v35, v1
	v_fmac_f32_e32 v38, v29, v35
	s_andn2_b64 exec, exec, s[12:13]
	s_cbranch_execnz .LBB34_31
; %bb.32:
	s_or_b64 exec, exec, s[12:13]
.LBB34_33:
	s_or_b64 exec, exec, s[10:11]
.LBB34_34:
	s_or_b64 exec, exec, s[6:7]
.LBB34_35:
	v_mov_b32_dpp v0, v7 row_shr:1 row_mask:0xf bank_mask:0xf
	v_add_f32_e32 v0, v7, v0
	v_mov_b32_dpp v2, v23 row_shr:1 row_mask:0xf bank_mask:0xf
	v_mov_b32_dpp v4, v9 row_shr:1 row_mask:0xf bank_mask:0xf
	;; [unrolled: 1-line block ×7, first 2 shown]
	v_add_f32_e32 v2, v23, v2
	v_add_f32_e32 v4, v9, v4
	v_add_f32_e32 v7, v24, v7
	v_add_f32_e32 v8, v8, v10
	v_add_f32_e32 v11, v39, v11
	v_add_f32_e32 v6, v6, v18
	v_add_f32_e32 v19, v38, v19
	v_mov_b32_dpp v1, v0 row_shr:2 row_mask:0xf bank_mask:0xf
	v_mov_b32_dpp v3, v2 row_shr:2 row_mask:0xf bank_mask:0xf
	v_mov_b32_dpp v5, v4 row_shr:2 row_mask:0xf bank_mask:0xf
	v_mov_b32_dpp v9, v7 row_shr:2 row_mask:0xf bank_mask:0xf
	v_mov_b32_dpp v10, v8 row_shr:2 row_mask:0xf bank_mask:0xf
	v_mov_b32_dpp v17, v11 row_shr:2 row_mask:0xf bank_mask:0xf
	v_mov_b32_dpp v18, v6 row_shr:2 row_mask:0xf bank_mask:0xf
	v_mov_b32_dpp v20, v19 row_shr:2 row_mask:0xf bank_mask:0xf
	v_add_f32_e32 v0, v0, v1
	v_add_f32_e32 v2, v2, v3
	v_add_f32_e32 v4, v4, v5
	v_add_f32_e32 v7, v7, v9
	v_add_f32_e32 v8, v8, v10
	v_add_f32_e32 v11, v11, v17
	v_add_f32_e32 v6, v6, v18
	v_add_f32_e32 v19, v19, v20
	v_mov_b32_dpp v1, v0 row_shr:4 row_mask:0xf bank_mask:0xe
	v_mov_b32_dpp v3, v2 row_shr:4 row_mask:0xf bank_mask:0xe
	v_mov_b32_dpp v5, v4 row_shr:4 row_mask:0xf bank_mask:0xe
	v_mov_b32_dpp v9, v7 row_shr:4 row_mask:0xf bank_mask:0xe
	v_mov_b32_dpp v10, v8 row_shr:4 row_mask:0xf bank_mask:0xe
	v_mov_b32_dpp v17, v11 row_shr:4 row_mask:0xf bank_mask:0xe
	v_mov_b32_dpp v18, v6 row_shr:4 row_mask:0xf bank_mask:0xe
	v_mov_b32_dpp v20, v19 row_shr:4 row_mask:0xf bank_mask:0xe
	v_add_f32_e32 v0, v0, v1
	;; [unrolled: 16-line block ×3, first 2 shown]
	v_add_f32_e32 v2, v2, v3
	v_add_f32_e32 v4, v4, v5
	;; [unrolled: 1-line block ×7, first 2 shown]
	v_mov_b32_dpp v1, v0 row_bcast:15 row_mask:0xa bank_mask:0xf
	v_mov_b32_dpp v3, v2 row_bcast:15 row_mask:0xa bank_mask:0xf
	v_mov_b32_dpp v5, v4 row_bcast:15 row_mask:0xa bank_mask:0xf
	v_mov_b32_dpp v9, v7 row_bcast:15 row_mask:0xa bank_mask:0xf
	v_mov_b32_dpp v10, v8 row_bcast:15 row_mask:0xa bank_mask:0xf
	v_mov_b32_dpp v17, v11 row_bcast:15 row_mask:0xa bank_mask:0xf
	v_mov_b32_dpp v18, v6 row_bcast:15 row_mask:0xa bank_mask:0xf
	v_mov_b32_dpp v20, v19 row_bcast:15 row_mask:0xa bank_mask:0xf
	v_add_f32_e32 v0, v0, v1
	v_add_f32_e32 v2, v2, v3
	;; [unrolled: 1-line block ×8, first 2 shown]
	v_mov_b32_dpp v1, v0 row_bcast:31 row_mask:0xc bank_mask:0xf
	v_mov_b32_dpp v3, v2 row_bcast:31 row_mask:0xc bank_mask:0xf
	;; [unrolled: 1-line block ×8, first 2 shown]
	v_cmp_eq_u32_e32 vcc, 63, v37
	s_and_b64 exec, exec, vcc
	s_cbranch_execz .LBB34_8
; %bb.36:
	s_load_dwordx2 s[2:3], s[4:5], 0x50
	v_add_f32_e32 v21, v0, v1
	v_add_f32_e32 v0, v2, v3
	;; [unrolled: 1-line block ×8, first 2 shown]
	v_cmp_eq_f32_e32 vcc, 0, v12
	v_cmp_eq_f32_e64 s[0:1], 0, v13
	v_mul_f32_e64 v4, v0, -v15
	v_mul_f32_e32 v5, v14, v0
	v_mul_f32_e64 v6, v1, -v15
	v_mul_f32_e32 v7, v14, v1
	;; [unrolled: 2-line block ×4, first 2 shown]
	s_and_b64 s[0:1], vcc, s[0:1]
	v_fmac_f32_e32 v4, v14, v21
	v_fmac_f32_e32 v5, v15, v21
	v_lshlrev_b32_e32 v8, 2, v16
	v_fmac_f32_e32 v6, v14, v22
	v_fmac_f32_e32 v7, v15, v22
	;; [unrolled: 1-line block ×6, first 2 shown]
	s_and_saveexec_b64 s[4:5], s[0:1]
	s_xor_b64 s[0:1], exec, s[4:5]
	s_cbranch_execz .LBB34_38
; %bb.37:
	v_ashrrev_i32_e32 v9, 31, v8
	v_lshlrev_b64 v[8:9], 3, v[8:9]
	s_waitcnt lgkmcnt(0)
	v_mov_b32_e32 v10, s3
	v_add_co_u32_e32 v8, vcc, s2, v8
	v_addc_co_u32_e32 v9, vcc, v10, v9, vcc
	global_store_dwordx4 v[8:9], v[4:7], off
	global_store_dwordx4 v[8:9], v[0:3], off offset:16
                                        ; implicit-def: $vgpr12_vgpr13
                                        ; implicit-def: $vgpr4
                                        ; implicit-def: $vgpr8
                                        ; implicit-def: $vgpr0
.LBB34_38:
	s_andn2_saveexec_b64 s[0:1], s[0:1]
	s_cbranch_execz .LBB34_8
; %bb.39:
	v_ashrrev_i32_e32 v9, 31, v8
	v_lshlrev_b64 v[8:9], 3, v[8:9]
	s_waitcnt lgkmcnt(0)
	v_mov_b32_e32 v10, s3
	v_add_co_u32_e32 v18, vcc, s2, v8
	v_addc_co_u32_e32 v19, vcc, v10, v9, vcc
	global_load_dwordx4 v[8:11], v[18:19], off
	global_load_dwordx4 v[14:17], v[18:19], off offset:16
	s_waitcnt vmcnt(1)
	v_fmac_f32_e32 v4, v12, v8
	v_fmac_f32_e32 v5, v13, v8
	;; [unrolled: 1-line block ×4, first 2 shown]
	s_waitcnt vmcnt(0)
	v_fmac_f32_e32 v0, v12, v14
	v_fmac_f32_e32 v1, v13, v14
	;; [unrolled: 1-line block ×4, first 2 shown]
	v_fma_f32 v4, -v13, v9, v4
	v_fmac_f32_e32 v5, v12, v9
	v_fma_f32 v6, -v13, v11, v6
	v_fmac_f32_e32 v7, v12, v11
	;; [unrolled: 2-line block ×4, first 2 shown]
	global_store_dwordx4 v[18:19], v[4:7], off
	global_store_dwordx4 v[18:19], v[0:3], off offset:16
	s_endpgm
	.section	.rodata,"a",@progbits
	.p2align	6, 0x0
	.amdhsa_kernel _ZN9rocsparseL18bsrxmvn_4x4_kernelILj128ELj64E21rocsparse_complex_numIfEliS2_S2_S2_EEvT3_20rocsparse_direction_NS_24const_host_device_scalarIT1_EES3_PKS3_PKT2_SC_S9_PKT4_PKT5_S7_PT6_21rocsparse_index_base_b
		.amdhsa_group_segment_fixed_size 0
		.amdhsa_private_segment_fixed_size 0
		.amdhsa_kernarg_size 96
		.amdhsa_user_sgpr_count 6
		.amdhsa_user_sgpr_private_segment_buffer 1
		.amdhsa_user_sgpr_dispatch_ptr 0
		.amdhsa_user_sgpr_queue_ptr 0
		.amdhsa_user_sgpr_kernarg_segment_ptr 1
		.amdhsa_user_sgpr_dispatch_id 0
		.amdhsa_user_sgpr_flat_scratch_init 0
		.amdhsa_user_sgpr_private_segment_size 0
		.amdhsa_uses_dynamic_stack 0
		.amdhsa_system_sgpr_private_segment_wavefront_offset 0
		.amdhsa_system_sgpr_workgroup_id_x 1
		.amdhsa_system_sgpr_workgroup_id_y 0
		.amdhsa_system_sgpr_workgroup_id_z 0
		.amdhsa_system_sgpr_workgroup_info 0
		.amdhsa_system_vgpr_workitem_id 0
		.amdhsa_next_free_vgpr 61
		.amdhsa_next_free_sgpr 22
		.amdhsa_reserve_vcc 1
		.amdhsa_reserve_flat_scratch 0
		.amdhsa_float_round_mode_32 0
		.amdhsa_float_round_mode_16_64 0
		.amdhsa_float_denorm_mode_32 3
		.amdhsa_float_denorm_mode_16_64 3
		.amdhsa_dx10_clamp 1
		.amdhsa_ieee_mode 1
		.amdhsa_fp16_overflow 0
		.amdhsa_exception_fp_ieee_invalid_op 0
		.amdhsa_exception_fp_denorm_src 0
		.amdhsa_exception_fp_ieee_div_zero 0
		.amdhsa_exception_fp_ieee_overflow 0
		.amdhsa_exception_fp_ieee_underflow 0
		.amdhsa_exception_fp_ieee_inexact 0
		.amdhsa_exception_int_div_zero 0
	.end_amdhsa_kernel
	.section	.text._ZN9rocsparseL18bsrxmvn_4x4_kernelILj128ELj64E21rocsparse_complex_numIfEliS2_S2_S2_EEvT3_20rocsparse_direction_NS_24const_host_device_scalarIT1_EES3_PKS3_PKT2_SC_S9_PKT4_PKT5_S7_PT6_21rocsparse_index_base_b,"axG",@progbits,_ZN9rocsparseL18bsrxmvn_4x4_kernelILj128ELj64E21rocsparse_complex_numIfEliS2_S2_S2_EEvT3_20rocsparse_direction_NS_24const_host_device_scalarIT1_EES3_PKS3_PKT2_SC_S9_PKT4_PKT5_S7_PT6_21rocsparse_index_base_b,comdat
.Lfunc_end34:
	.size	_ZN9rocsparseL18bsrxmvn_4x4_kernelILj128ELj64E21rocsparse_complex_numIfEliS2_S2_S2_EEvT3_20rocsparse_direction_NS_24const_host_device_scalarIT1_EES3_PKS3_PKT2_SC_S9_PKT4_PKT5_S7_PT6_21rocsparse_index_base_b, .Lfunc_end34-_ZN9rocsparseL18bsrxmvn_4x4_kernelILj128ELj64E21rocsparse_complex_numIfEliS2_S2_S2_EEvT3_20rocsparse_direction_NS_24const_host_device_scalarIT1_EES3_PKS3_PKT2_SC_S9_PKT4_PKT5_S7_PT6_21rocsparse_index_base_b
                                        ; -- End function
	.set _ZN9rocsparseL18bsrxmvn_4x4_kernelILj128ELj64E21rocsparse_complex_numIfEliS2_S2_S2_EEvT3_20rocsparse_direction_NS_24const_host_device_scalarIT1_EES3_PKS3_PKT2_SC_S9_PKT4_PKT5_S7_PT6_21rocsparse_index_base_b.num_vgpr, 61
	.set _ZN9rocsparseL18bsrxmvn_4x4_kernelILj128ELj64E21rocsparse_complex_numIfEliS2_S2_S2_EEvT3_20rocsparse_direction_NS_24const_host_device_scalarIT1_EES3_PKS3_PKT2_SC_S9_PKT4_PKT5_S7_PT6_21rocsparse_index_base_b.num_agpr, 0
	.set _ZN9rocsparseL18bsrxmvn_4x4_kernelILj128ELj64E21rocsparse_complex_numIfEliS2_S2_S2_EEvT3_20rocsparse_direction_NS_24const_host_device_scalarIT1_EES3_PKS3_PKT2_SC_S9_PKT4_PKT5_S7_PT6_21rocsparse_index_base_b.numbered_sgpr, 22
	.set _ZN9rocsparseL18bsrxmvn_4x4_kernelILj128ELj64E21rocsparse_complex_numIfEliS2_S2_S2_EEvT3_20rocsparse_direction_NS_24const_host_device_scalarIT1_EES3_PKS3_PKT2_SC_S9_PKT4_PKT5_S7_PT6_21rocsparse_index_base_b.num_named_barrier, 0
	.set _ZN9rocsparseL18bsrxmvn_4x4_kernelILj128ELj64E21rocsparse_complex_numIfEliS2_S2_S2_EEvT3_20rocsparse_direction_NS_24const_host_device_scalarIT1_EES3_PKS3_PKT2_SC_S9_PKT4_PKT5_S7_PT6_21rocsparse_index_base_b.private_seg_size, 0
	.set _ZN9rocsparseL18bsrxmvn_4x4_kernelILj128ELj64E21rocsparse_complex_numIfEliS2_S2_S2_EEvT3_20rocsparse_direction_NS_24const_host_device_scalarIT1_EES3_PKS3_PKT2_SC_S9_PKT4_PKT5_S7_PT6_21rocsparse_index_base_b.uses_vcc, 1
	.set _ZN9rocsparseL18bsrxmvn_4x4_kernelILj128ELj64E21rocsparse_complex_numIfEliS2_S2_S2_EEvT3_20rocsparse_direction_NS_24const_host_device_scalarIT1_EES3_PKS3_PKT2_SC_S9_PKT4_PKT5_S7_PT6_21rocsparse_index_base_b.uses_flat_scratch, 0
	.set _ZN9rocsparseL18bsrxmvn_4x4_kernelILj128ELj64E21rocsparse_complex_numIfEliS2_S2_S2_EEvT3_20rocsparse_direction_NS_24const_host_device_scalarIT1_EES3_PKS3_PKT2_SC_S9_PKT4_PKT5_S7_PT6_21rocsparse_index_base_b.has_dyn_sized_stack, 0
	.set _ZN9rocsparseL18bsrxmvn_4x4_kernelILj128ELj64E21rocsparse_complex_numIfEliS2_S2_S2_EEvT3_20rocsparse_direction_NS_24const_host_device_scalarIT1_EES3_PKS3_PKT2_SC_S9_PKT4_PKT5_S7_PT6_21rocsparse_index_base_b.has_recursion, 0
	.set _ZN9rocsparseL18bsrxmvn_4x4_kernelILj128ELj64E21rocsparse_complex_numIfEliS2_S2_S2_EEvT3_20rocsparse_direction_NS_24const_host_device_scalarIT1_EES3_PKS3_PKT2_SC_S9_PKT4_PKT5_S7_PT6_21rocsparse_index_base_b.has_indirect_call, 0
	.section	.AMDGPU.csdata,"",@progbits
; Kernel info:
; codeLenInByte = 7148
; TotalNumSgprs: 26
; NumVgprs: 61
; ScratchSize: 0
; MemoryBound: 0
; FloatMode: 240
; IeeeMode: 1
; LDSByteSize: 0 bytes/workgroup (compile time only)
; SGPRBlocks: 3
; VGPRBlocks: 15
; NumSGPRsForWavesPerEU: 26
; NumVGPRsForWavesPerEU: 61
; Occupancy: 4
; WaveLimiterHint : 1
; COMPUTE_PGM_RSRC2:SCRATCH_EN: 0
; COMPUTE_PGM_RSRC2:USER_SGPR: 6
; COMPUTE_PGM_RSRC2:TRAP_HANDLER: 0
; COMPUTE_PGM_RSRC2:TGID_X_EN: 1
; COMPUTE_PGM_RSRC2:TGID_Y_EN: 0
; COMPUTE_PGM_RSRC2:TGID_Z_EN: 0
; COMPUTE_PGM_RSRC2:TIDIG_COMP_CNT: 0
	.section	.text._ZN9rocsparseL18bsrxmvn_4x4_kernelILj128ELj4E21rocsparse_complex_numIdEliS2_S2_S2_EEvT3_20rocsparse_direction_NS_24const_host_device_scalarIT1_EES3_PKS3_PKT2_SC_S9_PKT4_PKT5_S7_PT6_21rocsparse_index_base_b,"axG",@progbits,_ZN9rocsparseL18bsrxmvn_4x4_kernelILj128ELj4E21rocsparse_complex_numIdEliS2_S2_S2_EEvT3_20rocsparse_direction_NS_24const_host_device_scalarIT1_EES3_PKS3_PKT2_SC_S9_PKT4_PKT5_S7_PT6_21rocsparse_index_base_b,comdat
	.globl	_ZN9rocsparseL18bsrxmvn_4x4_kernelILj128ELj4E21rocsparse_complex_numIdEliS2_S2_S2_EEvT3_20rocsparse_direction_NS_24const_host_device_scalarIT1_EES3_PKS3_PKT2_SC_S9_PKT4_PKT5_S7_PT6_21rocsparse_index_base_b ; -- Begin function _ZN9rocsparseL18bsrxmvn_4x4_kernelILj128ELj4E21rocsparse_complex_numIdEliS2_S2_S2_EEvT3_20rocsparse_direction_NS_24const_host_device_scalarIT1_EES3_PKS3_PKT2_SC_S9_PKT4_PKT5_S7_PT6_21rocsparse_index_base_b
	.p2align	8
	.type	_ZN9rocsparseL18bsrxmvn_4x4_kernelILj128ELj4E21rocsparse_complex_numIdEliS2_S2_S2_EEvT3_20rocsparse_direction_NS_24const_host_device_scalarIT1_EES3_PKS3_PKT2_SC_S9_PKT4_PKT5_S7_PT6_21rocsparse_index_base_b,@function
_ZN9rocsparseL18bsrxmvn_4x4_kernelILj128ELj4E21rocsparse_complex_numIdEliS2_S2_S2_EEvT3_20rocsparse_direction_NS_24const_host_device_scalarIT1_EES3_PKS3_PKT2_SC_S9_PKT4_PKT5_S7_PT6_21rocsparse_index_base_b: ; @_ZN9rocsparseL18bsrxmvn_4x4_kernelILj128ELj4E21rocsparse_complex_numIdEliS2_S2_S2_EEvT3_20rocsparse_direction_NS_24const_host_device_scalarIT1_EES3_PKS3_PKT2_SC_S9_PKT4_PKT5_S7_PT6_21rocsparse_index_base_b
; %bb.0:
	s_load_dwordx2 s[0:1], s[4:5], 0x8
	s_load_dwordx2 s[16:17], s[4:5], 0x68
	s_add_u32 s7, s4, 8
	s_addc_u32 s8, s5, 0
	s_add_u32 s9, s4, 0x50
	s_addc_u32 s10, s5, 0
	s_waitcnt lgkmcnt(0)
	s_bitcmp1_b32 s17, 0
	s_cselect_b32 s1, s8, s1
	s_cselect_b32 s0, s7, s0
	v_mov_b32_e32 v1, s0
	v_mov_b32_e32 v2, s1
	flat_load_dwordx4 v[5:8], v[1:2]
	s_load_dwordx2 s[2:3], s[4:5], 0x50
	s_waitcnt lgkmcnt(0)
	s_cselect_b32 s0, s10, s3
	s_cselect_b32 s1, s9, s2
	v_mov_b32_e32 v1, s1
	v_mov_b32_e32 v2, s0
	flat_load_dwordx4 v[1:4], v[1:2]
	s_waitcnt vmcnt(0)
	v_cmp_eq_f64_e32 vcc, 0, v[5:6]
	v_cmp_eq_f64_e64 s[0:1], 0, v[7:8]
	s_and_b64 s[8:9], vcc, s[0:1]
	s_mov_b64 s[0:1], -1
	s_and_saveexec_b64 s[2:3], s[8:9]
	s_cbranch_execz .LBB35_2
; %bb.1:
	s_waitcnt lgkmcnt(0)
	v_cmp_neq_f64_e32 vcc, 1.0, v[1:2]
	v_cmp_neq_f64_e64 s[0:1], 0, v[3:4]
	s_or_b64 s[0:1], vcc, s[0:1]
	s_orn2_b64 s[0:1], s[0:1], exec
.LBB35_2:
	s_or_b64 exec, exec, s[2:3]
	s_and_saveexec_b64 s[2:3], s[0:1]
	s_cbranch_execz .LBB35_8
; %bb.3:
	s_load_dwordx2 s[8:9], s[4:5], 0x20
	s_load_dwordx2 s[0:1], s[4:5], 0x0
	v_lshrrev_b32_e32 v9, 2, v0
	v_lshl_or_b32 v21, s6, 5, v9
	s_mov_b64 s[2:3], 0
	s_waitcnt lgkmcnt(0)
	s_cmp_lg_u64 s[8:9], 0
	s_cbranch_scc0 .LBB35_9
; %bb.4:
	s_load_dword s6, s[4:5], 0x18
                                        ; implicit-def: $vgpr9
	s_waitcnt lgkmcnt(0)
	v_cmp_gt_i32_e32 vcc, s6, v21
	s_and_saveexec_b64 s[6:7], vcc
	s_xor_b64 s[6:7], exec, s[6:7]
	s_cbranch_execz .LBB35_6
; %bb.5:
	v_ashrrev_i32_e32 v22, 31, v21
	v_lshlrev_b64 v[9:10], 2, v[21:22]
	v_mov_b32_e32 v11, s9
	v_add_co_u32_e32 v9, vcc, s8, v9
	v_addc_co_u32_e32 v10, vcc, v11, v10, vcc
	global_load_dword v9, v[9:10], off
	s_mov_b64 s[2:3], exec
	s_waitcnt vmcnt(0)
	v_subrev_u32_e32 v9, s16, v9
.LBB35_6:
	s_or_b64 exec, exec, s[6:7]
	s_branch .LBB35_10
.LBB35_7:
	v_cmp_gt_i32_e32 vcc, s0, v21
	s_andn2_b64 s[2:3], s[2:3], exec
	s_and_b64 s[6:7], vcc, exec
	s_or_b64 s[2:3], s[2:3], s[6:7]
	s_and_b64 exec, exec, s[2:3]
	s_cbranch_execnz .LBB35_11
.LBB35_8:
	s_endpgm
.LBB35_9:
                                        ; implicit-def: $vgpr9
	s_cbranch_execnz .LBB35_7
.LBB35_10:
	v_mov_b32_e32 v21, v9
	s_and_b64 exec, exec, s[2:3]
	s_cbranch_execz .LBB35_8
.LBB35_11:
	s_load_dwordx8 s[8:15], s[4:5], 0x28
	v_ashrrev_i32_e32 v22, 31, v21
	v_lshlrev_b64 v[9:10], 3, v[21:22]
	v_and_b32_e32 v0, 3, v0
	s_waitcnt lgkmcnt(0)
	v_mov_b32_e32 v12, s9
	v_add_co_u32_e32 v11, vcc, s8, v9
	v_addc_co_u32_e32 v12, vcc, v12, v10, vcc
	global_load_dwordx2 v[15:16], v[11:12], off
	v_add_co_u32_e32 v11, vcc, 8, v11
	v_addc_co_u32_e32 v12, vcc, 0, v12, vcc
	v_mov_b32_e32 v13, s11
	v_add_co_u32_e32 v9, vcc, s10, v9
	s_cmp_eq_u64 s[10:11], 0
	v_addc_co_u32_e32 v10, vcc, v13, v10, vcc
	s_cselect_b64 vcc, -1, 0
	v_cndmask_b32_e32 v10, v10, v12, vcc
	v_cndmask_b32_e32 v9, v9, v11, vcc
	global_load_dwordx2 v[11:12], v[9:10], off
	s_load_dwordx2 s[10:11], s[4:5], 0x48
	v_mov_b32_e32 v17, s15
	s_cmp_eq_u32 s1, 1
	s_waitcnt vmcnt(1)
	v_subrev_co_u32_e32 v9, vcc, s16, v15
	v_subbrev_co_u32_e32 v10, vcc, 0, v16, vcc
	v_add_co_u32_e32 v9, vcc, v9, v0
	v_addc_co_u32_e32 v10, vcc, 0, v10, vcc
	v_lshlrev_b64 v[13:14], 8, v[9:10]
	s_waitcnt vmcnt(0)
	v_subrev_co_u32_e32 v11, vcc, s16, v11
	v_subbrev_co_u32_e32 v12, vcc, 0, v12, vcc
	v_cmp_lt_i64_e64 s[0:1], v[9:10], v[11:12]
	v_add_co_u32_e32 v13, vcc, s14, v13
	v_addc_co_u32_e32 v14, vcc, v17, v14, vcc
	s_cbranch_scc1 .LBB35_23
; %bb.12:
	v_mov_b32_e32 v26, 0
	v_mov_b32_e32 v32, 0
	;; [unrolled: 1-line block ×16, first 2 shown]
	s_and_saveexec_b64 s[14:15], s[0:1]
	s_cbranch_execz .LBB35_22
; %bb.13:
	v_or_b32_e32 v17, 4, v0
	v_subrev_co_u32_e32 v17, vcc, s16, v17
	v_subb_co_u32_e64 v18, s[2:3], 0, 0, vcc
	v_add_co_u32_e32 v17, vcc, v17, v15
	v_addc_co_u32_e32 v18, vcc, v18, v16, vcc
	v_cmp_gt_i64_e32 vcc, v[17:18], v[11:12]
	v_not_b32_e32 v20, v15
	v_cndmask_b32_e32 v18, v12, v18, vcc
	v_cndmask_b32_e32 v17, v11, v17, vcc
	v_sub_co_u32_e32 v22, vcc, s16, v0
	v_not_b32_e32 v19, v16
	v_subb_co_u32_e64 v23, s[2:3], 0, 0, vcc
	v_add_co_u32_e32 v20, vcc, v22, v20
	v_addc_co_u32_e32 v19, vcc, v23, v19, vcc
	v_add_co_u32_e32 v22, vcc, v20, v17
	v_addc_co_u32_e32 v23, vcc, v19, v18, vcc
	v_and_b32_e32 v17, 12, v22
	v_mov_b32_e32 v18, 0
	v_cmp_ne_u64_e32 vcc, 12, v[17:18]
	v_mov_b32_e32 v30, 0
	v_mov_b32_e32 v34, 0
	;; [unrolled: 1-line block ×20, first 2 shown]
	s_and_saveexec_b64 s[18:19], vcc
	s_cbranch_execz .LBB35_17
; %bb.14:
	v_lshrrev_b32_e32 v17, 2, v22
	v_add_u32_e32 v17, 1, v17
	v_and_b32_e32 v19, 3, v17
	v_lshlrev_b64 v[17:18], 2, v[9:10]
	v_mov_b32_e32 v20, s13
	v_add_co_u32_e32 v40, vcc, s12, v17
	v_addc_co_u32_e32 v41, vcc, v20, v18, vcc
	v_sub_co_u32_e32 v42, vcc, 0, v19
	v_mov_b32_e32 v26, 0
	v_mov_b32_e32 v18, v10
	;; [unrolled: 1-line block ×10, first 2 shown]
	s_mov_b64 s[20:21], 0
	v_subb_co_u32_e64 v43, s[2:3], 0, 0, vcc
	v_mov_b32_e32 v27, 0
	s_movk_i32 s17, 0x400
	s_waitcnt lgkmcnt(0)
	v_mov_b32_e32 v44, s11
	v_mov_b32_e32 v17, v9
	;; [unrolled: 1-line block ×10, first 2 shown]
.LBB35_15:                              ; =>This Inner Loop Header: Depth=1
	global_load_dword v65, v[40:41], off
	global_load_dwordx4 v[45:48], v[19:20], off
	global_load_dwordx4 v[49:52], v[19:20], off offset:64
	global_load_dwordx4 v[53:56], v[19:20], off offset:128
	;; [unrolled: 1-line block ×4, first 2 shown]
	v_add_co_u32_e64 v17, s[2:3], 4, v17
	v_add_co_u32_e64 v40, s[6:7], 16, v40
	;; [unrolled: 1-line block ×3, first 2 shown]
	v_addc_co_u32_e64 v18, s[2:3], 0, v18, s[2:3]
	v_addc_co_u32_e64 v41, s[2:3], 0, v41, s[6:7]
	;; [unrolled: 1-line block ×3, first 2 shown]
	v_cmp_eq_u64_e64 s[2:3], 0, v[42:43]
	s_or_b64 s[20:21], s[2:3], s[20:21]
	s_waitcnt vmcnt(5)
	v_subrev_u32_e32 v65, s16, v65
	v_lshlrev_b32_e32 v65, 2, v65
	v_ashrrev_i32_e32 v66, 31, v65
	v_lshlrev_b64 v[65:66], 4, v[65:66]
	v_add_co_u32_e32 v69, vcc, s10, v65
	v_addc_co_u32_e32 v70, vcc, v44, v66, vcc
	global_load_dwordx4 v[65:68], v[69:70], off
	s_waitcnt vmcnt(0)
	v_fma_f64 v[26:27], v[47:48], v[65:66], v[26:27]
	v_fma_f64 v[32:33], v[45:46], v[65:66], v[32:33]
	;; [unrolled: 1-line block ×8, first 2 shown]
	v_fma_f64 v[71:72], -v[47:48], v[67:68], v[32:33]
	global_load_dwordx4 v[45:48], v[19:20], off offset:80
	v_fma_f64 v[77:78], v[49:50], v[67:68], v[30:31]
	global_load_dwordx4 v[30:33], v[19:20], off offset:144
	v_fma_f64 v[79:80], v[53:54], v[67:68], v[24:25]
	v_fma_f64 v[57:58], v[57:58], v[67:68], v[36:37]
	v_fma_f64 v[75:76], -v[51:52], v[67:68], v[26:27]
	v_fma_f64 v[26:27], v[53:54], v[65:66], v[28:29]
	v_fma_f64 v[38:39], -v[59:60], v[67:68], v[34:35]
	v_fma_f64 v[28:29], -v[55:56], v[67:68], v[26:27]
	global_load_dwordx4 v[24:27], v[19:20], off offset:208
	global_load_dwordx4 v[34:37], v[19:20], off offset:32
	;; [unrolled: 1-line block ×3, first 2 shown]
	s_waitcnt vmcnt(0)
	v_fma_f64 v[53:54], v[61:62], v[49:50], v[71:72]
	v_fma_f64 v[55:56], v[63:64], v[49:50], v[73:74]
	v_fma_f64 v[65:66], v[47:48], v[49:50], v[77:78]
	v_fma_f64 v[28:29], v[30:31], v[49:50], v[28:29]
	v_fma_f64 v[67:68], v[32:33], v[49:50], v[79:80]
	v_fma_f64 v[38:39], v[24:25], v[49:50], v[38:39]
	v_fma_f64 v[59:60], -v[63:64], v[51:52], v[53:54]
	v_fma_f64 v[63:64], v[45:46], v[49:50], v[75:76]
	v_fma_f64 v[49:50], v[26:27], v[49:50], v[57:58]
	;; [unrolled: 1-line block ×3, first 2 shown]
	global_load_dwordx4 v[53:56], v[19:20], off offset:96
	v_fma_f64 v[65:66], v[45:46], v[51:52], v[65:66]
	v_fma_f64 v[32:33], -v[32:33], v[51:52], v[28:29]
	v_fma_f64 v[67:68], v[30:31], v[51:52], v[67:68]
	global_load_dwordx4 v[28:31], v[19:20], off offset:224
	v_fma_f64 v[63:64], -v[47:48], v[51:52], v[63:64]
	global_load_dwordx4 v[45:48], v[19:20], off offset:160
	v_fma_f64 v[71:72], -v[26:27], v[51:52], v[38:39]
	v_fma_f64 v[73:74], v[24:25], v[51:52], v[49:50]
	global_load_dwordx4 v[24:27], v[19:20], off offset:48
	global_load_dwordx4 v[49:52], v[69:70], off offset:32
	s_waitcnt vmcnt(0)
	v_fma_f64 v[57:58], v[36:37], v[49:50], v[61:62]
	v_fma_f64 v[38:39], v[34:35], v[49:50], v[59:60]
	;; [unrolled: 1-line block ×6, first 2 shown]
	v_fma_f64 v[61:62], -v[36:37], v[51:52], v[38:39]
	global_load_dwordx4 v[36:39], v[19:20], off offset:112
	v_fma_f64 v[65:66], v[53:54], v[51:52], v[59:60]
	v_fma_f64 v[32:33], -v[47:48], v[51:52], v[32:33]
	v_fma_f64 v[63:64], -v[55:56], v[51:52], v[57:58]
	v_fma_f64 v[57:58], v[47:48], v[49:50], v[67:68]
	global_load_dwordx4 v[53:56], v[19:20], off offset:176
	v_fma_f64 v[67:68], v[45:46], v[51:52], v[57:58]
	global_load_dwordx4 v[45:48], v[19:20], off offset:240
	global_load_dwordx4 v[57:60], v[69:70], off offset:48
	v_fma_f64 v[69:70], v[28:29], v[49:50], v[71:72]
	v_fma_f64 v[49:50], v[30:31], v[49:50], v[73:74]
	v_add_co_u32_e32 v19, vcc, s17, v19
	v_addc_co_u32_e32 v20, vcc, 0, v20, vcc
	v_fma_f64 v[30:31], -v[30:31], v[51:52], v[69:70]
	v_fma_f64 v[28:29], v[28:29], v[51:52], v[49:50]
	s_waitcnt vmcnt(0)
	v_fma_f64 v[49:50], v[24:25], v[57:58], v[61:62]
	v_fma_f64 v[34:35], v[26:27], v[57:58], v[34:35]
	;; [unrolled: 1-line block ×8, first 2 shown]
	v_fma_f64 v[32:33], -v[26:27], v[59:60], v[49:50]
	v_fma_f64 v[26:27], v[24:25], v[59:60], v[34:35]
	v_fma_f64 v[34:35], -v[38:39], v[59:60], v[51:52]
	v_fma_f64 v[30:31], v[36:37], v[59:60], v[61:62]
	;; [unrolled: 2-line block ×4, first 2 shown]
	s_andn2_b64 exec, exec, s[20:21]
	s_cbranch_execnz .LBB35_15
; %bb.16:
	s_or_b64 exec, exec, s[20:21]
.LBB35_17:
	s_or_b64 exec, exec, s[18:19]
	v_cmp_lt_u64_e32 vcc, 11, v[22:23]
	s_and_saveexec_b64 s[2:3], vcc
	s_cbranch_execz .LBB35_21
; %bb.18:
	v_lshlrev_b64 v[22:23], 2, v[17:18]
	v_mov_b32_e32 v40, s13
	v_add_co_u32_e32 v22, vcc, s12, v22
	v_addc_co_u32_e32 v23, vcc, v40, v23, vcc
	v_add_co_u32_e32 v22, vcc, 32, v22
	v_addc_co_u32_e32 v23, vcc, 0, v23, vcc
	s_mov_b64 s[6:7], 0
	s_waitcnt lgkmcnt(0)
	v_mov_b32_e32 v40, s11
	s_movk_i32 s8, 0x1000
.LBB35_19:                              ; =>This Inner Loop Header: Depth=1
	global_load_dword v41, v[22:23], off offset:-32
	s_waitcnt vmcnt(0)
	v_subrev_u32_e32 v41, s16, v41
	v_lshlrev_b32_e32 v57, 2, v41
	v_ashrrev_i32_e32 v58, 31, v57
	v_lshlrev_b64 v[57:58], 4, v[57:58]
	global_load_dwordx4 v[41:44], v[19:20], off offset:48
	global_load_dwordx4 v[45:48], v[19:20], off offset:32
	;; [unrolled: 1-line block ×3, first 2 shown]
	global_load_dwordx4 v[53:56], v[19:20], off
	v_add_co_u32_e32 v73, vcc, s10, v57
	v_addc_co_u32_e32 v74, vcc, v40, v58, vcc
	global_load_dwordx4 v[57:60], v[73:74], off offset:48
	global_load_dwordx4 v[61:64], v[73:74], off offset:32
	;; [unrolled: 1-line block ×3, first 2 shown]
	global_load_dwordx4 v[69:72], v[73:74], off
	s_waitcnt vmcnt(0)
	v_fma_f64 v[32:33], v[53:54], v[69:70], v[32:33]
	v_fma_f64 v[26:27], v[55:56], v[69:70], v[26:27]
	v_fma_f64 v[32:33], -v[55:56], v[71:72], v[32:33]
	v_fma_f64 v[26:27], v[53:54], v[71:72], v[26:27]
	v_fma_f64 v[32:33], v[49:50], v[65:66], v[32:33]
	v_fma_f64 v[26:27], v[51:52], v[65:66], v[26:27]
	v_fma_f64 v[32:33], -v[51:52], v[67:68], v[32:33]
	v_fma_f64 v[26:27], v[49:50], v[67:68], v[26:27]
	;; [unrolled: 4-line block ×4, first 2 shown]
	global_load_dwordx4 v[41:44], v[19:20], off offset:112
	global_load_dwordx4 v[45:48], v[19:20], off offset:96
	;; [unrolled: 1-line block ×4, first 2 shown]
	s_waitcnt vmcnt(0)
	v_fma_f64 v[26:27], v[53:54], v[69:70], v[34:35]
	v_fma_f64 v[30:31], v[55:56], v[69:70], v[30:31]
	v_fma_f64 v[26:27], -v[55:56], v[71:72], v[26:27]
	v_fma_f64 v[30:31], v[53:54], v[71:72], v[30:31]
	v_fma_f64 v[26:27], v[49:50], v[65:66], v[26:27]
	v_fma_f64 v[30:31], v[51:52], v[65:66], v[30:31]
	v_fma_f64 v[26:27], -v[51:52], v[67:68], v[26:27]
	v_fma_f64 v[30:31], v[49:50], v[67:68], v[30:31]
	;; [unrolled: 4-line block ×3, first 2 shown]
	v_fma_f64 v[26:27], v[41:42], v[57:58], v[26:27]
	v_fma_f64 v[77:78], -v[43:44], v[59:60], v[26:27]
	v_fma_f64 v[26:27], v[43:44], v[57:58], v[30:31]
	v_fma_f64 v[79:80], v[41:42], v[59:60], v[26:27]
	global_load_dwordx4 v[30:33], v[19:20], off offset:176
	global_load_dwordx4 v[41:44], v[19:20], off offset:160
	;; [unrolled: 1-line block ×4, first 2 shown]
	s_waitcnt vmcnt(0)
	v_fma_f64 v[26:27], v[49:50], v[69:70], v[28:29]
	v_fma_f64 v[24:25], v[51:52], v[69:70], v[24:25]
	v_fma_f64 v[26:27], -v[51:52], v[71:72], v[26:27]
	v_fma_f64 v[24:25], v[49:50], v[71:72], v[24:25]
	v_fma_f64 v[26:27], v[45:46], v[65:66], v[26:27]
	v_fma_f64 v[24:25], v[47:48], v[65:66], v[24:25]
	v_fma_f64 v[26:27], -v[47:48], v[67:68], v[26:27]
	v_fma_f64 v[24:25], v[45:46], v[67:68], v[24:25]
	;; [unrolled: 4-line block ×4, first 2 shown]
	global_load_dwordx4 v[24:27], v[19:20], off offset:240
	global_load_dwordx4 v[28:31], v[19:20], off offset:224
	;; [unrolled: 1-line block ×4, first 2 shown]
	s_waitcnt vmcnt(0)
	v_fma_f64 v[38:39], v[41:42], v[69:70], v[38:39]
	v_fma_f64 v[36:37], v[43:44], v[69:70], v[36:37]
	v_fma_f64 v[38:39], -v[43:44], v[71:72], v[38:39]
	v_fma_f64 v[36:37], v[41:42], v[71:72], v[36:37]
	v_fma_f64 v[38:39], v[32:33], v[65:66], v[38:39]
	v_fma_f64 v[38:39], -v[34:35], v[67:68], v[38:39]
	v_fma_f64 v[34:35], v[34:35], v[65:66], v[36:37]
	v_fma_f64 v[32:33], v[32:33], v[67:68], v[34:35]
	v_fma_f64 v[34:35], v[28:29], v[61:62], v[38:39]
	v_fma_f64 v[34:35], -v[30:31], v[63:64], v[34:35]
	v_fma_f64 v[30:31], v[30:31], v[61:62], v[32:33]
	;; [unrolled: 4-line block ×3, first 2 shown]
	v_fma_f64 v[57:58], v[24:25], v[59:60], v[26:27]
	global_load_dword v24, v[22:23], off offset:-16
	s_waitcnt vmcnt(0)
	v_subrev_u32_e32 v24, s16, v24
	v_lshlrev_b32_e32 v41, 2, v24
	v_ashrrev_i32_e32 v42, 31, v41
	v_lshlrev_b64 v[41:42], 4, v[41:42]
	global_load_dwordx4 v[24:27], v[19:20], off offset:1072
	global_load_dwordx4 v[28:31], v[19:20], off offset:1056
	;; [unrolled: 1-line block ×4, first 2 shown]
	v_add_co_u32_e32 v59, vcc, s10, v41
	v_addc_co_u32_e32 v60, vcc, v40, v42, vcc
	global_load_dwordx4 v[41:44], v[59:60], off offset:48
	global_load_dwordx4 v[45:48], v[59:60], off offset:32
	;; [unrolled: 1-line block ×3, first 2 shown]
	global_load_dwordx4 v[53:56], v[59:60], off
	s_waitcnt vmcnt(0)
	v_fma_f64 v[59:60], v[36:37], v[53:54], v[73:74]
	v_fma_f64 v[59:60], -v[38:39], v[55:56], v[59:60]
	v_fma_f64 v[38:39], v[38:39], v[53:54], v[75:76]
	v_fma_f64 v[36:37], v[36:37], v[55:56], v[38:39]
	v_fma_f64 v[38:39], v[32:33], v[49:50], v[59:60]
	v_fma_f64 v[38:39], -v[34:35], v[51:52], v[38:39]
	v_fma_f64 v[34:35], v[34:35], v[49:50], v[36:37]
	v_fma_f64 v[32:33], v[32:33], v[51:52], v[34:35]
	v_fma_f64 v[34:35], v[28:29], v[45:46], v[38:39]
	v_fma_f64 v[34:35], -v[30:31], v[47:48], v[34:35]
	v_fma_f64 v[30:31], v[30:31], v[45:46], v[32:33]
	v_fma_f64 v[28:29], v[28:29], v[47:48], v[30:31]
	v_fma_f64 v[30:31], v[24:25], v[41:42], v[34:35]
	v_fma_f64 v[59:60], -v[26:27], v[43:44], v[30:31]
	v_fma_f64 v[26:27], v[26:27], v[41:42], v[28:29]
	v_fma_f64 v[63:64], v[24:25], v[43:44], v[26:27]
	global_load_dwordx4 v[24:27], v[19:20], off offset:1136
	global_load_dwordx4 v[28:31], v[19:20], off offset:1120
	global_load_dwordx4 v[32:35], v[19:20], off offset:1104
	global_load_dwordx4 v[36:39], v[19:20], off offset:1088
	s_waitcnt vmcnt(0)
	v_fma_f64 v[65:66], v[36:37], v[53:54], v[77:78]
	v_fma_f64 v[65:66], -v[38:39], v[55:56], v[65:66]
	v_fma_f64 v[38:39], v[38:39], v[53:54], v[79:80]
	v_fma_f64 v[36:37], v[36:37], v[55:56], v[38:39]
	v_fma_f64 v[38:39], v[32:33], v[49:50], v[65:66]
	v_fma_f64 v[38:39], -v[34:35], v[51:52], v[38:39]
	v_fma_f64 v[34:35], v[34:35], v[49:50], v[36:37]
	v_fma_f64 v[32:33], v[32:33], v[51:52], v[34:35]
	v_fma_f64 v[34:35], v[28:29], v[45:46], v[38:39]
	v_fma_f64 v[34:35], -v[30:31], v[47:48], v[34:35]
	v_fma_f64 v[30:31], v[30:31], v[45:46], v[32:33]
	v_fma_f64 v[28:29], v[28:29], v[47:48], v[30:31]
	v_fma_f64 v[30:31], v[24:25], v[41:42], v[34:35]
	v_fma_f64 v[65:66], -v[26:27], v[43:44], v[30:31]
	v_fma_f64 v[26:27], v[26:27], v[41:42], v[28:29]
	v_fma_f64 v[67:68], v[24:25], v[43:44], v[26:27]
	global_load_dwordx4 v[24:27], v[19:20], off offset:1200
	global_load_dwordx4 v[28:31], v[19:20], off offset:1184
	global_load_dwordx4 v[32:35], v[19:20], off offset:1168
	global_load_dwordx4 v[36:39], v[19:20], off offset:1152
	;; [unrolled: 21-line block ×3, first 2 shown]
	s_waitcnt vmcnt(0)
	v_fma_f64 v[61:62], v[36:37], v[53:54], v[61:62]
	v_fma_f64 v[61:62], -v[38:39], v[55:56], v[61:62]
	v_fma_f64 v[38:39], v[38:39], v[53:54], v[57:58]
	v_fma_f64 v[36:37], v[36:37], v[55:56], v[38:39]
	v_fma_f64 v[38:39], v[32:33], v[49:50], v[61:62]
	v_fma_f64 v[38:39], -v[34:35], v[51:52], v[38:39]
	v_fma_f64 v[34:35], v[34:35], v[49:50], v[36:37]
	v_fma_f64 v[32:33], v[32:33], v[51:52], v[34:35]
	;; [unrolled: 4-line block ×4, first 2 shown]
	global_load_dword v24, v[22:23], off
	s_waitcnt vmcnt(0)
	v_subrev_u32_e32 v24, s16, v24
	v_lshlrev_b32_e32 v41, 2, v24
	v_ashrrev_i32_e32 v42, 31, v41
	v_lshlrev_b64 v[41:42], 4, v[41:42]
	global_load_dwordx4 v[28:31], v[19:20], off offset:2096
	global_load_dwordx4 v[24:27], v[19:20], off offset:2080
	;; [unrolled: 1-line block ×4, first 2 shown]
	v_add_co_u32_e32 v57, vcc, s10, v41
	v_addc_co_u32_e32 v58, vcc, v40, v42, vcc
	global_load_dwordx4 v[41:44], v[57:58], off offset:48
	global_load_dwordx4 v[45:48], v[57:58], off offset:32
	global_load_dwordx4 v[49:52], v[57:58], off offset:16
	global_load_dwordx4 v[53:56], v[57:58], off
	s_waitcnt vmcnt(0)
	v_fma_f64 v[57:58], v[36:37], v[53:54], v[59:60]
	v_fma_f64 v[57:58], -v[38:39], v[55:56], v[57:58]
	v_fma_f64 v[38:39], v[38:39], v[53:54], v[63:64]
	v_fma_f64 v[36:37], v[36:37], v[55:56], v[38:39]
	v_fma_f64 v[38:39], v[32:33], v[49:50], v[57:58]
	v_fma_f64 v[38:39], -v[34:35], v[51:52], v[38:39]
	v_fma_f64 v[34:35], v[34:35], v[49:50], v[36:37]
	v_fma_f64 v[32:33], v[32:33], v[51:52], v[34:35]
	;; [unrolled: 4-line block ×3, first 2 shown]
	v_fma_f64 v[26:27], v[28:29], v[41:42], v[34:35]
	v_fma_f64 v[24:25], v[30:31], v[41:42], v[24:25]
	v_fma_f64 v[26:27], -v[30:31], v[43:44], v[26:27]
	v_fma_f64 v[32:33], v[28:29], v[43:44], v[24:25]
	global_load_dwordx4 v[34:37], v[19:20], off offset:2160
	global_load_dwordx4 v[28:31], v[19:20], off offset:2144
	;; [unrolled: 1-line block ×4, first 2 shown]
	s_waitcnt vmcnt(0)
	v_fma_f64 v[24:25], v[61:62], v[53:54], v[65:66]
	v_fma_f64 v[38:39], v[63:64], v[53:54], v[67:68]
	v_fma_f64 v[24:25], -v[63:64], v[55:56], v[24:25]
	v_fma_f64 v[38:39], v[61:62], v[55:56], v[38:39]
	v_fma_f64 v[24:25], v[57:58], v[49:50], v[24:25]
	;; [unrolled: 1-line block ×3, first 2 shown]
	v_fma_f64 v[24:25], -v[59:60], v[51:52], v[24:25]
	v_fma_f64 v[38:39], v[57:58], v[51:52], v[38:39]
	v_fma_f64 v[24:25], v[28:29], v[45:46], v[24:25]
	v_fma_f64 v[24:25], -v[30:31], v[47:48], v[24:25]
	v_fma_f64 v[30:31], v[30:31], v[45:46], v[38:39]
	v_fma_f64 v[24:25], v[34:35], v[41:42], v[24:25]
	;; [unrolled: 1-line block ×3, first 2 shown]
	v_fma_f64 v[30:31], -v[36:37], v[43:44], v[24:25]
	v_fma_f64 v[24:25], v[36:37], v[41:42], v[28:29]
	global_load_dwordx4 v[36:39], v[19:20], off offset:2224
	global_load_dwordx4 v[57:60], v[19:20], off offset:2208
	;; [unrolled: 1-line block ×4, first 2 shown]
	v_fma_f64 v[34:35], v[34:35], v[43:44], v[24:25]
	s_waitcnt vmcnt(0)
	v_fma_f64 v[24:25], v[65:66], v[53:54], v[69:70]
	v_fma_f64 v[28:29], v[67:68], v[53:54], v[71:72]
	v_fma_f64 v[24:25], -v[67:68], v[55:56], v[24:25]
	v_fma_f64 v[28:29], v[65:66], v[55:56], v[28:29]
	v_fma_f64 v[24:25], v[61:62], v[49:50], v[24:25]
	v_fma_f64 v[28:29], v[63:64], v[49:50], v[28:29]
	v_fma_f64 v[24:25], -v[63:64], v[51:52], v[24:25]
	v_fma_f64 v[28:29], v[61:62], v[51:52], v[28:29]
	;; [unrolled: 4-line block ×4, first 2 shown]
	global_load_dwordx4 v[57:60], v[19:20], off offset:2288
	global_load_dwordx4 v[36:39], v[19:20], off offset:2272
	;; [unrolled: 1-line block ×4, first 2 shown]
	s_waitcnt vmcnt(0)
	v_fma_f64 v[69:70], v[65:66], v[53:54], v[73:74]
	v_fma_f64 v[53:54], v[67:68], v[53:54], v[75:76]
	v_fma_f64 v[69:70], -v[67:68], v[55:56], v[69:70]
	v_fma_f64 v[53:54], v[65:66], v[55:56], v[53:54]
	v_fma_f64 v[55:56], v[61:62], v[49:50], v[69:70]
	v_fma_f64 v[49:50], v[63:64], v[49:50], v[53:54]
	v_fma_f64 v[55:56], -v[63:64], v[51:52], v[55:56]
	v_fma_f64 v[49:50], v[61:62], v[51:52], v[49:50]
	v_fma_f64 v[51:52], v[36:37], v[45:46], v[55:56]
	v_fma_f64 v[51:52], -v[38:39], v[47:48], v[51:52]
	v_fma_f64 v[38:39], v[38:39], v[45:46], v[49:50]
	v_fma_f64 v[36:37], v[36:37], v[47:48], v[38:39]
	;; [unrolled: 1-line block ×4, first 2 shown]
	global_load_dword v41, v[22:23], off offset:16
	v_fma_f64 v[38:39], -v[59:60], v[43:44], v[38:39]
	v_fma_f64 v[36:37], v[57:58], v[43:44], v[36:37]
	s_waitcnt vmcnt(0)
	v_subrev_u32_e32 v41, s16, v41
	v_lshlrev_b32_e32 v57, 2, v41
	v_ashrrev_i32_e32 v58, 31, v57
	v_lshlrev_b64 v[57:58], 4, v[57:58]
	global_load_dwordx4 v[41:44], v[19:20], off offset:3120
	global_load_dwordx4 v[45:48], v[19:20], off offset:3104
	;; [unrolled: 1-line block ×4, first 2 shown]
	v_add_co_u32_e32 v73, vcc, s10, v57
	v_addc_co_u32_e32 v74, vcc, v40, v58, vcc
	global_load_dwordx4 v[57:60], v[73:74], off offset:48
	global_load_dwordx4 v[61:64], v[73:74], off offset:32
	;; [unrolled: 1-line block ×3, first 2 shown]
	global_load_dwordx4 v[69:72], v[73:74], off
	s_waitcnt vmcnt(0)
	v_fma_f64 v[26:27], v[53:54], v[69:70], v[26:27]
	v_fma_f64 v[32:33], v[55:56], v[69:70], v[32:33]
	v_fma_f64 v[26:27], -v[55:56], v[71:72], v[26:27]
	v_fma_f64 v[32:33], v[53:54], v[71:72], v[32:33]
	v_fma_f64 v[26:27], v[49:50], v[65:66], v[26:27]
	v_fma_f64 v[32:33], v[51:52], v[65:66], v[32:33]
	v_fma_f64 v[26:27], -v[51:52], v[67:68], v[26:27]
	v_fma_f64 v[32:33], v[49:50], v[67:68], v[32:33]
	v_fma_f64 v[26:27], v[45:46], v[61:62], v[26:27]
	v_fma_f64 v[32:33], v[47:48], v[61:62], v[32:33]
	v_fma_f64 v[26:27], -v[47:48], v[63:64], v[26:27]
	v_fma_f64 v[45:46], v[45:46], v[63:64], v[32:33]
	v_fma_f64 v[26:27], v[41:42], v[57:58], v[26:27]
	v_fma_f64 v[32:33], -v[43:44], v[59:60], v[26:27]
	v_fma_f64 v[26:27], v[43:44], v[57:58], v[45:46]
	v_fma_f64 v[26:27], v[41:42], v[59:60], v[26:27]
	global_load_dwordx4 v[41:44], v[19:20], off offset:3184
	global_load_dwordx4 v[45:48], v[19:20], off offset:3168
	global_load_dwordx4 v[49:52], v[19:20], off offset:3152
	global_load_dwordx4 v[53:56], v[19:20], off offset:3136
	s_waitcnt vmcnt(0)
	v_fma_f64 v[30:31], v[53:54], v[69:70], v[30:31]
	v_fma_f64 v[34:35], v[55:56], v[69:70], v[34:35]
	v_fma_f64 v[30:31], -v[55:56], v[71:72], v[30:31]
	v_fma_f64 v[34:35], v[53:54], v[71:72], v[34:35]
	v_fma_f64 v[30:31], v[49:50], v[65:66], v[30:31]
	v_fma_f64 v[34:35], v[51:52], v[65:66], v[34:35]
	v_fma_f64 v[30:31], -v[51:52], v[67:68], v[30:31]
	v_fma_f64 v[34:35], v[49:50], v[67:68], v[34:35]
	v_fma_f64 v[30:31], v[45:46], v[61:62], v[30:31]
	v_fma_f64 v[34:35], v[47:48], v[61:62], v[34:35]
	v_fma_f64 v[30:31], -v[47:48], v[63:64], v[30:31]
	v_fma_f64 v[45:46], v[45:46], v[63:64], v[34:35]
	v_fma_f64 v[30:31], v[41:42], v[57:58], v[30:31]
	v_fma_f64 v[34:35], -v[43:44], v[59:60], v[30:31]
	v_fma_f64 v[30:31], v[43:44], v[57:58], v[45:46]
	v_fma_f64 v[30:31], v[41:42], v[59:60], v[30:31]
	global_load_dwordx4 v[41:44], v[19:20], off offset:3248
	global_load_dwordx4 v[45:48], v[19:20], off offset:3232
	global_load_dwordx4 v[49:52], v[19:20], off offset:3216
	global_load_dwordx4 v[53:56], v[19:20], off offset:3200
	;; [unrolled: 21-line block ×3, first 2 shown]
	v_add_co_u32_e32 v19, vcc, s8, v19
	v_addc_co_u32_e32 v20, vcc, 0, v20, vcc
	v_add_co_u32_e32 v17, vcc, 16, v17
	v_addc_co_u32_e32 v18, vcc, 0, v18, vcc
	;; [unrolled: 2-line block ×3, first 2 shown]
	v_cmp_ge_i64_e32 vcc, v[17:18], v[11:12]
	s_or_b64 s[6:7], vcc, s[6:7]
	s_waitcnt vmcnt(0)
	v_fma_f64 v[38:39], v[53:54], v[69:70], v[38:39]
	v_fma_f64 v[36:37], v[55:56], v[69:70], v[36:37]
	v_fma_f64 v[38:39], -v[55:56], v[71:72], v[38:39]
	v_fma_f64 v[36:37], v[53:54], v[71:72], v[36:37]
	v_fma_f64 v[38:39], v[49:50], v[65:66], v[38:39]
	v_fma_f64 v[36:37], v[51:52], v[65:66], v[36:37]
	v_fma_f64 v[38:39], -v[51:52], v[67:68], v[38:39]
	v_fma_f64 v[36:37], v[49:50], v[67:68], v[36:37]
	;; [unrolled: 4-line block ×4, first 2 shown]
	s_andn2_b64 exec, exec, s[6:7]
	s_cbranch_execnz .LBB35_19
; %bb.20:
	s_or_b64 exec, exec, s[6:7]
.LBB35_21:
	s_or_b64 exec, exec, s[2:3]
.LBB35_22:
	s_or_b64 exec, exec, s[14:15]
	s_cbranch_execz .LBB35_24
	s_branch .LBB35_35
.LBB35_23:
                                        ; implicit-def: $vgpr26_vgpr27
                                        ; implicit-def: $vgpr32_vgpr33
                                        ; implicit-def: $vgpr38_vgpr39
                                        ; implicit-def: $vgpr36_vgpr37
                                        ; implicit-def: $vgpr28_vgpr29
                                        ; implicit-def: $vgpr24_vgpr25
                                        ; implicit-def: $vgpr34_vgpr35
                                        ; implicit-def: $vgpr30_vgpr31
.LBB35_24:
	v_mov_b32_e32 v26, 0
	v_mov_b32_e32 v32, 0
	;; [unrolled: 1-line block ×16, first 2 shown]
	s_and_saveexec_b64 s[2:3], s[0:1]
	s_cbranch_execz .LBB35_34
; %bb.25:
	v_or_b32_e32 v17, 4, v0
	v_subrev_co_u32_e32 v17, vcc, s16, v17
	v_subb_co_u32_e64 v18, s[0:1], 0, 0, vcc
	v_add_co_u32_e32 v17, vcc, v17, v15
	v_addc_co_u32_e32 v18, vcc, v18, v16, vcc
	v_cmp_gt_i64_e32 vcc, v[17:18], v[11:12]
	v_not_b32_e32 v15, v15
	v_cndmask_b32_e32 v18, v12, v18, vcc
	v_cndmask_b32_e32 v17, v11, v17, vcc
	v_sub_co_u32_e32 v19, vcc, s16, v0
	v_not_b32_e32 v16, v16
	v_subb_co_u32_e64 v20, s[0:1], 0, 0, vcc
	v_add_co_u32_e32 v15, vcc, v19, v15
	v_addc_co_u32_e32 v16, vcc, v20, v16, vcc
	v_add_co_u32_e32 v15, vcc, v15, v17
	v_addc_co_u32_e32 v16, vcc, v16, v18, vcc
	v_and_b32_e32 v17, 12, v15
	v_mov_b32_e32 v18, 0
	v_cmp_ne_u64_e32 vcc, 12, v[17:18]
	v_mov_b32_e32 v30, 0
	v_mov_b32_e32 v34, 0
	;; [unrolled: 1-line block ×16, first 2 shown]
	s_and_saveexec_b64 s[0:1], vcc
	s_cbranch_execz .LBB35_29
; %bb.26:
	v_lshrrev_b32_e32 v17, 2, v15
	v_add_u32_e32 v17, 1, v17
	v_and_b32_e32 v19, 3, v17
	v_lshlrev_b64 v[17:18], 2, v[9:10]
	v_mov_b32_e32 v20, s13
	v_add_co_u32_e32 v17, vcc, s12, v17
	v_addc_co_u32_e32 v18, vcc, v20, v18, vcc
	v_sub_co_u32_e32 v19, vcc, 0, v19
	v_subb_co_u32_e64 v20, s[8:9], 0, 0, vcc
	v_mov_b32_e32 v26, 0
	v_mov_b32_e32 v32, 0
	;; [unrolled: 1-line block ×8, first 2 shown]
	s_mov_b64 s[6:7], 0
	v_mov_b32_e32 v27, 0
	s_movk_i32 s8, 0x400
	v_mov_b32_e32 v33, 0
	v_mov_b32_e32 v39, 0
	v_mov_b32_e32 v37, 0
	v_mov_b32_e32 v29, 0
	v_mov_b32_e32 v25, 0
	v_mov_b32_e32 v35, 0
	v_mov_b32_e32 v31, 0
	s_waitcnt lgkmcnt(0)
	v_mov_b32_e32 v22, s11
.LBB35_27:                              ; =>This Inner Loop Header: Depth=1
	global_load_dword v23, v[17:18], off
	global_load_dwordx4 v[40:43], v[13:14], off offset:48
	global_load_dwordx4 v[44:47], v[13:14], off offset:32
	;; [unrolled: 1-line block ×3, first 2 shown]
	global_load_dwordx4 v[52:55], v[13:14], off
	s_waitcnt vmcnt(4)
	v_subrev_u32_e32 v23, s16, v23
	v_lshlrev_b32_e32 v56, 2, v23
	v_ashrrev_i32_e32 v57, 31, v56
	v_lshlrev_b64 v[56:57], 4, v[56:57]
	v_add_co_u32_e32 v72, vcc, s10, v56
	v_addc_co_u32_e32 v73, vcc, v22, v57, vcc
	global_load_dwordx4 v[56:59], v[72:73], off offset:48
	global_load_dwordx4 v[60:63], v[72:73], off offset:32
	;; [unrolled: 1-line block ×3, first 2 shown]
	global_load_dwordx4 v[68:71], v[72:73], off
	s_waitcnt vmcnt(0)
	v_fma_f64 v[26:27], v[54:55], v[68:69], v[26:27]
	v_fma_f64 v[32:33], v[52:53], v[68:69], v[32:33]
	;; [unrolled: 1-line block ×5, first 2 shown]
	v_fma_f64 v[72:73], -v[54:55], v[70:71], v[32:33]
	v_fma_f64 v[54:55], -v[50:51], v[70:71], v[26:27]
	v_fma_f64 v[26:27], v[50:51], v[68:69], v[30:31]
	v_fma_f64 v[48:49], v[48:49], v[70:71], v[26:27]
	;; [unrolled: 1-line block ×5, first 2 shown]
	v_fma_f64 v[50:51], -v[46:47], v[70:71], v[26:27]
	v_fma_f64 v[46:47], -v[42:43], v[70:71], v[23:24]
	v_fma_f64 v[23:24], v[42:43], v[68:69], v[36:37]
	v_fma_f64 v[39:40], v[40:41], v[70:71], v[23:24]
	global_load_dwordx4 v[23:26], v[13:14], off offset:112
	global_load_dwordx4 v[27:30], v[13:14], off offset:96
	;; [unrolled: 1-line block ×4, first 2 shown]
	s_waitcnt vmcnt(0)
	v_fma_f64 v[41:42], v[35:36], v[64:65], v[72:73]
	v_fma_f64 v[41:42], -v[37:38], v[66:67], v[41:42]
	v_fma_f64 v[37:38], v[37:38], v[64:65], v[52:53]
	v_fma_f64 v[52:53], v[35:36], v[66:67], v[37:38]
	v_fma_f64 v[35:36], v[31:32], v[64:65], v[54:55]
	v_fma_f64 v[54:55], -v[33:34], v[66:67], v[35:36]
	v_fma_f64 v[33:34], v[33:34], v[64:65], v[48:49]
	v_fma_f64 v[48:49], v[31:32], v[66:67], v[33:34]
	;; [unrolled: 4-line block ×4, first 2 shown]
	global_load_dwordx4 v[23:26], v[13:14], off offset:176
	global_load_dwordx4 v[27:30], v[13:14], off offset:160
	;; [unrolled: 1-line block ×4, first 2 shown]
	s_waitcnt vmcnt(0)
	v_fma_f64 v[41:42], v[35:36], v[60:61], v[41:42]
	v_fma_f64 v[64:65], -v[37:38], v[62:63], v[41:42]
	v_fma_f64 v[37:38], v[37:38], v[60:61], v[52:53]
	v_fma_f64 v[52:53], v[35:36], v[62:63], v[37:38]
	v_fma_f64 v[35:36], v[31:32], v[60:61], v[54:55]
	v_fma_f64 v[54:55], -v[33:34], v[62:63], v[35:36]
	v_fma_f64 v[33:34], v[33:34], v[60:61], v[48:49]
	v_fma_f64 v[47:48], v[31:32], v[62:63], v[33:34]
	;; [unrolled: 4-line block ×4, first 2 shown]
	global_load_dwordx4 v[40:43], v[13:14], off offset:240
	global_load_dwordx4 v[36:39], v[13:14], off offset:224
	;; [unrolled: 1-line block ×4, first 2 shown]
	v_add_co_u32_e32 v13, vcc, s8, v13
	v_addc_co_u32_e32 v14, vcc, 0, v14, vcc
	v_add_co_u32_e32 v9, vcc, 4, v9
	v_addc_co_u32_e32 v10, vcc, 0, v10, vcc
	;; [unrolled: 2-line block ×4, first 2 shown]
	v_cmp_eq_u64_e32 vcc, 0, v[19:20]
	s_or_b64 s[6:7], vcc, s[6:7]
	s_waitcnt vmcnt(0)
	v_fma_f64 v[32:33], v[23:24], v[56:57], v[64:65]
	v_fma_f64 v[32:33], -v[25:26], v[58:59], v[32:33]
	v_fma_f64 v[25:26], v[25:26], v[56:57], v[52:53]
	v_fma_f64 v[26:27], v[23:24], v[58:59], v[25:26]
	v_fma_f64 v[23:24], v[28:29], v[56:57], v[54:55]
	v_fma_f64 v[34:35], -v[30:31], v[58:59], v[23:24]
	v_fma_f64 v[23:24], v[30:31], v[56:57], v[47:48]
	v_fma_f64 v[30:31], v[28:29], v[58:59], v[23:24]
	;; [unrolled: 4-line block ×4, first 2 shown]
	s_andn2_b64 exec, exec, s[6:7]
	s_cbranch_execnz .LBB35_27
; %bb.28:
	s_or_b64 exec, exec, s[6:7]
.LBB35_29:
	s_or_b64 exec, exec, s[0:1]
	v_cmp_lt_u64_e32 vcc, 11, v[15:16]
	s_and_saveexec_b64 s[0:1], vcc
	s_cbranch_execz .LBB35_33
; %bb.30:
	v_lshlrev_b64 v[15:16], 2, v[9:10]
	v_mov_b32_e32 v17, s13
	v_add_co_u32_e32 v15, vcc, s12, v15
	v_addc_co_u32_e32 v16, vcc, v17, v16, vcc
	v_add_co_u32_e32 v15, vcc, 32, v15
	v_addc_co_u32_e32 v16, vcc, 0, v16, vcc
	s_mov_b64 s[6:7], 0
	s_waitcnt lgkmcnt(0)
	v_mov_b32_e32 v40, s11
	s_movk_i32 s8, 0x1000
.LBB35_31:                              ; =>This Inner Loop Header: Depth=1
	global_load_dword v17, v[15:16], off offset:-32
	s_waitcnt vmcnt(0)
	v_subrev_u32_e32 v17, s16, v17
	v_lshlrev_b32_e32 v22, 2, v17
	v_ashrrev_i32_e32 v23, 31, v22
	v_lshlrev_b64 v[22:23], 4, v[22:23]
	global_load_dwordx4 v[17:20], v[13:14], off offset:48
	global_load_dwordx4 v[41:44], v[13:14], off offset:32
	;; [unrolled: 1-line block ×3, first 2 shown]
	global_load_dwordx4 v[49:52], v[13:14], off
	v_add_co_u32_e32 v22, vcc, s10, v22
	v_addc_co_u32_e32 v23, vcc, v40, v23, vcc
	global_load_dwordx4 v[53:56], v[22:23], off offset:48
	global_load_dwordx4 v[57:60], v[22:23], off offset:32
	;; [unrolled: 1-line block ×3, first 2 shown]
	global_load_dwordx4 v[65:68], v[22:23], off
	s_waitcnt vmcnt(0)
	v_fma_f64 v[22:23], v[49:50], v[65:66], v[32:33]
	v_fma_f64 v[69:70], -v[51:52], v[67:68], v[22:23]
	v_fma_f64 v[22:23], v[51:52], v[65:66], v[26:27]
	v_fma_f64 v[49:50], v[49:50], v[67:68], v[22:23]
	v_fma_f64 v[22:23], v[45:46], v[65:66], v[34:35]
	v_fma_f64 v[34:35], -v[47:48], v[67:68], v[22:23]
	v_fma_f64 v[22:23], v[47:48], v[65:66], v[30:31]
	v_fma_f64 v[45:46], v[45:46], v[67:68], v[22:23]
	v_fma_f64 v[22:23], v[41:42], v[65:66], v[28:29]
	v_fma_f64 v[47:48], -v[43:44], v[67:68], v[22:23]
	v_fma_f64 v[22:23], v[43:44], v[65:66], v[24:25]
	v_fma_f64 v[41:42], v[41:42], v[67:68], v[22:23]
	v_fma_f64 v[22:23], v[17:18], v[65:66], v[38:39]
	v_fma_f64 v[38:39], -v[19:20], v[67:68], v[22:23]
	v_fma_f64 v[19:20], v[19:20], v[65:66], v[36:37]
	v_fma_f64 v[36:37], v[17:18], v[67:68], v[19:20]
	global_load_dwordx4 v[17:20], v[13:14], off offset:112
	global_load_dwordx4 v[22:25], v[13:14], off offset:96
	global_load_dwordx4 v[26:29], v[13:14], off offset:80
	global_load_dwordx4 v[30:33], v[13:14], off offset:64
	s_waitcnt vmcnt(0)
	v_fma_f64 v[43:44], v[30:31], v[61:62], v[69:70]
	v_fma_f64 v[43:44], -v[32:33], v[63:64], v[43:44]
	v_fma_f64 v[32:33], v[32:33], v[61:62], v[49:50]
	v_fma_f64 v[49:50], v[30:31], v[63:64], v[32:33]
	v_fma_f64 v[30:31], v[26:27], v[61:62], v[34:35]
	v_fma_f64 v[34:35], -v[28:29], v[63:64], v[30:31]
	v_fma_f64 v[28:29], v[28:29], v[61:62], v[45:46]
	v_fma_f64 v[45:46], v[26:27], v[63:64], v[28:29]
	v_fma_f64 v[26:27], v[22:23], v[61:62], v[47:48]
	v_fma_f64 v[47:48], -v[24:25], v[63:64], v[26:27]
	v_fma_f64 v[24:25], v[24:25], v[61:62], v[41:42]
	v_fma_f64 v[41:42], v[22:23], v[63:64], v[24:25]
	v_fma_f64 v[22:23], v[17:18], v[61:62], v[38:39]
	v_fma_f64 v[38:39], -v[19:20], v[63:64], v[22:23]
	v_fma_f64 v[19:20], v[19:20], v[61:62], v[36:37]
	v_fma_f64 v[36:37], v[17:18], v[63:64], v[19:20]
	global_load_dwordx4 v[17:20], v[13:14], off offset:176
	global_load_dwordx4 v[22:25], v[13:14], off offset:160
	global_load_dwordx4 v[26:29], v[13:14], off offset:144
	global_load_dwordx4 v[30:33], v[13:14], off offset:128
	;; [unrolled: 21-line block ×3, first 2 shown]
	s_waitcnt vmcnt(0)
	v_fma_f64 v[43:44], v[30:31], v[53:54], v[43:44]
	v_fma_f64 v[57:58], -v[32:33], v[55:56], v[43:44]
	v_fma_f64 v[32:33], v[32:33], v[53:54], v[49:50]
	v_fma_f64 v[59:60], v[30:31], v[55:56], v[32:33]
	v_fma_f64 v[30:31], v[26:27], v[53:54], v[34:35]
	v_fma_f64 v[61:62], -v[28:29], v[55:56], v[30:31]
	v_fma_f64 v[28:29], v[28:29], v[53:54], v[45:46]
	v_fma_f64 v[63:64], v[26:27], v[55:56], v[28:29]
	;; [unrolled: 4-line block ×4, first 2 shown]
	global_load_dword v17, v[15:16], off offset:-16
	s_waitcnt vmcnt(0)
	v_subrev_u32_e32 v17, s16, v17
	v_lshlrev_b32_e32 v34, 2, v17
	v_ashrrev_i32_e32 v35, 31, v34
	v_lshlrev_b64 v[34:35], 4, v[34:35]
	global_load_dwordx4 v[17:20], v[13:14], off offset:1072
	global_load_dwordx4 v[22:25], v[13:14], off offset:1056
	;; [unrolled: 1-line block ×4, first 2 shown]
	v_add_co_u32_e32 v55, vcc, s10, v34
	v_addc_co_u32_e32 v56, vcc, v40, v35, vcc
	global_load_dwordx4 v[34:37], v[55:56], off offset:48
	global_load_dwordx4 v[41:44], v[55:56], off offset:32
	;; [unrolled: 1-line block ×3, first 2 shown]
	global_load_dwordx4 v[49:52], v[55:56], off
	s_waitcnt vmcnt(0)
	v_fma_f64 v[55:56], v[30:31], v[49:50], v[57:58]
	v_fma_f64 v[55:56], -v[32:33], v[51:52], v[55:56]
	v_fma_f64 v[32:33], v[32:33], v[49:50], v[59:60]
	v_fma_f64 v[57:58], v[30:31], v[51:52], v[32:33]
	v_fma_f64 v[30:31], v[26:27], v[49:50], v[61:62]
	v_fma_f64 v[59:60], -v[28:29], v[51:52], v[30:31]
	v_fma_f64 v[28:29], v[28:29], v[49:50], v[63:64]
	v_fma_f64 v[61:62], v[26:27], v[51:52], v[28:29]
	v_fma_f64 v[26:27], v[22:23], v[49:50], v[65:66]
	v_fma_f64 v[63:64], -v[24:25], v[51:52], v[26:27]
	v_fma_f64 v[24:25], v[24:25], v[49:50], v[67:68]
	v_fma_f64 v[65:66], v[22:23], v[51:52], v[24:25]
	v_fma_f64 v[22:23], v[17:18], v[49:50], v[38:39]
	v_fma_f64 v[38:39], -v[19:20], v[51:52], v[22:23]
	v_fma_f64 v[19:20], v[19:20], v[49:50], v[53:54]
	v_fma_f64 v[49:50], v[17:18], v[51:52], v[19:20]
	global_load_dwordx4 v[17:20], v[13:14], off offset:1136
	global_load_dwordx4 v[22:25], v[13:14], off offset:1120
	global_load_dwordx4 v[26:29], v[13:14], off offset:1104
	global_load_dwordx4 v[30:33], v[13:14], off offset:1088
	s_waitcnt vmcnt(0)
	v_fma_f64 v[51:52], v[30:31], v[45:46], v[55:56]
	v_fma_f64 v[51:52], -v[32:33], v[47:48], v[51:52]
	v_fma_f64 v[32:33], v[32:33], v[45:46], v[57:58]
	v_fma_f64 v[53:54], v[30:31], v[47:48], v[32:33]
	v_fma_f64 v[30:31], v[26:27], v[45:46], v[59:60]
	v_fma_f64 v[55:56], -v[28:29], v[47:48], v[30:31]
	v_fma_f64 v[28:29], v[28:29], v[45:46], v[61:62]
	v_fma_f64 v[57:58], v[26:27], v[47:48], v[28:29]
	v_fma_f64 v[26:27], v[22:23], v[45:46], v[63:64]
	v_fma_f64 v[59:60], -v[24:25], v[47:48], v[26:27]
	v_fma_f64 v[24:25], v[24:25], v[45:46], v[65:66]
	v_fma_f64 v[61:62], v[22:23], v[47:48], v[24:25]
	v_fma_f64 v[22:23], v[17:18], v[45:46], v[38:39]
	v_fma_f64 v[38:39], -v[19:20], v[47:48], v[22:23]
	v_fma_f64 v[19:20], v[19:20], v[45:46], v[49:50]
	v_fma_f64 v[45:46], v[17:18], v[47:48], v[19:20]
	global_load_dwordx4 v[17:20], v[13:14], off offset:1200
	global_load_dwordx4 v[22:25], v[13:14], off offset:1184
	global_load_dwordx4 v[26:29], v[13:14], off offset:1168
	global_load_dwordx4 v[30:33], v[13:14], off offset:1152
	;; [unrolled: 21-line block ×3, first 2 shown]
	s_waitcnt vmcnt(0)
	v_fma_f64 v[43:44], v[30:31], v[34:35], v[47:48]
	v_fma_f64 v[59:60], -v[32:33], v[36:37], v[43:44]
	v_fma_f64 v[32:33], v[32:33], v[34:35], v[49:50]
	v_fma_f64 v[61:62], v[30:31], v[36:37], v[32:33]
	v_fma_f64 v[30:31], v[26:27], v[34:35], v[51:52]
	v_fma_f64 v[63:64], -v[28:29], v[36:37], v[30:31]
	v_fma_f64 v[28:29], v[28:29], v[34:35], v[53:54]
	v_fma_f64 v[53:54], v[26:27], v[36:37], v[28:29]
	;; [unrolled: 4-line block ×4, first 2 shown]
	global_load_dword v17, v[15:16], off
	s_waitcnt vmcnt(0)
	v_subrev_u32_e32 v17, s16, v17
	v_lshlrev_b32_e32 v34, 2, v17
	v_ashrrev_i32_e32 v35, 31, v34
	v_lshlrev_b64 v[34:35], 4, v[34:35]
	global_load_dwordx4 v[17:20], v[13:14], off offset:2096
	global_load_dwordx4 v[22:25], v[13:14], off offset:2080
	;; [unrolled: 1-line block ×4, first 2 shown]
	v_add_co_u32_e32 v67, vcc, s10, v34
	v_addc_co_u32_e32 v68, vcc, v40, v35, vcc
	global_load_dwordx4 v[34:37], v[67:68], off offset:48
	global_load_dwordx4 v[41:44], v[67:68], off offset:32
	;; [unrolled: 1-line block ×3, first 2 shown]
	global_load_dwordx4 v[49:52], v[67:68], off
	s_waitcnt vmcnt(0)
	v_fma_f64 v[59:60], v[30:31], v[49:50], v[59:60]
	v_fma_f64 v[59:60], -v[32:33], v[51:52], v[59:60]
	v_fma_f64 v[32:33], v[32:33], v[49:50], v[61:62]
	v_fma_f64 v[61:62], v[30:31], v[51:52], v[32:33]
	v_fma_f64 v[30:31], v[26:27], v[49:50], v[63:64]
	v_fma_f64 v[63:64], -v[28:29], v[51:52], v[30:31]
	v_fma_f64 v[28:29], v[28:29], v[49:50], v[53:54]
	v_fma_f64 v[53:54], v[26:27], v[51:52], v[28:29]
	v_fma_f64 v[26:27], v[22:23], v[49:50], v[55:56]
	v_fma_f64 v[55:56], -v[24:25], v[51:52], v[26:27]
	v_fma_f64 v[24:25], v[24:25], v[49:50], v[57:58]
	v_fma_f64 v[57:58], v[22:23], v[51:52], v[24:25]
	v_fma_f64 v[22:23], v[17:18], v[49:50], v[38:39]
	v_fma_f64 v[38:39], -v[19:20], v[51:52], v[22:23]
	v_fma_f64 v[19:20], v[19:20], v[49:50], v[65:66]
	v_fma_f64 v[49:50], v[17:18], v[51:52], v[19:20]
	global_load_dwordx4 v[17:20], v[13:14], off offset:2160
	global_load_dwordx4 v[22:25], v[13:14], off offset:2144
	global_load_dwordx4 v[26:29], v[13:14], off offset:2128
	global_load_dwordx4 v[30:33], v[13:14], off offset:2112
	s_waitcnt vmcnt(0)
	v_fma_f64 v[51:52], v[30:31], v[45:46], v[59:60]
	v_fma_f64 v[51:52], -v[32:33], v[47:48], v[51:52]
	v_fma_f64 v[32:33], v[32:33], v[45:46], v[61:62]
	v_fma_f64 v[59:60], v[30:31], v[47:48], v[32:33]
	v_fma_f64 v[30:31], v[26:27], v[45:46], v[63:64]
	v_fma_f64 v[61:62], -v[28:29], v[47:48], v[30:31]
	v_fma_f64 v[28:29], v[28:29], v[45:46], v[53:54]
	v_fma_f64 v[53:54], v[26:27], v[47:48], v[28:29]
	v_fma_f64 v[26:27], v[22:23], v[45:46], v[55:56]
	v_fma_f64 v[55:56], -v[24:25], v[47:48], v[26:27]
	v_fma_f64 v[24:25], v[24:25], v[45:46], v[57:58]
	v_fma_f64 v[57:58], v[22:23], v[47:48], v[24:25]
	v_fma_f64 v[22:23], v[17:18], v[45:46], v[38:39]
	v_fma_f64 v[38:39], -v[19:20], v[47:48], v[22:23]
	v_fma_f64 v[19:20], v[19:20], v[45:46], v[49:50]
	v_fma_f64 v[45:46], v[17:18], v[47:48], v[19:20]
	global_load_dwordx4 v[17:20], v[13:14], off offset:2224
	global_load_dwordx4 v[22:25], v[13:14], off offset:2208
	global_load_dwordx4 v[26:29], v[13:14], off offset:2192
	global_load_dwordx4 v[30:33], v[13:14], off offset:2176
	;; [unrolled: 21-line block ×3, first 2 shown]
	s_waitcnt vmcnt(1)
	v_fma_f64 v[22:23], v[24:25], v[34:35], v[51:52]
	s_waitcnt vmcnt(0)
	v_fma_f64 v[17:18], v[45:46], v[34:35], v[49:50]
	v_fma_f64 v[19:20], v[47:48], v[34:35], v[32:33]
	;; [unrolled: 1-line block ×3, first 2 shown]
	v_fma_f64 v[22:23], -v[26:27], v[36:37], v[22:23]
	v_fma_f64 v[26:27], v[26:27], v[34:35], v[53:54]
	v_fma_f64 v[17:18], -v[47:48], v[36:37], v[17:18]
	v_fma_f64 v[19:20], v[45:46], v[36:37], v[19:20]
	v_fma_f64 v[32:33], v[41:42], v[36:37], v[32:33]
	;; [unrolled: 1-line block ×4, first 2 shown]
	v_fma_f64 v[26:27], -v[30:31], v[36:37], v[26:27]
	v_fma_f64 v[30:31], v[30:31], v[34:35], v[57:58]
	v_fma_f64 v[28:29], v[28:29], v[36:37], v[30:31]
	;; [unrolled: 1-line block ×3, first 2 shown]
	global_load_dword v34, v[15:16], off offset:16
	v_fma_f64 v[30:31], -v[43:44], v[36:37], v[30:31]
	s_waitcnt vmcnt(0)
	v_subrev_u32_e32 v34, s16, v34
	v_lshlrev_b32_e32 v38, 2, v34
	v_ashrrev_i32_e32 v39, 31, v38
	v_lshlrev_b64 v[38:39], 4, v[38:39]
	global_load_dwordx4 v[34:37], v[13:14], off offset:3120
	global_load_dwordx4 v[41:44], v[13:14], off offset:3104
	;; [unrolled: 1-line block ×4, first 2 shown]
	v_add_co_u32_e32 v38, vcc, s10, v38
	v_addc_co_u32_e32 v39, vcc, v40, v39, vcc
	global_load_dwordx4 v[53:56], v[38:39], off offset:48
	global_load_dwordx4 v[57:60], v[38:39], off offset:32
	;; [unrolled: 1-line block ×3, first 2 shown]
	global_load_dwordx4 v[65:68], v[38:39], off
	s_waitcnt vmcnt(0)
	v_fma_f64 v[17:18], v[49:50], v[65:66], v[17:18]
	v_fma_f64 v[38:39], -v[51:52], v[67:68], v[17:18]
	v_fma_f64 v[17:18], v[51:52], v[65:66], v[19:20]
	v_fma_f64 v[49:50], v[49:50], v[67:68], v[17:18]
	v_fma_f64 v[17:18], v[45:46], v[65:66], v[22:23]
	v_fma_f64 v[51:52], -v[47:48], v[67:68], v[17:18]
	v_fma_f64 v[17:18], v[47:48], v[65:66], v[24:25]
	v_fma_f64 v[45:46], v[45:46], v[67:68], v[17:18]
	v_fma_f64 v[17:18], v[41:42], v[65:66], v[26:27]
	v_fma_f64 v[47:48], -v[43:44], v[67:68], v[17:18]
	v_fma_f64 v[17:18], v[43:44], v[65:66], v[28:29]
	v_fma_f64 v[41:42], v[41:42], v[67:68], v[17:18]
	v_fma_f64 v[17:18], v[34:35], v[65:66], v[30:31]
	v_fma_f64 v[43:44], -v[36:37], v[67:68], v[17:18]
	v_fma_f64 v[17:18], v[36:37], v[65:66], v[32:33]
	v_fma_f64 v[34:35], v[34:35], v[67:68], v[17:18]
	global_load_dwordx4 v[17:20], v[13:14], off offset:3184
	global_load_dwordx4 v[22:25], v[13:14], off offset:3168
	global_load_dwordx4 v[26:29], v[13:14], off offset:3152
	global_load_dwordx4 v[30:33], v[13:14], off offset:3136
	s_waitcnt vmcnt(0)
	v_fma_f64 v[36:37], v[30:31], v[61:62], v[38:39]
	v_fma_f64 v[36:37], -v[32:33], v[63:64], v[36:37]
	v_fma_f64 v[32:33], v[32:33], v[61:62], v[49:50]
	v_fma_f64 v[38:39], v[30:31], v[63:64], v[32:33]
	v_fma_f64 v[30:31], v[26:27], v[61:62], v[51:52]
	v_fma_f64 v[49:50], -v[28:29], v[63:64], v[30:31]
	v_fma_f64 v[28:29], v[28:29], v[61:62], v[45:46]
	v_fma_f64 v[45:46], v[26:27], v[63:64], v[28:29]
	v_fma_f64 v[26:27], v[22:23], v[61:62], v[47:48]
	v_fma_f64 v[47:48], -v[24:25], v[63:64], v[26:27]
	v_fma_f64 v[24:25], v[24:25], v[61:62], v[41:42]
	v_fma_f64 v[41:42], v[22:23], v[63:64], v[24:25]
	v_fma_f64 v[22:23], v[17:18], v[61:62], v[43:44]
	v_fma_f64 v[43:44], -v[19:20], v[63:64], v[22:23]
	v_fma_f64 v[19:20], v[19:20], v[61:62], v[34:35]
	v_fma_f64 v[34:35], v[17:18], v[63:64], v[19:20]
	global_load_dwordx4 v[17:20], v[13:14], off offset:3248
	global_load_dwordx4 v[22:25], v[13:14], off offset:3232
	global_load_dwordx4 v[26:29], v[13:14], off offset:3216
	global_load_dwordx4 v[30:33], v[13:14], off offset:3200
	;; [unrolled: 21-line block ×3, first 2 shown]
	v_add_co_u32_e32 v13, vcc, s8, v13
	v_addc_co_u32_e32 v14, vcc, 0, v14, vcc
	v_add_co_u32_e32 v9, vcc, 16, v9
	v_addc_co_u32_e32 v10, vcc, 0, v10, vcc
	v_add_co_u32_e32 v15, vcc, 64, v15
	v_addc_co_u32_e32 v16, vcc, 0, v16, vcc
	v_cmp_ge_i64_e32 vcc, v[9:10], v[11:12]
	s_or_b64 s[6:7], vcc, s[6:7]
	s_waitcnt vmcnt(0)
	v_fma_f64 v[26:27], v[34:35], v[53:54], v[51:52]
	v_fma_f64 v[32:33], -v[36:37], v[55:56], v[26:27]
	v_fma_f64 v[26:27], v[36:37], v[53:54], v[38:39]
	v_fma_f64 v[26:27], v[34:35], v[55:56], v[26:27]
	v_fma_f64 v[34:35], v[28:29], v[53:54], v[49:50]
	v_fma_f64 v[34:35], -v[30:31], v[55:56], v[34:35]
	v_fma_f64 v[30:31], v[30:31], v[53:54], v[45:46]
	v_fma_f64 v[30:31], v[28:29], v[55:56], v[30:31]
	;; [unrolled: 4-line block ×4, first 2 shown]
	s_andn2_b64 exec, exec, s[6:7]
	s_cbranch_execnz .LBB35_31
; %bb.32:
	s_or_b64 exec, exec, s[6:7]
.LBB35_33:
	s_or_b64 exec, exec, s[0:1]
.LBB35_34:
	s_or_b64 exec, exec, s[2:3]
.LBB35_35:
	v_mov_b32_dpp v11, v26 row_shr:1 row_mask:0xf bank_mask:0xf
	v_mov_b32_dpp v12, v27 row_shr:1 row_mask:0xf bank_mask:0xf
	v_add_f64 v[11:12], v[26:27], v[11:12]
	v_mov_b32_dpp v26, v28 row_shr:1 row_mask:0xf bank_mask:0xf
	v_mov_b32_dpp v27, v29 row_shr:1 row_mask:0xf bank_mask:0xf
	;; [unrolled: 1-line block ×4, first 2 shown]
	v_add_f64 v[26:27], v[28:29], v[26:27]
	v_mov_b32_dpp v28, v24 row_shr:1 row_mask:0xf bank_mask:0xf
	v_mov_b32_dpp v29, v25 row_shr:1 row_mask:0xf bank_mask:0xf
	v_add_f64 v[9:10], v[32:33], v[9:10]
	v_mov_b32_dpp v13, v34 row_shr:1 row_mask:0xf bank_mask:0xf
	v_mov_b32_dpp v14, v35 row_shr:1 row_mask:0xf bank_mask:0xf
	;; [unrolled: 1-line block ×4, first 2 shown]
	v_add_f64 v[24:25], v[24:25], v[28:29]
	v_mov_b32_dpp v28, v38 row_shr:1 row_mask:0xf bank_mask:0xf
	v_mov_b32_dpp v29, v39 row_shr:1 row_mask:0xf bank_mask:0xf
	;; [unrolled: 1-line block ×4, first 2 shown]
	v_add_f64 v[13:14], v[34:35], v[13:14]
	v_add_f64 v[15:16], v[30:31], v[15:16]
	;; [unrolled: 1-line block ×4, first 2 shown]
	v_mov_b32_dpp v30, v9 row_shr:2 row_mask:0xf bank_mask:0xf
	v_mov_b32_dpp v31, v10 row_shr:2 row_mask:0xf bank_mask:0xf
	;; [unrolled: 1-line block ×16, first 2 shown]
	v_cmp_eq_u32_e32 vcc, 3, v0
	s_and_b64 exec, exec, vcc
	s_cbranch_execz .LBB35_8
; %bb.36:
	v_add_f64 v[11:12], v[11:12], v[22:23]
	v_add_f64 v[22:23], v[13:14], v[19:20]
	;; [unrolled: 1-line block ×8, first 2 shown]
	v_mul_f64 v[19:20], v[11:12], -v[7:8]
	v_mul_f64 v[11:12], v[5:6], v[11:12]
	v_mul_f64 v[28:29], v[13:14], -v[7:8]
	v_mul_f64 v[30:31], v[5:6], v[13:14]
	;; [unrolled: 2-line block ×4, first 2 shown]
	v_cmp_eq_f64_e32 vcc, 0, v[1:2]
	v_cmp_eq_f64_e64 s[0:1], 0, v[3:4]
	v_fma_f64 v[17:18], v[5:6], v[9:10], v[19:20]
	v_fma_f64 v[19:20], v[7:8], v[9:10], v[11:12]
	;; [unrolled: 1-line block ×8, first 2 shown]
	s_load_dwordx2 s[2:3], s[4:5], 0x60
	s_and_b64 s[0:1], vcc, s[0:1]
	v_lshlrev_b32_e32 v21, 2, v21
	s_and_saveexec_b64 s[4:5], s[0:1]
	s_xor_b64 s[0:1], exec, s[4:5]
	s_cbranch_execz .LBB35_38
; %bb.37:
	v_ashrrev_i32_e32 v22, 31, v21
	v_lshlrev_b64 v[0:1], 4, v[21:22]
	s_waitcnt lgkmcnt(0)
	v_mov_b32_e32 v2, s3
	v_add_co_u32_e32 v0, vcc, s2, v0
	v_addc_co_u32_e32 v1, vcc, v2, v1, vcc
	global_store_dwordx4 v[0:1], v[17:20], off
	global_store_dwordx4 v[0:1], v[13:16], off offset:16
	global_store_dwordx4 v[0:1], v[9:12], off offset:32
	;; [unrolled: 1-line block ×3, first 2 shown]
                                        ; implicit-def: $vgpr3_vgpr4
                                        ; implicit-def: $vgpr17_vgpr18
                                        ; implicit-def: $vgpr21
                                        ; implicit-def: $vgpr13_vgpr14
                                        ; implicit-def: $vgpr9_vgpr10
                                        ; implicit-def: $vgpr5_vgpr6
.LBB35_38:
	s_andn2_saveexec_b64 s[0:1], s[0:1]
	s_cbranch_execz .LBB35_8
; %bb.39:
	v_ashrrev_i32_e32 v22, 31, v21
	v_lshlrev_b64 v[21:22], 4, v[21:22]
	s_waitcnt lgkmcnt(0)
	v_mov_b32_e32 v0, s3
	v_add_co_u32_e32 v37, vcc, s2, v21
	v_addc_co_u32_e32 v38, vcc, v0, v22, vcc
	global_load_dwordx4 v[21:24], v[37:38], off
	global_load_dwordx4 v[25:28], v[37:38], off offset:16
	global_load_dwordx4 v[29:32], v[37:38], off offset:32
	;; [unrolled: 1-line block ×3, first 2 shown]
	s_waitcnt vmcnt(3)
	v_fma_f64 v[17:18], v[1:2], v[21:22], v[17:18]
	v_fma_f64 v[19:20], v[3:4], v[21:22], v[19:20]
	s_waitcnt vmcnt(2)
	v_fma_f64 v[13:14], v[1:2], v[25:26], v[13:14]
	v_fma_f64 v[15:16], v[3:4], v[25:26], v[15:16]
	;; [unrolled: 3-line block ×4, first 2 shown]
	v_fma_f64 v[5:6], -v[3:4], v[23:24], v[17:18]
	v_fma_f64 v[7:8], v[1:2], v[23:24], v[19:20]
	v_fma_f64 v[9:10], -v[3:4], v[27:28], v[13:14]
	v_fma_f64 v[11:12], v[1:2], v[27:28], v[15:16]
	;; [unrolled: 2-line block ×4, first 2 shown]
	global_store_dwordx4 v[37:38], v[5:8], off
	global_store_dwordx4 v[37:38], v[9:12], off offset:16
	global_store_dwordx4 v[37:38], v[13:16], off offset:32
	;; [unrolled: 1-line block ×3, first 2 shown]
	s_endpgm
	.section	.rodata,"a",@progbits
	.p2align	6, 0x0
	.amdhsa_kernel _ZN9rocsparseL18bsrxmvn_4x4_kernelILj128ELj4E21rocsparse_complex_numIdEliS2_S2_S2_EEvT3_20rocsparse_direction_NS_24const_host_device_scalarIT1_EES3_PKS3_PKT2_SC_S9_PKT4_PKT5_S7_PT6_21rocsparse_index_base_b
		.amdhsa_group_segment_fixed_size 0
		.amdhsa_private_segment_fixed_size 0
		.amdhsa_kernarg_size 112
		.amdhsa_user_sgpr_count 6
		.amdhsa_user_sgpr_private_segment_buffer 1
		.amdhsa_user_sgpr_dispatch_ptr 0
		.amdhsa_user_sgpr_queue_ptr 0
		.amdhsa_user_sgpr_kernarg_segment_ptr 1
		.amdhsa_user_sgpr_dispatch_id 0
		.amdhsa_user_sgpr_flat_scratch_init 0
		.amdhsa_user_sgpr_private_segment_size 0
		.amdhsa_uses_dynamic_stack 0
		.amdhsa_system_sgpr_private_segment_wavefront_offset 0
		.amdhsa_system_sgpr_workgroup_id_x 1
		.amdhsa_system_sgpr_workgroup_id_y 0
		.amdhsa_system_sgpr_workgroup_id_z 0
		.amdhsa_system_sgpr_workgroup_info 0
		.amdhsa_system_vgpr_workitem_id 0
		.amdhsa_next_free_vgpr 85
		.amdhsa_next_free_sgpr 22
		.amdhsa_reserve_vcc 1
		.amdhsa_reserve_flat_scratch 0
		.amdhsa_float_round_mode_32 0
		.amdhsa_float_round_mode_16_64 0
		.amdhsa_float_denorm_mode_32 3
		.amdhsa_float_denorm_mode_16_64 3
		.amdhsa_dx10_clamp 1
		.amdhsa_ieee_mode 1
		.amdhsa_fp16_overflow 0
		.amdhsa_exception_fp_ieee_invalid_op 0
		.amdhsa_exception_fp_denorm_src 0
		.amdhsa_exception_fp_ieee_div_zero 0
		.amdhsa_exception_fp_ieee_overflow 0
		.amdhsa_exception_fp_ieee_underflow 0
		.amdhsa_exception_fp_ieee_inexact 0
		.amdhsa_exception_int_div_zero 0
	.end_amdhsa_kernel
	.section	.text._ZN9rocsparseL18bsrxmvn_4x4_kernelILj128ELj4E21rocsparse_complex_numIdEliS2_S2_S2_EEvT3_20rocsparse_direction_NS_24const_host_device_scalarIT1_EES3_PKS3_PKT2_SC_S9_PKT4_PKT5_S7_PT6_21rocsparse_index_base_b,"axG",@progbits,_ZN9rocsparseL18bsrxmvn_4x4_kernelILj128ELj4E21rocsparse_complex_numIdEliS2_S2_S2_EEvT3_20rocsparse_direction_NS_24const_host_device_scalarIT1_EES3_PKS3_PKT2_SC_S9_PKT4_PKT5_S7_PT6_21rocsparse_index_base_b,comdat
.Lfunc_end35:
	.size	_ZN9rocsparseL18bsrxmvn_4x4_kernelILj128ELj4E21rocsparse_complex_numIdEliS2_S2_S2_EEvT3_20rocsparse_direction_NS_24const_host_device_scalarIT1_EES3_PKS3_PKT2_SC_S9_PKT4_PKT5_S7_PT6_21rocsparse_index_base_b, .Lfunc_end35-_ZN9rocsparseL18bsrxmvn_4x4_kernelILj128ELj4E21rocsparse_complex_numIdEliS2_S2_S2_EEvT3_20rocsparse_direction_NS_24const_host_device_scalarIT1_EES3_PKS3_PKT2_SC_S9_PKT4_PKT5_S7_PT6_21rocsparse_index_base_b
                                        ; -- End function
	.set _ZN9rocsparseL18bsrxmvn_4x4_kernelILj128ELj4E21rocsparse_complex_numIdEliS2_S2_S2_EEvT3_20rocsparse_direction_NS_24const_host_device_scalarIT1_EES3_PKS3_PKT2_SC_S9_PKT4_PKT5_S7_PT6_21rocsparse_index_base_b.num_vgpr, 85
	.set _ZN9rocsparseL18bsrxmvn_4x4_kernelILj128ELj4E21rocsparse_complex_numIdEliS2_S2_S2_EEvT3_20rocsparse_direction_NS_24const_host_device_scalarIT1_EES3_PKS3_PKT2_SC_S9_PKT4_PKT5_S7_PT6_21rocsparse_index_base_b.num_agpr, 0
	.set _ZN9rocsparseL18bsrxmvn_4x4_kernelILj128ELj4E21rocsparse_complex_numIdEliS2_S2_S2_EEvT3_20rocsparse_direction_NS_24const_host_device_scalarIT1_EES3_PKS3_PKT2_SC_S9_PKT4_PKT5_S7_PT6_21rocsparse_index_base_b.numbered_sgpr, 22
	.set _ZN9rocsparseL18bsrxmvn_4x4_kernelILj128ELj4E21rocsparse_complex_numIdEliS2_S2_S2_EEvT3_20rocsparse_direction_NS_24const_host_device_scalarIT1_EES3_PKS3_PKT2_SC_S9_PKT4_PKT5_S7_PT6_21rocsparse_index_base_b.num_named_barrier, 0
	.set _ZN9rocsparseL18bsrxmvn_4x4_kernelILj128ELj4E21rocsparse_complex_numIdEliS2_S2_S2_EEvT3_20rocsparse_direction_NS_24const_host_device_scalarIT1_EES3_PKS3_PKT2_SC_S9_PKT4_PKT5_S7_PT6_21rocsparse_index_base_b.private_seg_size, 0
	.set _ZN9rocsparseL18bsrxmvn_4x4_kernelILj128ELj4E21rocsparse_complex_numIdEliS2_S2_S2_EEvT3_20rocsparse_direction_NS_24const_host_device_scalarIT1_EES3_PKS3_PKT2_SC_S9_PKT4_PKT5_S7_PT6_21rocsparse_index_base_b.uses_vcc, 1
	.set _ZN9rocsparseL18bsrxmvn_4x4_kernelILj128ELj4E21rocsparse_complex_numIdEliS2_S2_S2_EEvT3_20rocsparse_direction_NS_24const_host_device_scalarIT1_EES3_PKS3_PKT2_SC_S9_PKT4_PKT5_S7_PT6_21rocsparse_index_base_b.uses_flat_scratch, 0
	.set _ZN9rocsparseL18bsrxmvn_4x4_kernelILj128ELj4E21rocsparse_complex_numIdEliS2_S2_S2_EEvT3_20rocsparse_direction_NS_24const_host_device_scalarIT1_EES3_PKS3_PKT2_SC_S9_PKT4_PKT5_S7_PT6_21rocsparse_index_base_b.has_dyn_sized_stack, 0
	.set _ZN9rocsparseL18bsrxmvn_4x4_kernelILj128ELj4E21rocsparse_complex_numIdEliS2_S2_S2_EEvT3_20rocsparse_direction_NS_24const_host_device_scalarIT1_EES3_PKS3_PKT2_SC_S9_PKT4_PKT5_S7_PT6_21rocsparse_index_base_b.has_recursion, 0
	.set _ZN9rocsparseL18bsrxmvn_4x4_kernelILj128ELj4E21rocsparse_complex_numIdEliS2_S2_S2_EEvT3_20rocsparse_direction_NS_24const_host_device_scalarIT1_EES3_PKS3_PKT2_SC_S9_PKT4_PKT5_S7_PT6_21rocsparse_index_base_b.has_indirect_call, 0
	.section	.AMDGPU.csdata,"",@progbits
; Kernel info:
; codeLenInByte = 9764
; TotalNumSgprs: 26
; NumVgprs: 85
; ScratchSize: 0
; MemoryBound: 1
; FloatMode: 240
; IeeeMode: 1
; LDSByteSize: 0 bytes/workgroup (compile time only)
; SGPRBlocks: 3
; VGPRBlocks: 21
; NumSGPRsForWavesPerEU: 26
; NumVGPRsForWavesPerEU: 85
; Occupancy: 2
; WaveLimiterHint : 1
; COMPUTE_PGM_RSRC2:SCRATCH_EN: 0
; COMPUTE_PGM_RSRC2:USER_SGPR: 6
; COMPUTE_PGM_RSRC2:TRAP_HANDLER: 0
; COMPUTE_PGM_RSRC2:TGID_X_EN: 1
; COMPUTE_PGM_RSRC2:TGID_Y_EN: 0
; COMPUTE_PGM_RSRC2:TGID_Z_EN: 0
; COMPUTE_PGM_RSRC2:TIDIG_COMP_CNT: 0
	.section	.text._ZN9rocsparseL18bsrxmvn_4x4_kernelILj128ELj8E21rocsparse_complex_numIdEliS2_S2_S2_EEvT3_20rocsparse_direction_NS_24const_host_device_scalarIT1_EES3_PKS3_PKT2_SC_S9_PKT4_PKT5_S7_PT6_21rocsparse_index_base_b,"axG",@progbits,_ZN9rocsparseL18bsrxmvn_4x4_kernelILj128ELj8E21rocsparse_complex_numIdEliS2_S2_S2_EEvT3_20rocsparse_direction_NS_24const_host_device_scalarIT1_EES3_PKS3_PKT2_SC_S9_PKT4_PKT5_S7_PT6_21rocsparse_index_base_b,comdat
	.globl	_ZN9rocsparseL18bsrxmvn_4x4_kernelILj128ELj8E21rocsparse_complex_numIdEliS2_S2_S2_EEvT3_20rocsparse_direction_NS_24const_host_device_scalarIT1_EES3_PKS3_PKT2_SC_S9_PKT4_PKT5_S7_PT6_21rocsparse_index_base_b ; -- Begin function _ZN9rocsparseL18bsrxmvn_4x4_kernelILj128ELj8E21rocsparse_complex_numIdEliS2_S2_S2_EEvT3_20rocsparse_direction_NS_24const_host_device_scalarIT1_EES3_PKS3_PKT2_SC_S9_PKT4_PKT5_S7_PT6_21rocsparse_index_base_b
	.p2align	8
	.type	_ZN9rocsparseL18bsrxmvn_4x4_kernelILj128ELj8E21rocsparse_complex_numIdEliS2_S2_S2_EEvT3_20rocsparse_direction_NS_24const_host_device_scalarIT1_EES3_PKS3_PKT2_SC_S9_PKT4_PKT5_S7_PT6_21rocsparse_index_base_b,@function
_ZN9rocsparseL18bsrxmvn_4x4_kernelILj128ELj8E21rocsparse_complex_numIdEliS2_S2_S2_EEvT3_20rocsparse_direction_NS_24const_host_device_scalarIT1_EES3_PKS3_PKT2_SC_S9_PKT4_PKT5_S7_PT6_21rocsparse_index_base_b: ; @_ZN9rocsparseL18bsrxmvn_4x4_kernelILj128ELj8E21rocsparse_complex_numIdEliS2_S2_S2_EEvT3_20rocsparse_direction_NS_24const_host_device_scalarIT1_EES3_PKS3_PKT2_SC_S9_PKT4_PKT5_S7_PT6_21rocsparse_index_base_b
; %bb.0:
	s_load_dwordx2 s[0:1], s[4:5], 0x8
	s_load_dwordx2 s[16:17], s[4:5], 0x68
	s_add_u32 s7, s4, 8
	s_addc_u32 s8, s5, 0
	s_add_u32 s9, s4, 0x50
	s_addc_u32 s10, s5, 0
	s_waitcnt lgkmcnt(0)
	s_bitcmp1_b32 s17, 0
	s_cselect_b32 s1, s8, s1
	s_cselect_b32 s0, s7, s0
	v_mov_b32_e32 v1, s0
	v_mov_b32_e32 v2, s1
	flat_load_dwordx4 v[5:8], v[1:2]
	s_load_dwordx2 s[2:3], s[4:5], 0x50
	s_waitcnt lgkmcnt(0)
	s_cselect_b32 s0, s10, s3
	s_cselect_b32 s1, s9, s2
	v_mov_b32_e32 v1, s1
	v_mov_b32_e32 v2, s0
	flat_load_dwordx4 v[1:4], v[1:2]
	s_waitcnt vmcnt(0)
	v_cmp_eq_f64_e32 vcc, 0, v[5:6]
	v_cmp_eq_f64_e64 s[0:1], 0, v[7:8]
	s_and_b64 s[8:9], vcc, s[0:1]
	s_mov_b64 s[0:1], -1
	s_and_saveexec_b64 s[2:3], s[8:9]
	s_cbranch_execz .LBB36_2
; %bb.1:
	s_waitcnt lgkmcnt(0)
	v_cmp_neq_f64_e32 vcc, 1.0, v[1:2]
	v_cmp_neq_f64_e64 s[0:1], 0, v[3:4]
	s_or_b64 s[0:1], vcc, s[0:1]
	s_orn2_b64 s[0:1], s[0:1], exec
.LBB36_2:
	s_or_b64 exec, exec, s[2:3]
	s_and_saveexec_b64 s[2:3], s[0:1]
	s_cbranch_execz .LBB36_8
; %bb.3:
	s_load_dwordx2 s[8:9], s[4:5], 0x20
	s_load_dwordx2 s[0:1], s[4:5], 0x0
	v_lshrrev_b32_e32 v9, 3, v0
	v_lshl_or_b32 v21, s6, 4, v9
	s_mov_b64 s[2:3], 0
	s_waitcnt lgkmcnt(0)
	s_cmp_lg_u64 s[8:9], 0
	s_cbranch_scc0 .LBB36_9
; %bb.4:
	s_load_dword s6, s[4:5], 0x18
                                        ; implicit-def: $vgpr9
	s_waitcnt lgkmcnt(0)
	v_cmp_gt_i32_e32 vcc, s6, v21
	s_and_saveexec_b64 s[6:7], vcc
	s_xor_b64 s[6:7], exec, s[6:7]
	s_cbranch_execz .LBB36_6
; %bb.5:
	v_ashrrev_i32_e32 v22, 31, v21
	v_lshlrev_b64 v[9:10], 2, v[21:22]
	v_mov_b32_e32 v11, s9
	v_add_co_u32_e32 v9, vcc, s8, v9
	v_addc_co_u32_e32 v10, vcc, v11, v10, vcc
	global_load_dword v9, v[9:10], off
	s_mov_b64 s[2:3], exec
	s_waitcnt vmcnt(0)
	v_subrev_u32_e32 v9, s16, v9
.LBB36_6:
	s_or_b64 exec, exec, s[6:7]
	s_branch .LBB36_10
.LBB36_7:
	v_cmp_gt_i32_e32 vcc, s0, v21
	s_andn2_b64 s[2:3], s[2:3], exec
	s_and_b64 s[6:7], vcc, exec
	s_or_b64 s[2:3], s[2:3], s[6:7]
	s_and_b64 exec, exec, s[2:3]
	s_cbranch_execnz .LBB36_11
.LBB36_8:
	s_endpgm
.LBB36_9:
                                        ; implicit-def: $vgpr9
	s_cbranch_execnz .LBB36_7
.LBB36_10:
	v_mov_b32_e32 v21, v9
	s_and_b64 exec, exec, s[2:3]
	s_cbranch_execz .LBB36_8
.LBB36_11:
	s_load_dwordx8 s[8:15], s[4:5], 0x28
	v_ashrrev_i32_e32 v22, 31, v21
	v_lshlrev_b64 v[9:10], 3, v[21:22]
	v_and_b32_e32 v0, 7, v0
	s_waitcnt lgkmcnt(0)
	v_mov_b32_e32 v12, s9
	v_add_co_u32_e32 v11, vcc, s8, v9
	v_addc_co_u32_e32 v12, vcc, v12, v10, vcc
	global_load_dwordx2 v[15:16], v[11:12], off
	v_add_co_u32_e32 v11, vcc, 8, v11
	v_addc_co_u32_e32 v12, vcc, 0, v12, vcc
	v_mov_b32_e32 v13, s11
	v_add_co_u32_e32 v9, vcc, s10, v9
	s_cmp_eq_u64 s[10:11], 0
	v_addc_co_u32_e32 v10, vcc, v13, v10, vcc
	s_cselect_b64 vcc, -1, 0
	v_cndmask_b32_e32 v10, v10, v12, vcc
	v_cndmask_b32_e32 v9, v9, v11, vcc
	global_load_dwordx2 v[11:12], v[9:10], off
	s_load_dwordx2 s[10:11], s[4:5], 0x48
	v_mov_b32_e32 v17, s15
	s_cmp_eq_u32 s1, 1
	s_waitcnt vmcnt(1)
	v_subrev_co_u32_e32 v9, vcc, s16, v15
	v_subbrev_co_u32_e32 v10, vcc, 0, v16, vcc
	v_add_co_u32_e32 v9, vcc, v9, v0
	v_addc_co_u32_e32 v10, vcc, 0, v10, vcc
	v_lshlrev_b64 v[13:14], 8, v[9:10]
	s_waitcnt vmcnt(0)
	v_subrev_co_u32_e32 v11, vcc, s16, v11
	v_subbrev_co_u32_e32 v12, vcc, 0, v12, vcc
	v_cmp_lt_i64_e64 s[0:1], v[9:10], v[11:12]
	v_add_co_u32_e32 v13, vcc, s14, v13
	v_addc_co_u32_e32 v14, vcc, v17, v14, vcc
	s_cbranch_scc1 .LBB36_23
; %bb.12:
	v_mov_b32_e32 v28, 0
	v_mov_b32_e32 v38, 0
	v_mov_b32_e32 v34, 0
	v_mov_b32_e32 v30, 0
	v_mov_b32_e32 v26, 0
	v_mov_b32_e32 v24, 0
	v_mov_b32_e32 v36, 0
	v_mov_b32_e32 v32, 0
	v_mov_b32_e32 v29, 0
	v_mov_b32_e32 v39, 0
	v_mov_b32_e32 v35, 0
	v_mov_b32_e32 v31, 0
	v_mov_b32_e32 v27, 0
	v_mov_b32_e32 v25, 0
	v_mov_b32_e32 v37, 0
	v_mov_b32_e32 v33, 0
	s_and_saveexec_b64 s[14:15], s[0:1]
	s_cbranch_execz .LBB36_22
; %bb.13:
	v_or_b32_e32 v17, 8, v0
	v_subrev_co_u32_e32 v17, vcc, s16, v17
	v_subb_co_u32_e64 v18, s[2:3], 0, 0, vcc
	v_add_co_u32_e32 v17, vcc, v17, v15
	v_addc_co_u32_e32 v18, vcc, v18, v16, vcc
	v_cmp_gt_i64_e32 vcc, v[17:18], v[11:12]
	v_not_b32_e32 v20, v15
	v_cndmask_b32_e32 v18, v12, v18, vcc
	v_cndmask_b32_e32 v17, v11, v17, vcc
	v_sub_co_u32_e32 v22, vcc, s16, v0
	v_not_b32_e32 v19, v16
	v_subb_co_u32_e64 v23, s[2:3], 0, 0, vcc
	v_add_co_u32_e32 v20, vcc, v22, v20
	v_addc_co_u32_e32 v19, vcc, v23, v19, vcc
	v_add_co_u32_e32 v22, vcc, v20, v17
	v_addc_co_u32_e32 v23, vcc, v19, v18, vcc
	v_and_b32_e32 v17, 24, v22
	v_mov_b32_e32 v18, 0
	v_cmp_ne_u64_e32 vcc, 24, v[17:18]
	v_mov_b32_e32 v32, 0
	v_mov_b32_e32 v36, 0
	;; [unrolled: 1-line block ×20, first 2 shown]
	s_and_saveexec_b64 s[18:19], vcc
	s_cbranch_execz .LBB36_17
; %bb.14:
	v_lshrrev_b32_e32 v17, 3, v22
	v_add_u32_e32 v17, 1, v17
	v_and_b32_e32 v19, 3, v17
	v_lshlrev_b64 v[17:18], 2, v[9:10]
	v_mov_b32_e32 v20, s13
	v_add_co_u32_e32 v40, vcc, s12, v17
	v_addc_co_u32_e32 v41, vcc, v20, v18, vcc
	v_sub_co_u32_e32 v42, vcc, 0, v19
	v_mov_b32_e32 v28, 0
	v_mov_b32_e32 v18, v10
	;; [unrolled: 1-line block ×10, first 2 shown]
	s_mov_b64 s[20:21], 0
	v_subb_co_u32_e64 v43, s[2:3], 0, 0, vcc
	v_mov_b32_e32 v29, 0
	s_movk_i32 s17, 0x800
	s_waitcnt lgkmcnt(0)
	v_mov_b32_e32 v44, s11
	v_mov_b32_e32 v17, v9
	;; [unrolled: 1-line block ×10, first 2 shown]
.LBB36_15:                              ; =>This Inner Loop Header: Depth=1
	global_load_dword v65, v[40:41], off
	global_load_dwordx4 v[45:48], v[19:20], off
	global_load_dwordx4 v[49:52], v[19:20], off offset:64
	global_load_dwordx4 v[53:56], v[19:20], off offset:128
	;; [unrolled: 1-line block ×4, first 2 shown]
	v_add_co_u32_e64 v17, s[2:3], 8, v17
	v_add_co_u32_e64 v40, s[6:7], 32, v40
	;; [unrolled: 1-line block ×3, first 2 shown]
	v_addc_co_u32_e64 v18, s[2:3], 0, v18, s[2:3]
	v_addc_co_u32_e64 v41, s[2:3], 0, v41, s[6:7]
	;; [unrolled: 1-line block ×3, first 2 shown]
	v_cmp_eq_u64_e64 s[2:3], 0, v[42:43]
	s_or_b64 s[20:21], s[2:3], s[20:21]
	s_waitcnt vmcnt(5)
	v_subrev_u32_e32 v65, s16, v65
	v_lshlrev_b32_e32 v65, 2, v65
	v_ashrrev_i32_e32 v66, 31, v65
	v_lshlrev_b64 v[65:66], 4, v[65:66]
	v_add_co_u32_e32 v69, vcc, s10, v65
	v_addc_co_u32_e32 v70, vcc, v44, v66, vcc
	global_load_dwordx4 v[65:68], v[69:70], off
	s_waitcnt vmcnt(0)
	v_fma_f64 v[28:29], v[47:48], v[65:66], v[28:29]
	v_fma_f64 v[38:39], v[45:46], v[65:66], v[38:39]
	;; [unrolled: 1-line block ×8, first 2 shown]
	v_fma_f64 v[71:72], -v[47:48], v[67:68], v[38:39]
	global_load_dwordx4 v[45:48], v[19:20], off offset:80
	global_load_dwordx4 v[36:39], v[19:20], off offset:144
	v_fma_f64 v[77:78], v[49:50], v[67:68], v[32:33]
	v_fma_f64 v[55:56], -v[55:56], v[67:68], v[26:27]
	v_fma_f64 v[53:54], v[53:54], v[67:68], v[24:25]
	global_load_dwordx4 v[24:27], v[19:20], off offset:208
	v_fma_f64 v[75:76], -v[51:52], v[67:68], v[28:29]
	v_fma_f64 v[28:29], v[57:58], v[65:66], v[34:35]
	v_fma_f64 v[57:58], v[57:58], v[67:68], v[30:31]
	v_fma_f64 v[59:60], -v[59:60], v[67:68], v[28:29]
	global_load_dwordx4 v[28:31], v[19:20], off offset:32
	global_load_dwordx4 v[32:35], v[69:70], off offset:16
	s_waitcnt vmcnt(0)
	v_fma_f64 v[53:54], v[38:39], v[32:33], v[53:54]
	v_fma_f64 v[49:50], v[61:62], v[32:33], v[71:72]
	;; [unrolled: 1-line block ×9, first 2 shown]
	v_fma_f64 v[63:64], -v[63:64], v[34:35], v[49:50]
	v_fma_f64 v[61:62], v[61:62], v[34:35], v[51:52]
	global_load_dwordx4 v[49:52], v[19:20], off offset:96
	v_fma_f64 v[65:66], -v[47:48], v[34:35], v[65:66]
	v_fma_f64 v[67:68], v[45:46], v[34:35], v[67:68]
	global_load_dwordx4 v[45:48], v[19:20], off offset:160
	v_fma_f64 v[71:72], -v[38:39], v[34:35], v[55:56]
	global_load_dwordx4 v[36:39], v[19:20], off offset:224
	v_fma_f64 v[57:58], -v[26:27], v[34:35], v[53:54]
	v_fma_f64 v[59:60], v[24:25], v[34:35], v[32:33]
	global_load_dwordx4 v[24:27], v[19:20], off offset:48
	global_load_dwordx4 v[32:35], v[69:70], off offset:32
	s_waitcnt vmcnt(0)
	v_fma_f64 v[53:54], v[28:29], v[32:33], v[63:64]
	v_fma_f64 v[55:56], v[30:31], v[32:33], v[61:62]
	;; [unrolled: 1-line block ×3, first 2 shown]
	v_fma_f64 v[61:62], -v[30:31], v[34:35], v[53:54]
	v_fma_f64 v[63:64], v[28:29], v[34:35], v[55:56]
	v_fma_f64 v[28:29], v[49:50], v[32:33], v[65:66]
	;; [unrolled: 1-line block ×3, first 2 shown]
	global_load_dwordx4 v[53:56], v[19:20], off offset:112
	v_fma_f64 v[65:66], -v[51:52], v[34:35], v[28:29]
	v_fma_f64 v[67:68], v[49:50], v[34:35], v[30:31]
	v_fma_f64 v[28:29], v[45:46], v[32:33], v[71:72]
	;; [unrolled: 1-line block ×3, first 2 shown]
	global_load_dwordx4 v[49:52], v[19:20], off offset:176
	v_fma_f64 v[32:33], v[38:39], v[32:33], v[59:60]
	v_fma_f64 v[38:39], -v[38:39], v[34:35], v[57:58]
	v_fma_f64 v[71:72], -v[47:48], v[34:35], v[28:29]
	v_fma_f64 v[73:74], v[45:46], v[34:35], v[30:31]
	global_load_dwordx4 v[45:48], v[19:20], off offset:240
	global_load_dwordx4 v[28:31], v[69:70], off offset:48
	v_fma_f64 v[32:33], v[36:37], v[34:35], v[32:33]
	v_add_co_u32_e32 v19, vcc, s17, v19
	v_addc_co_u32_e32 v20, vcc, 0, v20, vcc
	s_waitcnt vmcnt(0)
	v_fma_f64 v[34:35], v[24:25], v[28:29], v[61:62]
	v_fma_f64 v[36:37], v[26:27], v[28:29], v[63:64]
	;; [unrolled: 1-line block ×8, first 2 shown]
	v_fma_f64 v[38:39], -v[26:27], v[30:31], v[34:35]
	v_fma_f64 v[28:29], v[24:25], v[30:31], v[36:37]
	v_fma_f64 v[36:37], -v[55:56], v[30:31], v[57:58]
	v_fma_f64 v[32:33], v[53:54], v[30:31], v[59:60]
	v_fma_f64 v[26:27], -v[51:52], v[30:31], v[61:62]
	v_fma_f64 v[24:25], v[49:50], v[30:31], v[63:64]
	v_fma_f64 v[34:35], -v[47:48], v[30:31], v[65:66]
	v_fma_f64 v[30:31], v[45:46], v[30:31], v[67:68]
	s_andn2_b64 exec, exec, s[20:21]
	s_cbranch_execnz .LBB36_15
; %bb.16:
	s_or_b64 exec, exec, s[20:21]
.LBB36_17:
	s_or_b64 exec, exec, s[18:19]
	v_cmp_lt_u64_e32 vcc, 23, v[22:23]
	s_and_saveexec_b64 s[6:7], vcc
	s_cbranch_execz .LBB36_21
; %bb.18:
	v_lshlrev_b64 v[22:23], 2, v[17:18]
	v_mov_b32_e32 v40, s13
	v_add_co_u32_e32 v22, vcc, s12, v22
	v_addc_co_u32_e32 v23, vcc, v40, v23, vcc
	v_add_co_u32_e32 v22, vcc, 64, v22
	v_addc_co_u32_e32 v23, vcc, 0, v23, vcc
	s_mov_b64 s[8:9], 0
	s_waitcnt lgkmcnt(0)
	v_mov_b32_e32 v42, s11
	s_movk_i32 s17, 0x1000
.LBB36_19:                              ; =>This Inner Loop Header: Depth=1
	global_load_dword v40, v[22:23], off offset:-64
	global_load_dwordx4 v[43:46], v[19:20], off offset:48
	global_load_dwordx4 v[47:50], v[19:20], off offset:32
	;; [unrolled: 1-line block ×3, first 2 shown]
	global_load_dwordx4 v[55:58], v[19:20], off
	s_waitcnt vmcnt(4)
	v_subrev_u32_e32 v40, s16, v40
	v_lshlrev_b32_e32 v40, 2, v40
	v_ashrrev_i32_e32 v41, 31, v40
	v_lshlrev_b64 v[40:41], 4, v[40:41]
	v_add_co_u32_e32 v40, vcc, s10, v40
	v_addc_co_u32_e32 v41, vcc, v42, v41, vcc
	global_load_dwordx4 v[59:62], v[40:41], off offset:48
	global_load_dwordx4 v[63:66], v[40:41], off offset:32
	;; [unrolled: 1-line block ×3, first 2 shown]
	global_load_dwordx4 v[71:74], v[40:41], off
	s_waitcnt vmcnt(0)
	v_fma_f64 v[38:39], v[55:56], v[71:72], v[38:39]
	v_fma_f64 v[28:29], v[57:58], v[71:72], v[28:29]
	v_fma_f64 v[38:39], -v[57:58], v[73:74], v[38:39]
	v_fma_f64 v[28:29], v[55:56], v[73:74], v[28:29]
	v_fma_f64 v[38:39], v[51:52], v[67:68], v[38:39]
	v_fma_f64 v[28:29], v[53:54], v[67:68], v[28:29]
	v_fma_f64 v[38:39], -v[53:54], v[69:70], v[38:39]
	v_fma_f64 v[28:29], v[51:52], v[69:70], v[28:29]
	;; [unrolled: 4-line block ×4, first 2 shown]
	global_load_dwordx4 v[38:41], v[19:20], off offset:112
	global_load_dwordx4 v[43:46], v[19:20], off offset:96
	;; [unrolled: 1-line block ×4, first 2 shown]
	s_waitcnt vmcnt(0)
	v_fma_f64 v[28:29], v[51:52], v[71:72], v[36:37]
	v_fma_f64 v[32:33], v[53:54], v[71:72], v[32:33]
	v_fma_f64 v[28:29], -v[53:54], v[73:74], v[28:29]
	v_fma_f64 v[32:33], v[51:52], v[73:74], v[32:33]
	v_fma_f64 v[28:29], v[47:48], v[67:68], v[28:29]
	v_fma_f64 v[32:33], v[49:50], v[67:68], v[32:33]
	v_fma_f64 v[28:29], -v[49:50], v[69:70], v[28:29]
	v_fma_f64 v[32:33], v[47:48], v[69:70], v[32:33]
	;; [unrolled: 4-line block ×3, first 2 shown]
	v_fma_f64 v[28:29], v[38:39], v[59:60], v[28:29]
	v_fma_f64 v[79:80], -v[40:41], v[61:62], v[28:29]
	v_fma_f64 v[28:29], v[40:41], v[59:60], v[32:33]
	v_fma_f64 v[40:41], v[38:39], v[61:62], v[28:29]
	global_load_dwordx4 v[36:39], v[19:20], off offset:176
	global_load_dwordx4 v[43:46], v[19:20], off offset:160
	;; [unrolled: 1-line block ×4, first 2 shown]
	s_waitcnt vmcnt(0)
	v_fma_f64 v[26:27], v[51:52], v[71:72], v[26:27]
	v_fma_f64 v[24:25], v[53:54], v[71:72], v[24:25]
	v_fma_f64 v[26:27], -v[53:54], v[73:74], v[26:27]
	v_fma_f64 v[24:25], v[51:52], v[73:74], v[24:25]
	v_fma_f64 v[26:27], v[47:48], v[67:68], v[26:27]
	v_fma_f64 v[24:25], v[49:50], v[67:68], v[24:25]
	v_fma_f64 v[26:27], -v[49:50], v[69:70], v[26:27]
	v_fma_f64 v[24:25], v[47:48], v[69:70], v[24:25]
	;; [unrolled: 4-line block ×4, first 2 shown]
	global_load_dwordx4 v[24:27], v[19:20], off offset:240
	global_load_dwordx4 v[36:39], v[19:20], off offset:224
	;; [unrolled: 1-line block ×4, first 2 shown]
	s_waitcnt vmcnt(0)
	v_fma_f64 v[28:29], v[47:48], v[71:72], v[34:35]
	v_fma_f64 v[30:31], v[49:50], v[71:72], v[30:31]
	v_fma_f64 v[28:29], -v[49:50], v[73:74], v[28:29]
	v_fma_f64 v[30:31], v[47:48], v[73:74], v[30:31]
	v_fma_f64 v[28:29], v[43:44], v[67:68], v[28:29]
	v_fma_f64 v[30:31], v[45:46], v[67:68], v[30:31]
	v_fma_f64 v[28:29], -v[45:46], v[69:70], v[28:29]
	v_fma_f64 v[30:31], v[43:44], v[69:70], v[30:31]
	;; [unrolled: 4-line block ×3, first 2 shown]
	v_fma_f64 v[28:29], v[24:25], v[59:60], v[28:29]
	v_fma_f64 v[63:64], -v[26:27], v[61:62], v[28:29]
	v_fma_f64 v[26:27], v[26:27], v[59:60], v[30:31]
	v_fma_f64 v[59:60], v[24:25], v[61:62], v[26:27]
	global_load_dword v24, v[22:23], off offset:-32
	s_waitcnt vmcnt(0)
	v_subrev_u32_e32 v24, s16, v24
	v_lshlrev_b32_e32 v43, 2, v24
	v_ashrrev_i32_e32 v44, 31, v43
	v_lshlrev_b64 v[43:44], 4, v[43:44]
	global_load_dwordx4 v[24:27], v[19:20], off offset:2096
	global_load_dwordx4 v[28:31], v[19:20], off offset:2080
	global_load_dwordx4 v[32:35], v[19:20], off offset:2064
	global_load_dwordx4 v[36:39], v[19:20], off offset:2048
	v_add_co_u32_e32 v61, vcc, s10, v43
	v_addc_co_u32_e32 v62, vcc, v42, v44, vcc
	global_load_dwordx4 v[43:46], v[61:62], off offset:48
	global_load_dwordx4 v[47:50], v[61:62], off offset:32
	;; [unrolled: 1-line block ×3, first 2 shown]
	global_load_dwordx4 v[55:58], v[61:62], off
	s_waitcnt vmcnt(0)
	v_fma_f64 v[61:62], v[36:37], v[55:56], v[75:76]
	v_fma_f64 v[61:62], -v[38:39], v[57:58], v[61:62]
	v_fma_f64 v[38:39], v[38:39], v[55:56], v[77:78]
	v_fma_f64 v[36:37], v[36:37], v[57:58], v[38:39]
	v_fma_f64 v[38:39], v[32:33], v[51:52], v[61:62]
	v_fma_f64 v[38:39], -v[34:35], v[53:54], v[38:39]
	v_fma_f64 v[34:35], v[34:35], v[51:52], v[36:37]
	v_fma_f64 v[32:33], v[32:33], v[53:54], v[34:35]
	v_fma_f64 v[34:35], v[28:29], v[47:48], v[38:39]
	v_fma_f64 v[34:35], -v[30:31], v[49:50], v[34:35]
	v_fma_f64 v[30:31], v[30:31], v[47:48], v[32:33]
	v_fma_f64 v[28:29], v[28:29], v[49:50], v[30:31]
	v_fma_f64 v[30:31], v[24:25], v[43:44], v[34:35]
	v_fma_f64 v[65:66], -v[26:27], v[45:46], v[30:31]
	v_fma_f64 v[26:27], v[26:27], v[43:44], v[28:29]
	v_fma_f64 v[67:68], v[24:25], v[45:46], v[26:27]
	global_load_dwordx4 v[24:27], v[19:20], off offset:2160
	global_load_dwordx4 v[28:31], v[19:20], off offset:2144
	global_load_dwordx4 v[32:35], v[19:20], off offset:2128
	global_load_dwordx4 v[36:39], v[19:20], off offset:2112
	s_waitcnt vmcnt(0)
	v_fma_f64 v[61:62], v[36:37], v[55:56], v[79:80]
	v_fma_f64 v[61:62], -v[38:39], v[57:58], v[61:62]
	v_fma_f64 v[38:39], v[38:39], v[55:56], v[40:41]
	v_fma_f64 v[36:37], v[36:37], v[57:58], v[38:39]
	v_fma_f64 v[38:39], v[32:33], v[51:52], v[61:62]
	v_fma_f64 v[38:39], -v[34:35], v[53:54], v[38:39]
	v_fma_f64 v[34:35], v[34:35], v[51:52], v[36:37]
	v_fma_f64 v[32:33], v[32:33], v[53:54], v[34:35]
	v_fma_f64 v[34:35], v[28:29], v[47:48], v[38:39]
	v_fma_f64 v[34:35], -v[30:31], v[49:50], v[34:35]
	v_fma_f64 v[30:31], v[30:31], v[47:48], v[32:33]
	v_fma_f64 v[28:29], v[28:29], v[49:50], v[30:31]
	v_fma_f64 v[30:31], v[24:25], v[43:44], v[34:35]
	v_fma_f64 v[40:41], -v[26:27], v[45:46], v[30:31]
	v_fma_f64 v[26:27], v[26:27], v[43:44], v[28:29]
	v_fma_f64 v[69:70], v[24:25], v[45:46], v[26:27]
	global_load_dwordx4 v[24:27], v[19:20], off offset:2224
	global_load_dwordx4 v[28:31], v[19:20], off offset:2208
	global_load_dwordx4 v[32:35], v[19:20], off offset:2192
	global_load_dwordx4 v[36:39], v[19:20], off offset:2176
	;; [unrolled: 21-line block ×3, first 2 shown]
	s_waitcnt vmcnt(0)
	v_fma_f64 v[61:62], v[36:37], v[55:56], v[63:64]
	v_fma_f64 v[61:62], -v[38:39], v[57:58], v[61:62]
	v_fma_f64 v[38:39], v[38:39], v[55:56], v[59:60]
	v_fma_f64 v[36:37], v[36:37], v[57:58], v[38:39]
	v_fma_f64 v[38:39], v[32:33], v[51:52], v[61:62]
	v_fma_f64 v[38:39], -v[34:35], v[53:54], v[38:39]
	v_fma_f64 v[34:35], v[34:35], v[51:52], v[36:37]
	v_fma_f64 v[32:33], v[32:33], v[53:54], v[34:35]
	;; [unrolled: 4-line block ×3, first 2 shown]
	v_fma_f64 v[30:31], v[24:25], v[43:44], v[34:35]
	v_fma_f64 v[75:76], -v[26:27], v[45:46], v[30:31]
	v_fma_f64 v[26:27], v[26:27], v[43:44], v[28:29]
	v_add_co_u32_e32 v30, vcc, s17, v19
	v_addc_co_u32_e32 v31, vcc, 0, v20, vcc
	v_fma_f64 v[77:78], v[24:25], v[45:46], v[26:27]
	global_load_dword v24, v[22:23], off
	s_waitcnt vmcnt(0)
	v_subrev_u32_e32 v24, s16, v24
	v_lshlrev_b32_e32 v28, 2, v24
	v_ashrrev_i32_e32 v29, 31, v28
	v_lshlrev_b64 v[28:29], 4, v[28:29]
	global_load_dwordx4 v[24:27], v[30:31], off
	global_load_dwordx4 v[32:35], v[30:31], off offset:48
	global_load_dwordx4 v[36:39], v[30:31], off offset:32
	;; [unrolled: 1-line block ×3, first 2 shown]
	v_add_co_u32_e32 v28, vcc, s10, v28
	v_addc_co_u32_e32 v29, vcc, v42, v29, vcc
	global_load_dwordx4 v[47:50], v[28:29], off offset:48
	global_load_dwordx4 v[51:54], v[28:29], off offset:32
	;; [unrolled: 1-line block ×3, first 2 shown]
	global_load_dwordx4 v[59:62], v[28:29], off
	s_waitcnt vmcnt(0)
	v_fma_f64 v[28:29], v[24:25], v[59:60], v[65:66]
	v_fma_f64 v[28:29], -v[26:27], v[61:62], v[28:29]
	v_fma_f64 v[26:27], v[26:27], v[59:60], v[67:68]
	v_fma_f64 v[24:25], v[24:25], v[61:62], v[26:27]
	;; [unrolled: 1-line block ×4, first 2 shown]
	v_fma_f64 v[26:27], -v[45:46], v[57:58], v[26:27]
	v_fma_f64 v[24:25], v[43:44], v[57:58], v[24:25]
	v_fma_f64 v[26:27], v[36:37], v[51:52], v[26:27]
	;; [unrolled: 1-line block ×3, first 2 shown]
	v_fma_f64 v[26:27], -v[38:39], v[53:54], v[26:27]
	v_fma_f64 v[24:25], v[36:37], v[53:54], v[24:25]
	v_fma_f64 v[26:27], v[32:33], v[47:48], v[26:27]
	;; [unrolled: 1-line block ×3, first 2 shown]
	v_fma_f64 v[28:29], -v[34:35], v[49:50], v[26:27]
	v_fma_f64 v[38:39], v[32:33], v[49:50], v[24:25]
	global_load_dwordx4 v[24:27], v[30:31], off offset:112
	global_load_dwordx4 v[32:35], v[30:31], off offset:96
	;; [unrolled: 1-line block ×4, first 2 shown]
	s_waitcnt vmcnt(0)
	v_fma_f64 v[36:37], v[63:64], v[59:60], v[40:41]
	v_fma_f64 v[40:41], v[65:66], v[59:60], v[69:70]
	v_fma_f64 v[36:37], -v[65:66], v[61:62], v[36:37]
	v_fma_f64 v[40:41], v[63:64], v[61:62], v[40:41]
	v_fma_f64 v[36:37], v[43:44], v[55:56], v[36:37]
	;; [unrolled: 1-line block ×3, first 2 shown]
	v_fma_f64 v[36:37], -v[45:46], v[57:58], v[36:37]
	v_fma_f64 v[40:41], v[43:44], v[57:58], v[40:41]
	v_fma_f64 v[36:37], v[32:33], v[51:52], v[36:37]
	v_fma_f64 v[36:37], -v[34:35], v[53:54], v[36:37]
	v_fma_f64 v[34:35], v[34:35], v[51:52], v[40:41]
	v_fma_f64 v[34:35], v[32:33], v[53:54], v[34:35]
	v_fma_f64 v[32:33], v[24:25], v[47:48], v[36:37]
	v_fma_f64 v[32:33], -v[26:27], v[49:50], v[32:33]
	v_fma_f64 v[26:27], v[26:27], v[47:48], v[34:35]
	v_fma_f64 v[36:37], v[24:25], v[49:50], v[26:27]
	global_load_dwordx4 v[43:46], v[30:31], off offset:176
	global_load_dwordx4 v[24:27], v[30:31], off offset:160
	;; [unrolled: 1-line block ×4, first 2 shown]
	s_waitcnt vmcnt(0)
	v_fma_f64 v[34:35], v[67:68], v[59:60], v[71:72]
	v_fma_f64 v[40:41], v[69:70], v[59:60], v[73:74]
	v_fma_f64 v[34:35], -v[69:70], v[61:62], v[34:35]
	v_fma_f64 v[40:41], v[67:68], v[61:62], v[40:41]
	v_fma_f64 v[34:35], v[63:64], v[55:56], v[34:35]
	;; [unrolled: 1-line block ×3, first 2 shown]
	v_fma_f64 v[34:35], -v[65:66], v[57:58], v[34:35]
	v_fma_f64 v[40:41], v[63:64], v[57:58], v[40:41]
	v_fma_f64 v[34:35], v[24:25], v[51:52], v[34:35]
	v_fma_f64 v[34:35], -v[26:27], v[53:54], v[34:35]
	v_fma_f64 v[26:27], v[26:27], v[51:52], v[40:41]
	v_fma_f64 v[26:27], v[24:25], v[53:54], v[26:27]
	;; [unrolled: 1-line block ×4, first 2 shown]
	v_fma_f64 v[24:25], -v[45:46], v[49:50], v[24:25]
	v_fma_f64 v[26:27], v[43:44], v[49:50], v[26:27]
	global_load_dwordx4 v[43:46], v[30:31], off offset:240
	global_load_dwordx4 v[63:66], v[30:31], off offset:224
	;; [unrolled: 1-line block ×4, first 2 shown]
	s_waitcnt vmcnt(0)
	v_fma_f64 v[34:35], v[71:72], v[59:60], v[75:76]
	v_fma_f64 v[40:41], v[73:74], v[59:60], v[77:78]
	v_fma_f64 v[34:35], -v[73:74], v[61:62], v[34:35]
	v_fma_f64 v[40:41], v[71:72], v[61:62], v[40:41]
	v_fma_f64 v[34:35], v[67:68], v[55:56], v[34:35]
	v_fma_f64 v[40:41], v[69:70], v[55:56], v[40:41]
	v_fma_f64 v[34:35], -v[69:70], v[57:58], v[34:35]
	v_fma_f64 v[40:41], v[67:68], v[57:58], v[40:41]
	;; [unrolled: 4-line block ×3, first 2 shown]
	v_fma_f64 v[34:35], v[43:44], v[47:48], v[34:35]
	v_fma_f64 v[40:41], -v[45:46], v[49:50], v[34:35]
	v_fma_f64 v[34:35], v[45:46], v[47:48], v[51:52]
	v_fma_f64 v[34:35], v[43:44], v[49:50], v[34:35]
	global_load_dword v43, v[22:23], off offset:32
	s_waitcnt vmcnt(0)
	v_subrev_u32_e32 v43, s16, v43
	v_lshlrev_b32_e32 v59, 2, v43
	v_ashrrev_i32_e32 v60, 31, v59
	v_lshlrev_b64 v[59:60], 4, v[59:60]
	global_load_dwordx4 v[43:46], v[30:31], off offset:2096
	global_load_dwordx4 v[47:50], v[30:31], off offset:2080
	;; [unrolled: 1-line block ×4, first 2 shown]
	v_add_co_u32_e32 v75, vcc, s10, v59
	v_addc_co_u32_e32 v76, vcc, v42, v60, vcc
	global_load_dwordx4 v[59:62], v[75:76], off offset:48
	global_load_dwordx4 v[63:66], v[75:76], off offset:32
	;; [unrolled: 1-line block ×3, first 2 shown]
	global_load_dwordx4 v[71:74], v[75:76], off
	v_add_co_u32_e32 v17, vcc, 32, v17
	v_addc_co_u32_e32 v18, vcc, 0, v18, vcc
	v_add_co_u32_e32 v22, vcc, 0x80, v22
	v_addc_co_u32_e32 v23, vcc, 0, v23, vcc
	v_cmp_ge_i64_e64 s[2:3], v[17:18], v[11:12]
	v_add_co_u32_e32 v19, vcc, 0x2000, v19
	v_addc_co_u32_e32 v20, vcc, 0, v20, vcc
	s_or_b64 s[8:9], s[2:3], s[8:9]
	s_waitcnt vmcnt(0)
	v_fma_f64 v[28:29], v[55:56], v[71:72], v[28:29]
	v_fma_f64 v[38:39], v[57:58], v[71:72], v[38:39]
	v_fma_f64 v[28:29], -v[57:58], v[73:74], v[28:29]
	v_fma_f64 v[38:39], v[55:56], v[73:74], v[38:39]
	v_fma_f64 v[28:29], v[51:52], v[67:68], v[28:29]
	v_fma_f64 v[38:39], v[53:54], v[67:68], v[38:39]
	v_fma_f64 v[28:29], -v[53:54], v[69:70], v[28:29]
	v_fma_f64 v[38:39], v[51:52], v[69:70], v[38:39]
	v_fma_f64 v[28:29], v[47:48], v[63:64], v[28:29]
	v_fma_f64 v[38:39], v[49:50], v[63:64], v[38:39]
	v_fma_f64 v[28:29], -v[49:50], v[65:66], v[28:29]
	v_fma_f64 v[47:48], v[47:48], v[65:66], v[38:39]
	v_fma_f64 v[28:29], v[43:44], v[59:60], v[28:29]
	v_fma_f64 v[38:39], -v[45:46], v[61:62], v[28:29]
	v_fma_f64 v[28:29], v[45:46], v[59:60], v[47:48]
	v_fma_f64 v[28:29], v[43:44], v[61:62], v[28:29]
	global_load_dwordx4 v[43:46], v[30:31], off offset:2160
	global_load_dwordx4 v[47:50], v[30:31], off offset:2144
	global_load_dwordx4 v[51:54], v[30:31], off offset:2128
	global_load_dwordx4 v[55:58], v[30:31], off offset:2112
	s_waitcnt vmcnt(0)
	v_fma_f64 v[32:33], v[55:56], v[71:72], v[32:33]
	v_fma_f64 v[36:37], v[57:58], v[71:72], v[36:37]
	v_fma_f64 v[32:33], -v[57:58], v[73:74], v[32:33]
	v_fma_f64 v[36:37], v[55:56], v[73:74], v[36:37]
	v_fma_f64 v[32:33], v[51:52], v[67:68], v[32:33]
	v_fma_f64 v[36:37], v[53:54], v[67:68], v[36:37]
	v_fma_f64 v[32:33], -v[53:54], v[69:70], v[32:33]
	v_fma_f64 v[36:37], v[51:52], v[69:70], v[36:37]
	v_fma_f64 v[32:33], v[47:48], v[63:64], v[32:33]
	v_fma_f64 v[36:37], v[49:50], v[63:64], v[36:37]
	v_fma_f64 v[32:33], -v[49:50], v[65:66], v[32:33]
	v_fma_f64 v[47:48], v[47:48], v[65:66], v[36:37]
	v_fma_f64 v[32:33], v[43:44], v[59:60], v[32:33]
	v_fma_f64 v[36:37], -v[45:46], v[61:62], v[32:33]
	v_fma_f64 v[32:33], v[45:46], v[59:60], v[47:48]
	v_fma_f64 v[32:33], v[43:44], v[61:62], v[32:33]
	global_load_dwordx4 v[43:46], v[30:31], off offset:2224
	global_load_dwordx4 v[47:50], v[30:31], off offset:2208
	global_load_dwordx4 v[51:54], v[30:31], off offset:2192
	global_load_dwordx4 v[55:58], v[30:31], off offset:2176
	;; [unrolled: 21-line block ×3, first 2 shown]
	s_waitcnt vmcnt(0)
	v_fma_f64 v[30:31], v[55:56], v[71:72], v[40:41]
	v_fma_f64 v[34:35], v[57:58], v[71:72], v[34:35]
	v_fma_f64 v[30:31], -v[57:58], v[73:74], v[30:31]
	v_fma_f64 v[34:35], v[55:56], v[73:74], v[34:35]
	v_fma_f64 v[30:31], v[51:52], v[67:68], v[30:31]
	v_fma_f64 v[34:35], v[53:54], v[67:68], v[34:35]
	v_fma_f64 v[30:31], -v[53:54], v[69:70], v[30:31]
	v_fma_f64 v[34:35], v[51:52], v[69:70], v[34:35]
	;; [unrolled: 4-line block ×3, first 2 shown]
	v_fma_f64 v[30:31], v[43:44], v[59:60], v[30:31]
	v_fma_f64 v[34:35], -v[45:46], v[61:62], v[30:31]
	v_fma_f64 v[30:31], v[45:46], v[59:60], v[40:41]
	v_fma_f64 v[30:31], v[43:44], v[61:62], v[30:31]
	s_andn2_b64 exec, exec, s[8:9]
	s_cbranch_execnz .LBB36_19
; %bb.20:
	s_or_b64 exec, exec, s[8:9]
.LBB36_21:
	s_or_b64 exec, exec, s[6:7]
.LBB36_22:
	s_or_b64 exec, exec, s[14:15]
	s_cbranch_execz .LBB36_24
	s_branch .LBB36_35
.LBB36_23:
                                        ; implicit-def: $vgpr28_vgpr29
                                        ; implicit-def: $vgpr38_vgpr39
                                        ; implicit-def: $vgpr34_vgpr35
                                        ; implicit-def: $vgpr30_vgpr31
                                        ; implicit-def: $vgpr26_vgpr27
                                        ; implicit-def: $vgpr24_vgpr25
                                        ; implicit-def: $vgpr36_vgpr37
                                        ; implicit-def: $vgpr32_vgpr33
.LBB36_24:
	v_mov_b32_e32 v28, 0
	v_mov_b32_e32 v38, 0
	v_mov_b32_e32 v34, 0
	v_mov_b32_e32 v30, 0
	v_mov_b32_e32 v26, 0
	v_mov_b32_e32 v24, 0
	v_mov_b32_e32 v36, 0
	v_mov_b32_e32 v32, 0
	v_mov_b32_e32 v29, 0
	v_mov_b32_e32 v39, 0
	v_mov_b32_e32 v35, 0
	v_mov_b32_e32 v31, 0
	v_mov_b32_e32 v27, 0
	v_mov_b32_e32 v25, 0
	v_mov_b32_e32 v37, 0
	v_mov_b32_e32 v33, 0
	s_and_saveexec_b64 s[2:3], s[0:1]
	s_cbranch_execz .LBB36_34
; %bb.25:
	v_or_b32_e32 v17, 8, v0
	v_subrev_co_u32_e32 v17, vcc, s16, v17
	v_subb_co_u32_e64 v18, s[0:1], 0, 0, vcc
	v_add_co_u32_e32 v17, vcc, v17, v15
	v_addc_co_u32_e32 v18, vcc, v18, v16, vcc
	v_cmp_gt_i64_e32 vcc, v[17:18], v[11:12]
	v_not_b32_e32 v15, v15
	v_cndmask_b32_e32 v18, v12, v18, vcc
	v_cndmask_b32_e32 v17, v11, v17, vcc
	v_sub_co_u32_e32 v19, vcc, s16, v0
	v_not_b32_e32 v16, v16
	v_subb_co_u32_e64 v20, s[0:1], 0, 0, vcc
	v_add_co_u32_e32 v15, vcc, v19, v15
	v_addc_co_u32_e32 v16, vcc, v20, v16, vcc
	v_add_co_u32_e32 v15, vcc, v15, v17
	v_addc_co_u32_e32 v16, vcc, v16, v18, vcc
	v_and_b32_e32 v17, 24, v15
	v_mov_b32_e32 v18, 0
	v_cmp_ne_u64_e32 vcc, 24, v[17:18]
	v_mov_b32_e32 v32, 0
	v_mov_b32_e32 v36, 0
	;; [unrolled: 1-line block ×16, first 2 shown]
	s_and_saveexec_b64 s[0:1], vcc
	s_cbranch_execz .LBB36_29
; %bb.26:
	v_lshrrev_b32_e32 v17, 3, v15
	v_add_u32_e32 v17, 1, v17
	v_and_b32_e32 v19, 3, v17
	v_lshlrev_b64 v[17:18], 2, v[9:10]
	v_mov_b32_e32 v20, s13
	v_add_co_u32_e32 v17, vcc, s12, v17
	v_addc_co_u32_e32 v18, vcc, v20, v18, vcc
	v_sub_co_u32_e32 v19, vcc, 0, v19
	v_subb_co_u32_e64 v20, s[8:9], 0, 0, vcc
	v_mov_b32_e32 v28, 0
	v_mov_b32_e32 v38, 0
	;; [unrolled: 1-line block ×8, first 2 shown]
	s_mov_b64 s[6:7], 0
	v_mov_b32_e32 v29, 0
	s_movk_i32 s8, 0x800
	v_mov_b32_e32 v39, 0
	v_mov_b32_e32 v35, 0
	;; [unrolled: 1-line block ×7, first 2 shown]
	s_waitcnt lgkmcnt(0)
	v_mov_b32_e32 v22, s11
.LBB36_27:                              ; =>This Inner Loop Header: Depth=1
	global_load_dword v23, v[17:18], off
	global_load_dwordx4 v[40:43], v[13:14], off offset:48
	global_load_dwordx4 v[44:47], v[13:14], off offset:32
	;; [unrolled: 1-line block ×3, first 2 shown]
	global_load_dwordx4 v[52:55], v[13:14], off
	s_waitcnt vmcnt(4)
	v_subrev_u32_e32 v23, s16, v23
	v_lshlrev_b32_e32 v56, 2, v23
	v_ashrrev_i32_e32 v57, 31, v56
	v_lshlrev_b64 v[56:57], 4, v[56:57]
	v_add_co_u32_e32 v72, vcc, s10, v56
	v_addc_co_u32_e32 v73, vcc, v22, v57, vcc
	global_load_dwordx4 v[56:59], v[72:73], off offset:48
	global_load_dwordx4 v[60:63], v[72:73], off offset:32
	;; [unrolled: 1-line block ×3, first 2 shown]
	global_load_dwordx4 v[68:71], v[72:73], off
	s_waitcnt vmcnt(0)
	v_fma_f64 v[28:29], v[54:55], v[68:69], v[28:29]
	v_fma_f64 v[23:24], v[46:47], v[68:69], v[24:25]
	;; [unrolled: 1-line block ×8, first 2 shown]
	v_fma_f64 v[72:73], -v[54:55], v[70:71], v[38:39]
	v_fma_f64 v[54:55], -v[50:51], v[70:71], v[28:29]
	v_fma_f64 v[28:29], v[50:51], v[68:69], v[32:33]
	v_fma_f64 v[50:51], -v[46:47], v[70:71], v[26:27]
	v_fma_f64 v[46:47], -v[42:43], v[70:71], v[23:24]
	v_fma_f64 v[23:24], v[42:43], v[68:69], v[30:31]
	v_fma_f64 v[48:49], v[48:49], v[70:71], v[28:29]
	;; [unrolled: 1-line block ×3, first 2 shown]
	global_load_dwordx4 v[23:26], v[13:14], off offset:112
	global_load_dwordx4 v[27:30], v[13:14], off offset:96
	;; [unrolled: 1-line block ×4, first 2 shown]
	s_waitcnt vmcnt(0)
	v_fma_f64 v[41:42], v[35:36], v[64:65], v[72:73]
	v_fma_f64 v[41:42], -v[37:38], v[66:67], v[41:42]
	v_fma_f64 v[37:38], v[37:38], v[64:65], v[52:53]
	v_fma_f64 v[52:53], v[35:36], v[66:67], v[37:38]
	v_fma_f64 v[35:36], v[31:32], v[64:65], v[54:55]
	v_fma_f64 v[54:55], -v[33:34], v[66:67], v[35:36]
	v_fma_f64 v[33:34], v[33:34], v[64:65], v[48:49]
	v_fma_f64 v[48:49], v[31:32], v[66:67], v[33:34]
	;; [unrolled: 4-line block ×4, first 2 shown]
	global_load_dwordx4 v[23:26], v[13:14], off offset:176
	global_load_dwordx4 v[27:30], v[13:14], off offset:160
	;; [unrolled: 1-line block ×4, first 2 shown]
	s_waitcnt vmcnt(0)
	v_fma_f64 v[41:42], v[35:36], v[60:61], v[41:42]
	v_fma_f64 v[64:65], -v[37:38], v[62:63], v[41:42]
	v_fma_f64 v[37:38], v[37:38], v[60:61], v[52:53]
	v_fma_f64 v[35:36], v[35:36], v[62:63], v[37:38]
	v_fma_f64 v[37:38], v[31:32], v[60:61], v[54:55]
	v_fma_f64 v[52:53], -v[33:34], v[62:63], v[37:38]
	v_fma_f64 v[33:34], v[33:34], v[60:61], v[48:49]
	v_fma_f64 v[31:32], v[31:32], v[62:63], v[33:34]
	;; [unrolled: 4-line block ×4, first 2 shown]
	global_load_dwordx4 v[40:43], v[13:14], off offset:240
	global_load_dwordx4 v[44:47], v[13:14], off offset:224
	;; [unrolled: 1-line block ×4, first 2 shown]
	v_add_co_u32_e32 v13, vcc, s8, v13
	v_addc_co_u32_e32 v14, vcc, 0, v14, vcc
	v_add_co_u32_e32 v9, vcc, 8, v9
	v_addc_co_u32_e32 v10, vcc, 0, v10, vcc
	;; [unrolled: 2-line block ×4, first 2 shown]
	v_cmp_eq_u64_e32 vcc, 0, v[19:20]
	s_or_b64 s[6:7], vcc, s[6:7]
	s_waitcnt vmcnt(0)
	v_fma_f64 v[33:34], v[27:28], v[56:57], v[64:65]
	v_fma_f64 v[38:39], -v[29:30], v[58:59], v[33:34]
	v_fma_f64 v[33:34], v[23:24], v[56:57], v[52:53]
	v_fma_f64 v[29:30], v[29:30], v[56:57], v[35:36]
	v_fma_f64 v[36:37], -v[25:26], v[58:59], v[33:34]
	v_fma_f64 v[25:26], v[25:26], v[56:57], v[31:32]
	v_fma_f64 v[28:29], v[27:28], v[58:59], v[29:30]
	v_fma_f64 v[30:31], v[40:41], v[56:57], v[54:55]
	v_fma_f64 v[32:33], v[23:24], v[58:59], v[25:26]
	v_fma_f64 v[23:24], v[44:45], v[56:57], v[48:49]
	v_fma_f64 v[34:35], -v[42:43], v[58:59], v[30:31]
	v_fma_f64 v[30:31], v[42:43], v[56:57], v[60:61]
	v_fma_f64 v[26:27], -v[46:47], v[58:59], v[23:24]
	v_fma_f64 v[23:24], v[46:47], v[56:57], v[50:51]
	v_fma_f64 v[30:31], v[40:41], v[58:59], v[30:31]
	;; [unrolled: 1-line block ×3, first 2 shown]
	s_andn2_b64 exec, exec, s[6:7]
	s_cbranch_execnz .LBB36_27
; %bb.28:
	s_or_b64 exec, exec, s[6:7]
.LBB36_29:
	s_or_b64 exec, exec, s[0:1]
	v_cmp_lt_u64_e32 vcc, 23, v[15:16]
	s_and_saveexec_b64 s[6:7], vcc
	s_cbranch_execz .LBB36_33
; %bb.30:
	v_lshlrev_b64 v[15:16], 2, v[9:10]
	v_mov_b32_e32 v17, s13
	v_add_co_u32_e32 v15, vcc, s12, v15
	v_addc_co_u32_e32 v16, vcc, v17, v16, vcc
	v_add_co_u32_e32 v15, vcc, 64, v15
	v_addc_co_u32_e32 v16, vcc, 0, v16, vcc
	s_mov_b64 s[8:9], 0
	s_waitcnt lgkmcnt(0)
	v_mov_b32_e32 v40, s11
	s_movk_i32 s11, 0x1000
.LBB36_31:                              ; =>This Inner Loop Header: Depth=1
	global_load_dword v17, v[15:16], off offset:-64
	s_waitcnt vmcnt(0)
	v_subrev_u32_e32 v17, s16, v17
	v_lshlrev_b32_e32 v22, 2, v17
	v_ashrrev_i32_e32 v23, 31, v22
	v_lshlrev_b64 v[22:23], 4, v[22:23]
	global_load_dwordx4 v[17:20], v[13:14], off offset:48
	global_load_dwordx4 v[41:44], v[13:14], off offset:32
	;; [unrolled: 1-line block ×3, first 2 shown]
	global_load_dwordx4 v[49:52], v[13:14], off
	v_add_co_u32_e32 v22, vcc, s10, v22
	v_addc_co_u32_e32 v23, vcc, v40, v23, vcc
	global_load_dwordx4 v[53:56], v[22:23], off offset:48
	global_load_dwordx4 v[57:60], v[22:23], off offset:32
	;; [unrolled: 1-line block ×3, first 2 shown]
	global_load_dwordx4 v[65:68], v[22:23], off
	s_waitcnt vmcnt(0)
	v_fma_f64 v[22:23], v[49:50], v[65:66], v[38:39]
	v_fma_f64 v[38:39], -v[51:52], v[67:68], v[22:23]
	v_fma_f64 v[22:23], v[51:52], v[65:66], v[28:29]
	v_fma_f64 v[49:50], v[49:50], v[67:68], v[22:23]
	v_fma_f64 v[22:23], v[45:46], v[65:66], v[36:37]
	v_fma_f64 v[36:37], -v[47:48], v[67:68], v[22:23]
	v_fma_f64 v[22:23], v[47:48], v[65:66], v[32:33]
	v_fma_f64 v[45:46], v[45:46], v[67:68], v[22:23]
	v_fma_f64 v[22:23], v[41:42], v[65:66], v[26:27]
	v_fma_f64 v[47:48], -v[43:44], v[67:68], v[22:23]
	v_fma_f64 v[22:23], v[43:44], v[65:66], v[24:25]
	v_fma_f64 v[41:42], v[41:42], v[67:68], v[22:23]
	v_fma_f64 v[22:23], v[17:18], v[65:66], v[34:35]
	v_fma_f64 v[34:35], -v[19:20], v[67:68], v[22:23]
	v_fma_f64 v[19:20], v[19:20], v[65:66], v[30:31]
	v_fma_f64 v[43:44], v[17:18], v[67:68], v[19:20]
	global_load_dwordx4 v[17:20], v[13:14], off offset:112
	global_load_dwordx4 v[22:25], v[13:14], off offset:96
	global_load_dwordx4 v[26:29], v[13:14], off offset:80
	global_load_dwordx4 v[30:33], v[13:14], off offset:64
	s_waitcnt vmcnt(0)
	v_fma_f64 v[38:39], v[30:31], v[61:62], v[38:39]
	v_fma_f64 v[38:39], -v[32:33], v[63:64], v[38:39]
	v_fma_f64 v[32:33], v[32:33], v[61:62], v[49:50]
	v_fma_f64 v[49:50], v[30:31], v[63:64], v[32:33]
	v_fma_f64 v[30:31], v[26:27], v[61:62], v[36:37]
	v_fma_f64 v[36:37], -v[28:29], v[63:64], v[30:31]
	v_fma_f64 v[28:29], v[28:29], v[61:62], v[45:46]
	v_fma_f64 v[45:46], v[26:27], v[63:64], v[28:29]
	v_fma_f64 v[26:27], v[22:23], v[61:62], v[47:48]
	v_fma_f64 v[47:48], -v[24:25], v[63:64], v[26:27]
	v_fma_f64 v[24:25], v[24:25], v[61:62], v[41:42]
	v_fma_f64 v[41:42], v[22:23], v[63:64], v[24:25]
	v_fma_f64 v[22:23], v[17:18], v[61:62], v[34:35]
	v_fma_f64 v[34:35], -v[19:20], v[63:64], v[22:23]
	v_fma_f64 v[19:20], v[19:20], v[61:62], v[43:44]
	v_fma_f64 v[43:44], v[17:18], v[63:64], v[19:20]
	global_load_dwordx4 v[17:20], v[13:14], off offset:176
	global_load_dwordx4 v[22:25], v[13:14], off offset:160
	global_load_dwordx4 v[26:29], v[13:14], off offset:144
	global_load_dwordx4 v[30:33], v[13:14], off offset:128
	;; [unrolled: 21-line block ×3, first 2 shown]
	s_waitcnt vmcnt(0)
	v_fma_f64 v[38:39], v[30:31], v[53:54], v[38:39]
	v_fma_f64 v[38:39], -v[32:33], v[55:56], v[38:39]
	v_fma_f64 v[32:33], v[32:33], v[53:54], v[49:50]
	v_fma_f64 v[57:58], v[30:31], v[55:56], v[32:33]
	v_fma_f64 v[30:31], v[26:27], v[53:54], v[36:37]
	v_fma_f64 v[59:60], -v[28:29], v[55:56], v[30:31]
	v_fma_f64 v[28:29], v[28:29], v[53:54], v[45:46]
	v_fma_f64 v[61:62], v[26:27], v[55:56], v[28:29]
	;; [unrolled: 4-line block ×4, first 2 shown]
	global_load_dword v17, v[15:16], off offset:-32
	s_waitcnt vmcnt(0)
	v_subrev_u32_e32 v17, s16, v17
	v_lshlrev_b32_e32 v34, 2, v17
	v_ashrrev_i32_e32 v35, 31, v34
	v_lshlrev_b64 v[34:35], 4, v[34:35]
	global_load_dwordx4 v[17:20], v[13:14], off offset:2096
	global_load_dwordx4 v[22:25], v[13:14], off offset:2080
	global_load_dwordx4 v[26:29], v[13:14], off offset:2064
	global_load_dwordx4 v[30:33], v[13:14], off offset:2048
	v_add_co_u32_e32 v55, vcc, s10, v34
	v_addc_co_u32_e32 v56, vcc, v40, v35, vcc
	global_load_dwordx4 v[34:37], v[55:56], off offset:48
	global_load_dwordx4 v[41:44], v[55:56], off offset:32
	;; [unrolled: 1-line block ×3, first 2 shown]
	global_load_dwordx4 v[49:52], v[55:56], off
	s_waitcnt vmcnt(0)
	v_fma_f64 v[38:39], v[30:31], v[49:50], v[38:39]
	v_fma_f64 v[38:39], -v[32:33], v[51:52], v[38:39]
	v_fma_f64 v[32:33], v[32:33], v[49:50], v[57:58]
	v_fma_f64 v[55:56], v[30:31], v[51:52], v[32:33]
	v_fma_f64 v[30:31], v[26:27], v[49:50], v[59:60]
	v_fma_f64 v[57:58], -v[28:29], v[51:52], v[30:31]
	v_fma_f64 v[28:29], v[28:29], v[49:50], v[61:62]
	v_fma_f64 v[59:60], v[26:27], v[51:52], v[28:29]
	v_fma_f64 v[26:27], v[22:23], v[49:50], v[63:64]
	v_fma_f64 v[61:62], -v[24:25], v[51:52], v[26:27]
	v_fma_f64 v[24:25], v[24:25], v[49:50], v[65:66]
	v_fma_f64 v[63:64], v[22:23], v[51:52], v[24:25]
	v_fma_f64 v[22:23], v[17:18], v[49:50], v[67:68]
	v_fma_f64 v[65:66], -v[19:20], v[51:52], v[22:23]
	v_fma_f64 v[19:20], v[19:20], v[49:50], v[53:54]
	v_fma_f64 v[49:50], v[17:18], v[51:52], v[19:20]
	global_load_dwordx4 v[17:20], v[13:14], off offset:2160
	global_load_dwordx4 v[22:25], v[13:14], off offset:2144
	global_load_dwordx4 v[26:29], v[13:14], off offset:2128
	global_load_dwordx4 v[30:33], v[13:14], off offset:2112
	s_waitcnt vmcnt(0)
	v_fma_f64 v[38:39], v[30:31], v[45:46], v[38:39]
	v_fma_f64 v[38:39], -v[32:33], v[47:48], v[38:39]
	v_fma_f64 v[32:33], v[32:33], v[45:46], v[55:56]
	v_fma_f64 v[51:52], v[30:31], v[47:48], v[32:33]
	v_fma_f64 v[30:31], v[26:27], v[45:46], v[57:58]
	v_fma_f64 v[53:54], -v[28:29], v[47:48], v[30:31]
	v_fma_f64 v[28:29], v[28:29], v[45:46], v[59:60]
	v_fma_f64 v[55:56], v[26:27], v[47:48], v[28:29]
	v_fma_f64 v[26:27], v[22:23], v[45:46], v[61:62]
	v_fma_f64 v[57:58], -v[24:25], v[47:48], v[26:27]
	v_fma_f64 v[24:25], v[24:25], v[45:46], v[63:64]
	v_fma_f64 v[59:60], v[22:23], v[47:48], v[24:25]
	v_fma_f64 v[22:23], v[17:18], v[45:46], v[65:66]
	v_fma_f64 v[61:62], -v[19:20], v[47:48], v[22:23]
	v_fma_f64 v[19:20], v[19:20], v[45:46], v[49:50]
	v_fma_f64 v[45:46], v[17:18], v[47:48], v[19:20]
	global_load_dwordx4 v[17:20], v[13:14], off offset:2224
	global_load_dwordx4 v[22:25], v[13:14], off offset:2208
	global_load_dwordx4 v[26:29], v[13:14], off offset:2192
	global_load_dwordx4 v[30:33], v[13:14], off offset:2176
	;; [unrolled: 21-line block ×3, first 2 shown]
	s_waitcnt vmcnt(0)
	v_fma_f64 v[38:39], v[30:31], v[34:35], v[38:39]
	v_fma_f64 v[38:39], -v[32:33], v[36:37], v[38:39]
	v_fma_f64 v[32:33], v[32:33], v[34:35], v[47:48]
	v_fma_f64 v[59:60], v[30:31], v[36:37], v[32:33]
	v_fma_f64 v[30:31], v[26:27], v[34:35], v[49:50]
	v_fma_f64 v[61:62], -v[28:29], v[36:37], v[30:31]
	v_fma_f64 v[28:29], v[28:29], v[34:35], v[51:52]
	v_fma_f64 v[63:64], v[26:27], v[36:37], v[28:29]
	;; [unrolled: 4-line block ×3, first 2 shown]
	v_fma_f64 v[22:23], v[17:18], v[34:35], v[57:58]
	v_fma_f64 v[57:58], -v[19:20], v[36:37], v[22:23]
	global_load_dword v22, v[15:16], off
	v_fma_f64 v[19:20], v[19:20], v[34:35], v[41:42]
	v_fma_f64 v[19:20], v[17:18], v[36:37], v[19:20]
	v_add_co_u32_e32 v17, vcc, s11, v13
	v_addc_co_u32_e32 v18, vcc, 0, v14, vcc
	s_waitcnt vmcnt(0)
	v_subrev_u32_e32 v22, s16, v22
	v_lshlrev_b32_e32 v41, 2, v22
	v_ashrrev_i32_e32 v42, 31, v41
	v_lshlrev_b64 v[41:42], 4, v[41:42]
	global_load_dwordx4 v[22:25], v[17:18], off
	global_load_dwordx4 v[26:29], v[17:18], off offset:48
	global_load_dwordx4 v[30:33], v[17:18], off offset:32
	;; [unrolled: 1-line block ×3, first 2 shown]
	v_add_co_u32_e32 v69, vcc, s10, v41
	v_addc_co_u32_e32 v70, vcc, v40, v42, vcc
	global_load_dwordx4 v[41:44], v[69:70], off offset:48
	global_load_dwordx4 v[45:48], v[69:70], off offset:32
	;; [unrolled: 1-line block ×3, first 2 shown]
	global_load_dwordx4 v[53:56], v[69:70], off
	s_waitcnt vmcnt(0)
	v_fma_f64 v[38:39], v[22:23], v[53:54], v[38:39]
	v_fma_f64 v[19:20], v[28:29], v[53:54], v[19:20]
	v_fma_f64 v[38:39], -v[24:25], v[55:56], v[38:39]
	v_fma_f64 v[24:25], v[24:25], v[53:54], v[59:60]
	v_fma_f64 v[19:20], v[26:27], v[55:56], v[19:20]
	;; [unrolled: 1-line block ×4, first 2 shown]
	v_fma_f64 v[61:62], -v[36:37], v[55:56], v[22:23]
	v_fma_f64 v[22:23], v[36:37], v[53:54], v[63:64]
	v_fma_f64 v[63:64], v[34:35], v[55:56], v[22:23]
	;; [unrolled: 1-line block ×3, first 2 shown]
	v_fma_f64 v[65:66], -v[32:33], v[55:56], v[22:23]
	v_fma_f64 v[22:23], v[32:33], v[53:54], v[67:68]
	v_fma_f64 v[67:68], v[30:31], v[55:56], v[22:23]
	;; [unrolled: 1-line block ×3, first 2 shown]
	v_fma_f64 v[57:58], -v[28:29], v[55:56], v[22:23]
	global_load_dwordx4 v[22:25], v[17:18], off offset:112
	global_load_dwordx4 v[26:29], v[17:18], off offset:96
	;; [unrolled: 1-line block ×4, first 2 shown]
	s_waitcnt vmcnt(3)
	v_fma_f64 v[19:20], v[24:25], v[49:50], v[19:20]
	s_waitcnt vmcnt(0)
	v_fma_f64 v[38:39], v[34:35], v[49:50], v[38:39]
	v_fma_f64 v[19:20], v[22:23], v[51:52], v[19:20]
	v_fma_f64 v[38:39], -v[36:37], v[51:52], v[38:39]
	v_fma_f64 v[36:37], v[36:37], v[49:50], v[59:60]
	v_fma_f64 v[53:54], v[34:35], v[51:52], v[36:37]
	v_fma_f64 v[34:35], v[30:31], v[49:50], v[61:62]
	v_fma_f64 v[55:56], -v[32:33], v[51:52], v[34:35]
	v_fma_f64 v[32:33], v[32:33], v[49:50], v[63:64]
	;; [unrolled: 4-line block ×3, first 2 shown]
	v_fma_f64 v[63:64], v[26:27], v[51:52], v[28:29]
	v_fma_f64 v[26:27], v[22:23], v[49:50], v[57:58]
	v_fma_f64 v[57:58], -v[24:25], v[51:52], v[26:27]
	global_load_dwordx4 v[22:25], v[17:18], off offset:176
	global_load_dwordx4 v[26:29], v[17:18], off offset:160
	;; [unrolled: 1-line block ×4, first 2 shown]
	s_waitcnt vmcnt(3)
	v_fma_f64 v[19:20], v[24:25], v[45:46], v[19:20]
	s_waitcnt vmcnt(0)
	v_fma_f64 v[38:39], v[34:35], v[45:46], v[38:39]
	v_fma_f64 v[38:39], -v[36:37], v[47:48], v[38:39]
	v_fma_f64 v[36:37], v[36:37], v[45:46], v[53:54]
	v_fma_f64 v[49:50], v[34:35], v[47:48], v[36:37]
	v_fma_f64 v[34:35], v[30:31], v[45:46], v[55:56]
	v_fma_f64 v[51:52], -v[32:33], v[47:48], v[34:35]
	v_fma_f64 v[32:33], v[32:33], v[45:46], v[59:60]
	v_fma_f64 v[53:54], v[30:31], v[47:48], v[32:33]
	;; [unrolled: 4-line block ×3, first 2 shown]
	v_fma_f64 v[26:27], v[22:23], v[45:46], v[57:58]
	v_fma_f64 v[45:46], v[22:23], v[47:48], v[19:20]
	v_fma_f64 v[57:58], -v[24:25], v[47:48], v[26:27]
	global_load_dwordx4 v[34:37], v[17:18], off offset:240
	global_load_dwordx4 v[30:33], v[17:18], off offset:224
	;; [unrolled: 1-line block ×4, first 2 shown]
	s_waitcnt vmcnt(0)
	v_fma_f64 v[19:20], v[22:23], v[41:42], v[38:39]
	v_fma_f64 v[19:20], -v[24:25], v[43:44], v[19:20]
	v_fma_f64 v[24:25], v[24:25], v[41:42], v[49:50]
	v_fma_f64 v[22:23], v[22:23], v[43:44], v[24:25]
	v_fma_f64 v[24:25], v[26:27], v[41:42], v[51:52]
	v_fma_f64 v[24:25], -v[28:29], v[43:44], v[24:25]
	v_fma_f64 v[28:29], v[28:29], v[41:42], v[53:54]
	v_fma_f64 v[26:27], v[26:27], v[43:44], v[28:29]
	;; [unrolled: 4-line block ×4, first 2 shown]
	global_load_dword v36, v[15:16], off offset:32
	s_waitcnt vmcnt(0)
	v_subrev_u32_e32 v36, s16, v36
	v_lshlrev_b32_e32 v53, 2, v36
	v_ashrrev_i32_e32 v54, 31, v53
	v_lshlrev_b64 v[53:54], 4, v[53:54]
	global_load_dwordx4 v[36:39], v[17:18], off offset:2096
	global_load_dwordx4 v[41:44], v[17:18], off offset:2080
	;; [unrolled: 1-line block ×4, first 2 shown]
	v_add_co_u32_e32 v69, vcc, s10, v53
	v_addc_co_u32_e32 v70, vcc, v40, v54, vcc
	global_load_dwordx4 v[53:56], v[69:70], off offset:48
	global_load_dwordx4 v[57:60], v[69:70], off offset:32
	;; [unrolled: 1-line block ×3, first 2 shown]
	global_load_dwordx4 v[65:68], v[69:70], off
	v_add_co_u32_e32 v9, vcc, 32, v9
	v_addc_co_u32_e32 v10, vcc, 0, v10, vcc
	v_add_co_u32_e32 v15, vcc, 0x80, v15
	v_addc_co_u32_e32 v16, vcc, 0, v16, vcc
	v_cmp_ge_i64_e64 s[0:1], v[9:10], v[11:12]
	v_add_co_u32_e32 v13, vcc, 0x2000, v13
	v_addc_co_u32_e32 v14, vcc, 0, v14, vcc
	s_or_b64 s[8:9], s[0:1], s[8:9]
	s_waitcnt vmcnt(0)
	v_fma_f64 v[22:23], v[51:52], v[65:66], v[22:23]
	v_fma_f64 v[19:20], v[49:50], v[65:66], v[19:20]
	;; [unrolled: 1-line block ×4, first 2 shown]
	v_fma_f64 v[19:20], -v[51:52], v[67:68], v[19:20]
	v_fma_f64 v[51:52], -v[47:48], v[67:68], v[22:23]
	v_fma_f64 v[22:23], v[47:48], v[65:66], v[26:27]
	v_fma_f64 v[45:46], v[45:46], v[67:68], v[22:23]
	v_fma_f64 v[22:23], v[41:42], v[65:66], v[28:29]
	v_fma_f64 v[47:48], -v[43:44], v[67:68], v[22:23]
	v_fma_f64 v[22:23], v[43:44], v[65:66], v[30:31]
	v_fma_f64 v[41:42], v[41:42], v[67:68], v[22:23]
	v_fma_f64 v[22:23], v[36:37], v[65:66], v[32:33]
	v_fma_f64 v[43:44], -v[38:39], v[67:68], v[22:23]
	v_fma_f64 v[22:23], v[38:39], v[65:66], v[34:35]
	v_fma_f64 v[38:39], v[36:37], v[67:68], v[22:23]
	global_load_dwordx4 v[22:25], v[17:18], off offset:2160
	global_load_dwordx4 v[26:29], v[17:18], off offset:2144
	global_load_dwordx4 v[30:33], v[17:18], off offset:2128
	global_load_dwordx4 v[34:37], v[17:18], off offset:2112
	s_waitcnt vmcnt(0)
	v_fma_f64 v[19:20], v[34:35], v[61:62], v[19:20]
	v_fma_f64 v[19:20], -v[36:37], v[63:64], v[19:20]
	v_fma_f64 v[36:37], v[36:37], v[61:62], v[49:50]
	v_fma_f64 v[49:50], v[34:35], v[63:64], v[36:37]
	v_fma_f64 v[34:35], v[30:31], v[61:62], v[51:52]
	v_fma_f64 v[51:52], -v[32:33], v[63:64], v[34:35]
	v_fma_f64 v[32:33], v[32:33], v[61:62], v[45:46]
	v_fma_f64 v[45:46], v[30:31], v[63:64], v[32:33]
	v_fma_f64 v[30:31], v[26:27], v[61:62], v[47:48]
	v_fma_f64 v[47:48], -v[28:29], v[63:64], v[30:31]
	v_fma_f64 v[28:29], v[28:29], v[61:62], v[41:42]
	v_fma_f64 v[41:42], v[26:27], v[63:64], v[28:29]
	v_fma_f64 v[26:27], v[22:23], v[61:62], v[43:44]
	v_fma_f64 v[43:44], -v[24:25], v[63:64], v[26:27]
	v_fma_f64 v[24:25], v[24:25], v[61:62], v[38:39]
	v_fma_f64 v[38:39], v[22:23], v[63:64], v[24:25]
	global_load_dwordx4 v[22:25], v[17:18], off offset:2224
	global_load_dwordx4 v[26:29], v[17:18], off offset:2208
	global_load_dwordx4 v[30:33], v[17:18], off offset:2192
	global_load_dwordx4 v[34:37], v[17:18], off offset:2176
	s_waitcnt vmcnt(0)
	v_fma_f64 v[19:20], v[34:35], v[57:58], v[19:20]
	v_fma_f64 v[19:20], -v[36:37], v[59:60], v[19:20]
	v_fma_f64 v[36:37], v[36:37], v[57:58], v[49:50]
	v_fma_f64 v[34:35], v[34:35], v[59:60], v[36:37]
	v_fma_f64 v[36:37], v[30:31], v[57:58], v[51:52]
	;; [unrolled: 21-line block ×3, first 2 shown]
	v_fma_f64 v[36:37], -v[32:33], v[55:56], v[17:18]
	v_fma_f64 v[17:18], v[32:33], v[53:54], v[45:46]
	v_fma_f64 v[32:33], v[30:31], v[55:56], v[17:18]
	;; [unrolled: 1-line block ×3, first 2 shown]
	v_fma_f64 v[26:27], -v[24:25], v[55:56], v[17:18]
	v_fma_f64 v[17:18], v[24:25], v[53:54], v[49:50]
	v_fma_f64 v[24:25], v[22:23], v[55:56], v[17:18]
	;; [unrolled: 1-line block ×3, first 2 shown]
	v_fma_f64 v[34:35], -v[43:44], v[55:56], v[17:18]
	v_fma_f64 v[17:18], v[43:44], v[53:54], v[57:58]
	v_fma_f64 v[30:31], v[41:42], v[55:56], v[17:18]
	s_andn2_b64 exec, exec, s[8:9]
	s_cbranch_execnz .LBB36_31
; %bb.32:
	s_or_b64 exec, exec, s[8:9]
.LBB36_33:
	s_or_b64 exec, exec, s[6:7]
.LBB36_34:
	s_or_b64 exec, exec, s[2:3]
.LBB36_35:
	v_mov_b32_dpp v9, v38 row_shr:1 row_mask:0xf bank_mask:0xf
	v_mov_b32_dpp v10, v39 row_shr:1 row_mask:0xf bank_mask:0xf
	v_add_f64 v[9:10], v[38:39], v[9:10]
	v_mov_b32_dpp v11, v28 row_shr:1 row_mask:0xf bank_mask:0xf
	v_mov_b32_dpp v12, v29 row_shr:1 row_mask:0xf bank_mask:0xf
	;; [unrolled: 1-line block ×4, first 2 shown]
	v_add_f64 v[11:12], v[28:29], v[11:12]
	v_add_f64 v[13:14], v[36:37], v[13:14]
	v_mov_b32_dpp v17, v32 row_shr:1 row_mask:0xf bank_mask:0xf
	v_mov_b32_dpp v18, v33 row_shr:1 row_mask:0xf bank_mask:0xf
	v_add_f64 v[17:18], v[32:33], v[17:18]
	v_mov_b32_dpp v15, v9 row_shr:2 row_mask:0xf bank_mask:0xf
	v_mov_b32_dpp v16, v10 row_shr:2 row_mask:0xf bank_mask:0xf
	;; [unrolled: 3-line block ×5, first 2 shown]
	v_mov_b32_dpp v36, v24 row_shr:1 row_mask:0xf bank_mask:0xf
	v_mov_b32_dpp v37, v25 row_shr:1 row_mask:0xf bank_mask:0xf
	v_add_f64 v[15:16], v[17:18], v[15:16]
	v_mov_b32_dpp v17, v26 row_shr:1 row_mask:0xf bank_mask:0xf
	v_mov_b32_dpp v18, v27 row_shr:1 row_mask:0xf bank_mask:0xf
	v_add_f64 v[36:37], v[24:25], v[36:37]
	;; [unrolled: 3-line block ×3, first 2 shown]
	v_add_f64 v[34:35], v[34:35], v[24:25]
	v_mov_b32_dpp v24, v30 row_shr:1 row_mask:0xf bank_mask:0xf
	v_mov_b32_dpp v25, v31 row_shr:1 row_mask:0xf bank_mask:0xf
	v_add_f64 v[38:39], v[30:31], v[24:25]
	v_mov_b32_dpp v26, v9 row_shr:4 row_mask:0xf bank_mask:0xe
	v_mov_b32_dpp v27, v10 row_shr:4 row_mask:0xf bank_mask:0xe
	;; [unrolled: 1-line block ×5, first 2 shown]
	v_add_f64 v[24:25], v[28:29], v[32:33]
	v_mov_b32_dpp v28, v36 row_shr:2 row_mask:0xf bank_mask:0xf
	v_mov_b32_dpp v29, v37 row_shr:2 row_mask:0xf bank_mask:0xf
	v_mov_b32_dpp v30, v34 row_shr:2 row_mask:0xf bank_mask:0xf
	v_mov_b32_dpp v31, v35 row_shr:2 row_mask:0xf bank_mask:0xf
	v_mov_b32_dpp v32, v38 row_shr:2 row_mask:0xf bank_mask:0xf
	v_mov_b32_dpp v33, v39 row_shr:2 row_mask:0xf bank_mask:0xf
	v_add_f64 v[28:29], v[36:37], v[28:29]
	v_add_f64 v[30:31], v[34:35], v[30:31]
	;; [unrolled: 1-line block ×3, first 2 shown]
	v_mov_b32_dpp v23, v12 row_shr:4 row_mask:0xf bank_mask:0xe
	v_mov_b32_dpp v19, v13 row_shr:4 row_mask:0xf bank_mask:0xe
	;; [unrolled: 1-line block ×13, first 2 shown]
	v_cmp_eq_u32_e32 vcc, 7, v0
	s_and_b64 exec, exec, vcc
	s_cbranch_execz .LBB36_8
; %bb.36:
	v_add_f64 v[11:12], v[11:12], v[22:23]
	v_add_f64 v[22:23], v[13:14], v[19:20]
	;; [unrolled: 1-line block ×8, first 2 shown]
	v_mul_f64 v[19:20], v[11:12], -v[7:8]
	v_mul_f64 v[11:12], v[5:6], v[11:12]
	v_mul_f64 v[28:29], v[13:14], -v[7:8]
	v_mul_f64 v[30:31], v[5:6], v[13:14]
	;; [unrolled: 2-line block ×4, first 2 shown]
	v_cmp_eq_f64_e32 vcc, 0, v[1:2]
	v_cmp_eq_f64_e64 s[0:1], 0, v[3:4]
	v_fma_f64 v[17:18], v[5:6], v[9:10], v[19:20]
	v_fma_f64 v[19:20], v[7:8], v[9:10], v[11:12]
	;; [unrolled: 1-line block ×8, first 2 shown]
	s_load_dwordx2 s[2:3], s[4:5], 0x60
	s_and_b64 s[0:1], vcc, s[0:1]
	v_lshlrev_b32_e32 v21, 2, v21
	s_and_saveexec_b64 s[4:5], s[0:1]
	s_xor_b64 s[0:1], exec, s[4:5]
	s_cbranch_execz .LBB36_38
; %bb.37:
	v_ashrrev_i32_e32 v22, 31, v21
	v_lshlrev_b64 v[0:1], 4, v[21:22]
	s_waitcnt lgkmcnt(0)
	v_mov_b32_e32 v2, s3
	v_add_co_u32_e32 v0, vcc, s2, v0
	v_addc_co_u32_e32 v1, vcc, v2, v1, vcc
	global_store_dwordx4 v[0:1], v[17:20], off
	global_store_dwordx4 v[0:1], v[13:16], off offset:16
	global_store_dwordx4 v[0:1], v[9:12], off offset:32
	;; [unrolled: 1-line block ×3, first 2 shown]
                                        ; implicit-def: $vgpr3_vgpr4
                                        ; implicit-def: $vgpr17_vgpr18
                                        ; implicit-def: $vgpr21
                                        ; implicit-def: $vgpr13_vgpr14
                                        ; implicit-def: $vgpr9_vgpr10
                                        ; implicit-def: $vgpr5_vgpr6
.LBB36_38:
	s_andn2_saveexec_b64 s[0:1], s[0:1]
	s_cbranch_execz .LBB36_8
; %bb.39:
	v_ashrrev_i32_e32 v22, 31, v21
	v_lshlrev_b64 v[21:22], 4, v[21:22]
	s_waitcnt lgkmcnt(0)
	v_mov_b32_e32 v0, s3
	v_add_co_u32_e32 v37, vcc, s2, v21
	v_addc_co_u32_e32 v38, vcc, v0, v22, vcc
	global_load_dwordx4 v[21:24], v[37:38], off
	global_load_dwordx4 v[25:28], v[37:38], off offset:16
	global_load_dwordx4 v[29:32], v[37:38], off offset:32
	;; [unrolled: 1-line block ×3, first 2 shown]
	s_waitcnt vmcnt(3)
	v_fma_f64 v[17:18], v[1:2], v[21:22], v[17:18]
	v_fma_f64 v[19:20], v[3:4], v[21:22], v[19:20]
	s_waitcnt vmcnt(2)
	v_fma_f64 v[13:14], v[1:2], v[25:26], v[13:14]
	v_fma_f64 v[15:16], v[3:4], v[25:26], v[15:16]
	;; [unrolled: 3-line block ×4, first 2 shown]
	v_fma_f64 v[5:6], -v[3:4], v[23:24], v[17:18]
	v_fma_f64 v[7:8], v[1:2], v[23:24], v[19:20]
	v_fma_f64 v[9:10], -v[3:4], v[27:28], v[13:14]
	v_fma_f64 v[11:12], v[1:2], v[27:28], v[15:16]
	;; [unrolled: 2-line block ×4, first 2 shown]
	global_store_dwordx4 v[37:38], v[5:8], off
	global_store_dwordx4 v[37:38], v[9:12], off offset:16
	global_store_dwordx4 v[37:38], v[13:16], off offset:32
	;; [unrolled: 1-line block ×3, first 2 shown]
	s_endpgm
	.section	.rodata,"a",@progbits
	.p2align	6, 0x0
	.amdhsa_kernel _ZN9rocsparseL18bsrxmvn_4x4_kernelILj128ELj8E21rocsparse_complex_numIdEliS2_S2_S2_EEvT3_20rocsparse_direction_NS_24const_host_device_scalarIT1_EES3_PKS3_PKT2_SC_S9_PKT4_PKT5_S7_PT6_21rocsparse_index_base_b
		.amdhsa_group_segment_fixed_size 0
		.amdhsa_private_segment_fixed_size 0
		.amdhsa_kernarg_size 112
		.amdhsa_user_sgpr_count 6
		.amdhsa_user_sgpr_private_segment_buffer 1
		.amdhsa_user_sgpr_dispatch_ptr 0
		.amdhsa_user_sgpr_queue_ptr 0
		.amdhsa_user_sgpr_kernarg_segment_ptr 1
		.amdhsa_user_sgpr_dispatch_id 0
		.amdhsa_user_sgpr_flat_scratch_init 0
		.amdhsa_user_sgpr_private_segment_size 0
		.amdhsa_uses_dynamic_stack 0
		.amdhsa_system_sgpr_private_segment_wavefront_offset 0
		.amdhsa_system_sgpr_workgroup_id_x 1
		.amdhsa_system_sgpr_workgroup_id_y 0
		.amdhsa_system_sgpr_workgroup_id_z 0
		.amdhsa_system_sgpr_workgroup_info 0
		.amdhsa_system_vgpr_workitem_id 0
		.amdhsa_next_free_vgpr 85
		.amdhsa_next_free_sgpr 22
		.amdhsa_reserve_vcc 1
		.amdhsa_reserve_flat_scratch 0
		.amdhsa_float_round_mode_32 0
		.amdhsa_float_round_mode_16_64 0
		.amdhsa_float_denorm_mode_32 3
		.amdhsa_float_denorm_mode_16_64 3
		.amdhsa_dx10_clamp 1
		.amdhsa_ieee_mode 1
		.amdhsa_fp16_overflow 0
		.amdhsa_exception_fp_ieee_invalid_op 0
		.amdhsa_exception_fp_denorm_src 0
		.amdhsa_exception_fp_ieee_div_zero 0
		.amdhsa_exception_fp_ieee_overflow 0
		.amdhsa_exception_fp_ieee_underflow 0
		.amdhsa_exception_fp_ieee_inexact 0
		.amdhsa_exception_int_div_zero 0
	.end_amdhsa_kernel
	.section	.text._ZN9rocsparseL18bsrxmvn_4x4_kernelILj128ELj8E21rocsparse_complex_numIdEliS2_S2_S2_EEvT3_20rocsparse_direction_NS_24const_host_device_scalarIT1_EES3_PKS3_PKT2_SC_S9_PKT4_PKT5_S7_PT6_21rocsparse_index_base_b,"axG",@progbits,_ZN9rocsparseL18bsrxmvn_4x4_kernelILj128ELj8E21rocsparse_complex_numIdEliS2_S2_S2_EEvT3_20rocsparse_direction_NS_24const_host_device_scalarIT1_EES3_PKS3_PKT2_SC_S9_PKT4_PKT5_S7_PT6_21rocsparse_index_base_b,comdat
.Lfunc_end36:
	.size	_ZN9rocsparseL18bsrxmvn_4x4_kernelILj128ELj8E21rocsparse_complex_numIdEliS2_S2_S2_EEvT3_20rocsparse_direction_NS_24const_host_device_scalarIT1_EES3_PKS3_PKT2_SC_S9_PKT4_PKT5_S7_PT6_21rocsparse_index_base_b, .Lfunc_end36-_ZN9rocsparseL18bsrxmvn_4x4_kernelILj128ELj8E21rocsparse_complex_numIdEliS2_S2_S2_EEvT3_20rocsparse_direction_NS_24const_host_device_scalarIT1_EES3_PKS3_PKT2_SC_S9_PKT4_PKT5_S7_PT6_21rocsparse_index_base_b
                                        ; -- End function
	.set _ZN9rocsparseL18bsrxmvn_4x4_kernelILj128ELj8E21rocsparse_complex_numIdEliS2_S2_S2_EEvT3_20rocsparse_direction_NS_24const_host_device_scalarIT1_EES3_PKS3_PKT2_SC_S9_PKT4_PKT5_S7_PT6_21rocsparse_index_base_b.num_vgpr, 85
	.set _ZN9rocsparseL18bsrxmvn_4x4_kernelILj128ELj8E21rocsparse_complex_numIdEliS2_S2_S2_EEvT3_20rocsparse_direction_NS_24const_host_device_scalarIT1_EES3_PKS3_PKT2_SC_S9_PKT4_PKT5_S7_PT6_21rocsparse_index_base_b.num_agpr, 0
	.set _ZN9rocsparseL18bsrxmvn_4x4_kernelILj128ELj8E21rocsparse_complex_numIdEliS2_S2_S2_EEvT3_20rocsparse_direction_NS_24const_host_device_scalarIT1_EES3_PKS3_PKT2_SC_S9_PKT4_PKT5_S7_PT6_21rocsparse_index_base_b.numbered_sgpr, 22
	.set _ZN9rocsparseL18bsrxmvn_4x4_kernelILj128ELj8E21rocsparse_complex_numIdEliS2_S2_S2_EEvT3_20rocsparse_direction_NS_24const_host_device_scalarIT1_EES3_PKS3_PKT2_SC_S9_PKT4_PKT5_S7_PT6_21rocsparse_index_base_b.num_named_barrier, 0
	.set _ZN9rocsparseL18bsrxmvn_4x4_kernelILj128ELj8E21rocsparse_complex_numIdEliS2_S2_S2_EEvT3_20rocsparse_direction_NS_24const_host_device_scalarIT1_EES3_PKS3_PKT2_SC_S9_PKT4_PKT5_S7_PT6_21rocsparse_index_base_b.private_seg_size, 0
	.set _ZN9rocsparseL18bsrxmvn_4x4_kernelILj128ELj8E21rocsparse_complex_numIdEliS2_S2_S2_EEvT3_20rocsparse_direction_NS_24const_host_device_scalarIT1_EES3_PKS3_PKT2_SC_S9_PKT4_PKT5_S7_PT6_21rocsparse_index_base_b.uses_vcc, 1
	.set _ZN9rocsparseL18bsrxmvn_4x4_kernelILj128ELj8E21rocsparse_complex_numIdEliS2_S2_S2_EEvT3_20rocsparse_direction_NS_24const_host_device_scalarIT1_EES3_PKS3_PKT2_SC_S9_PKT4_PKT5_S7_PT6_21rocsparse_index_base_b.uses_flat_scratch, 0
	.set _ZN9rocsparseL18bsrxmvn_4x4_kernelILj128ELj8E21rocsparse_complex_numIdEliS2_S2_S2_EEvT3_20rocsparse_direction_NS_24const_host_device_scalarIT1_EES3_PKS3_PKT2_SC_S9_PKT4_PKT5_S7_PT6_21rocsparse_index_base_b.has_dyn_sized_stack, 0
	.set _ZN9rocsparseL18bsrxmvn_4x4_kernelILj128ELj8E21rocsparse_complex_numIdEliS2_S2_S2_EEvT3_20rocsparse_direction_NS_24const_host_device_scalarIT1_EES3_PKS3_PKT2_SC_S9_PKT4_PKT5_S7_PT6_21rocsparse_index_base_b.has_recursion, 0
	.set _ZN9rocsparseL18bsrxmvn_4x4_kernelILj128ELj8E21rocsparse_complex_numIdEliS2_S2_S2_EEvT3_20rocsparse_direction_NS_24const_host_device_scalarIT1_EES3_PKS3_PKT2_SC_S9_PKT4_PKT5_S7_PT6_21rocsparse_index_base_b.has_indirect_call, 0
	.section	.AMDGPU.csdata,"",@progbits
; Kernel info:
; codeLenInByte = 10000
; TotalNumSgprs: 26
; NumVgprs: 85
; ScratchSize: 0
; MemoryBound: 1
; FloatMode: 240
; IeeeMode: 1
; LDSByteSize: 0 bytes/workgroup (compile time only)
; SGPRBlocks: 3
; VGPRBlocks: 21
; NumSGPRsForWavesPerEU: 26
; NumVGPRsForWavesPerEU: 85
; Occupancy: 2
; WaveLimiterHint : 1
; COMPUTE_PGM_RSRC2:SCRATCH_EN: 0
; COMPUTE_PGM_RSRC2:USER_SGPR: 6
; COMPUTE_PGM_RSRC2:TRAP_HANDLER: 0
; COMPUTE_PGM_RSRC2:TGID_X_EN: 1
; COMPUTE_PGM_RSRC2:TGID_Y_EN: 0
; COMPUTE_PGM_RSRC2:TGID_Z_EN: 0
; COMPUTE_PGM_RSRC2:TIDIG_COMP_CNT: 0
	.section	.text._ZN9rocsparseL18bsrxmvn_4x4_kernelILj128ELj16E21rocsparse_complex_numIdEliS2_S2_S2_EEvT3_20rocsparse_direction_NS_24const_host_device_scalarIT1_EES3_PKS3_PKT2_SC_S9_PKT4_PKT5_S7_PT6_21rocsparse_index_base_b,"axG",@progbits,_ZN9rocsparseL18bsrxmvn_4x4_kernelILj128ELj16E21rocsparse_complex_numIdEliS2_S2_S2_EEvT3_20rocsparse_direction_NS_24const_host_device_scalarIT1_EES3_PKS3_PKT2_SC_S9_PKT4_PKT5_S7_PT6_21rocsparse_index_base_b,comdat
	.globl	_ZN9rocsparseL18bsrxmvn_4x4_kernelILj128ELj16E21rocsparse_complex_numIdEliS2_S2_S2_EEvT3_20rocsparse_direction_NS_24const_host_device_scalarIT1_EES3_PKS3_PKT2_SC_S9_PKT4_PKT5_S7_PT6_21rocsparse_index_base_b ; -- Begin function _ZN9rocsparseL18bsrxmvn_4x4_kernelILj128ELj16E21rocsparse_complex_numIdEliS2_S2_S2_EEvT3_20rocsparse_direction_NS_24const_host_device_scalarIT1_EES3_PKS3_PKT2_SC_S9_PKT4_PKT5_S7_PT6_21rocsparse_index_base_b
	.p2align	8
	.type	_ZN9rocsparseL18bsrxmvn_4x4_kernelILj128ELj16E21rocsparse_complex_numIdEliS2_S2_S2_EEvT3_20rocsparse_direction_NS_24const_host_device_scalarIT1_EES3_PKS3_PKT2_SC_S9_PKT4_PKT5_S7_PT6_21rocsparse_index_base_b,@function
_ZN9rocsparseL18bsrxmvn_4x4_kernelILj128ELj16E21rocsparse_complex_numIdEliS2_S2_S2_EEvT3_20rocsparse_direction_NS_24const_host_device_scalarIT1_EES3_PKS3_PKT2_SC_S9_PKT4_PKT5_S7_PT6_21rocsparse_index_base_b: ; @_ZN9rocsparseL18bsrxmvn_4x4_kernelILj128ELj16E21rocsparse_complex_numIdEliS2_S2_S2_EEvT3_20rocsparse_direction_NS_24const_host_device_scalarIT1_EES3_PKS3_PKT2_SC_S9_PKT4_PKT5_S7_PT6_21rocsparse_index_base_b
; %bb.0:
	s_load_dwordx2 s[0:1], s[4:5], 0x8
	s_load_dwordx2 s[16:17], s[4:5], 0x68
	s_add_u32 s7, s4, 8
	s_addc_u32 s8, s5, 0
	s_add_u32 s9, s4, 0x50
	s_addc_u32 s10, s5, 0
	s_waitcnt lgkmcnt(0)
	s_bitcmp1_b32 s17, 0
	s_cselect_b32 s1, s8, s1
	s_cselect_b32 s0, s7, s0
	v_mov_b32_e32 v1, s0
	v_mov_b32_e32 v2, s1
	flat_load_dwordx4 v[5:8], v[1:2]
	s_load_dwordx2 s[2:3], s[4:5], 0x50
	s_waitcnt lgkmcnt(0)
	s_cselect_b32 s0, s10, s3
	s_cselect_b32 s1, s9, s2
	v_mov_b32_e32 v1, s1
	v_mov_b32_e32 v2, s0
	flat_load_dwordx4 v[1:4], v[1:2]
	s_waitcnt vmcnt(0)
	v_cmp_eq_f64_e32 vcc, 0, v[5:6]
	v_cmp_eq_f64_e64 s[0:1], 0, v[7:8]
	s_and_b64 s[8:9], vcc, s[0:1]
	s_mov_b64 s[0:1], -1
	s_and_saveexec_b64 s[2:3], s[8:9]
	s_cbranch_execz .LBB37_2
; %bb.1:
	s_waitcnt lgkmcnt(0)
	v_cmp_neq_f64_e32 vcc, 1.0, v[1:2]
	v_cmp_neq_f64_e64 s[0:1], 0, v[3:4]
	s_or_b64 s[0:1], vcc, s[0:1]
	s_orn2_b64 s[0:1], s[0:1], exec
.LBB37_2:
	s_or_b64 exec, exec, s[2:3]
	s_and_saveexec_b64 s[2:3], s[0:1]
	s_cbranch_execz .LBB37_8
; %bb.3:
	s_load_dwordx2 s[8:9], s[4:5], 0x20
	s_load_dwordx2 s[0:1], s[4:5], 0x0
	v_lshrrev_b32_e32 v9, 4, v0
	v_lshl_or_b32 v21, s6, 3, v9
	s_mov_b64 s[2:3], 0
	s_waitcnt lgkmcnt(0)
	s_cmp_lg_u64 s[8:9], 0
	s_cbranch_scc0 .LBB37_9
; %bb.4:
	s_load_dword s6, s[4:5], 0x18
                                        ; implicit-def: $vgpr9
	s_waitcnt lgkmcnt(0)
	v_cmp_gt_i32_e32 vcc, s6, v21
	s_and_saveexec_b64 s[6:7], vcc
	s_xor_b64 s[6:7], exec, s[6:7]
	s_cbranch_execz .LBB37_6
; %bb.5:
	v_ashrrev_i32_e32 v22, 31, v21
	v_lshlrev_b64 v[9:10], 2, v[21:22]
	v_mov_b32_e32 v11, s9
	v_add_co_u32_e32 v9, vcc, s8, v9
	v_addc_co_u32_e32 v10, vcc, v11, v10, vcc
	global_load_dword v9, v[9:10], off
	s_mov_b64 s[2:3], exec
	s_waitcnt vmcnt(0)
	v_subrev_u32_e32 v9, s16, v9
.LBB37_6:
	s_or_b64 exec, exec, s[6:7]
	s_branch .LBB37_10
.LBB37_7:
	v_cmp_gt_i32_e32 vcc, s0, v21
	s_andn2_b64 s[2:3], s[2:3], exec
	s_and_b64 s[6:7], vcc, exec
	s_or_b64 s[2:3], s[2:3], s[6:7]
	s_and_b64 exec, exec, s[2:3]
	s_cbranch_execnz .LBB37_11
.LBB37_8:
	s_endpgm
.LBB37_9:
                                        ; implicit-def: $vgpr9
	s_cbranch_execnz .LBB37_7
.LBB37_10:
	v_mov_b32_e32 v21, v9
	s_and_b64 exec, exec, s[2:3]
	s_cbranch_execz .LBB37_8
.LBB37_11:
	s_load_dwordx8 s[8:15], s[4:5], 0x28
	v_ashrrev_i32_e32 v22, 31, v21
	v_lshlrev_b64 v[9:10], 3, v[21:22]
	v_and_b32_e32 v0, 15, v0
	s_waitcnt lgkmcnt(0)
	v_mov_b32_e32 v12, s9
	v_add_co_u32_e32 v11, vcc, s8, v9
	v_addc_co_u32_e32 v12, vcc, v12, v10, vcc
	global_load_dwordx2 v[15:16], v[11:12], off
	v_add_co_u32_e32 v11, vcc, 8, v11
	v_addc_co_u32_e32 v12, vcc, 0, v12, vcc
	v_mov_b32_e32 v13, s11
	v_add_co_u32_e32 v9, vcc, s10, v9
	s_cmp_eq_u64 s[10:11], 0
	v_addc_co_u32_e32 v10, vcc, v13, v10, vcc
	s_cselect_b64 vcc, -1, 0
	v_cndmask_b32_e32 v10, v10, v12, vcc
	v_cndmask_b32_e32 v9, v9, v11, vcc
	global_load_dwordx2 v[11:12], v[9:10], off
	s_load_dwordx2 s[10:11], s[4:5], 0x48
	v_mov_b32_e32 v17, s15
	s_cmp_eq_u32 s1, 1
	s_waitcnt vmcnt(1)
	v_subrev_co_u32_e32 v9, vcc, s16, v15
	v_subbrev_co_u32_e32 v10, vcc, 0, v16, vcc
	v_add_co_u32_e32 v9, vcc, v9, v0
	v_addc_co_u32_e32 v10, vcc, 0, v10, vcc
	v_lshlrev_b64 v[13:14], 8, v[9:10]
	s_waitcnt vmcnt(0)
	v_subrev_co_u32_e32 v11, vcc, s16, v11
	v_subbrev_co_u32_e32 v12, vcc, 0, v12, vcc
	v_cmp_lt_i64_e64 s[0:1], v[9:10], v[11:12]
	v_add_co_u32_e32 v13, vcc, s14, v13
	v_addc_co_u32_e32 v14, vcc, v17, v14, vcc
	s_cbranch_scc1 .LBB37_23
; %bb.12:
	v_mov_b32_e32 v36, 0
	v_mov_b32_e32 v38, 0
	;; [unrolled: 1-line block ×16, first 2 shown]
	s_and_saveexec_b64 s[14:15], s[0:1]
	s_cbranch_execz .LBB37_22
; %bb.13:
	v_or_b32_e32 v17, 16, v0
	v_subrev_co_u32_e32 v17, vcc, s16, v17
	v_subb_co_u32_e64 v18, s[2:3], 0, 0, vcc
	v_add_co_u32_e32 v17, vcc, v17, v15
	v_addc_co_u32_e32 v18, vcc, v18, v16, vcc
	v_cmp_gt_i64_e32 vcc, v[17:18], v[11:12]
	v_not_b32_e32 v20, v15
	v_cndmask_b32_e32 v18, v12, v18, vcc
	v_cndmask_b32_e32 v17, v11, v17, vcc
	v_sub_co_u32_e32 v22, vcc, s16, v0
	v_not_b32_e32 v19, v16
	v_subb_co_u32_e64 v23, s[2:3], 0, 0, vcc
	v_add_co_u32_e32 v20, vcc, v22, v20
	v_addc_co_u32_e32 v19, vcc, v23, v19, vcc
	v_add_co_u32_e32 v22, vcc, v20, v17
	v_addc_co_u32_e32 v23, vcc, v19, v18, vcc
	v_and_b32_e32 v17, 48, v22
	v_mov_b32_e32 v18, 0
	v_cmp_ne_u64_e32 vcc, 48, v[17:18]
	v_mov_b32_e32 v32, 0
	v_mov_b32_e32 v34, 0
	v_mov_b32_e32 v24, 0
	v_mov_b32_e32 v26, 0
	v_mov_b32_e32 v28, 0
	v_mov_b32_e32 v30, 0
	v_mov_b32_e32 v38, 0
	v_mov_b32_e32 v36, 0
	v_mov_b32_e32 v20, v14
	v_mov_b32_e32 v18, v10
	v_mov_b32_e32 v33, 0
	v_mov_b32_e32 v35, 0
	v_mov_b32_e32 v25, 0
	v_mov_b32_e32 v27, 0
	v_mov_b32_e32 v29, 0
	v_mov_b32_e32 v31, 0
	v_mov_b32_e32 v39, 0
	v_mov_b32_e32 v37, 0
	v_mov_b32_e32 v19, v13
	v_mov_b32_e32 v17, v9
	s_and_saveexec_b64 s[18:19], vcc
	s_cbranch_execz .LBB37_17
; %bb.14:
	v_lshrrev_b32_e32 v17, 4, v22
	v_add_u32_e32 v17, 1, v17
	v_and_b32_e32 v19, 3, v17
	v_lshlrev_b64 v[17:18], 2, v[9:10]
	v_mov_b32_e32 v20, s13
	v_add_co_u32_e32 v40, vcc, s12, v17
	v_addc_co_u32_e32 v41, vcc, v20, v18, vcc
	v_sub_co_u32_e32 v42, vcc, 0, v19
	v_mov_b32_e32 v36, 0
	v_mov_b32_e32 v18, v10
	v_mov_b32_e32 v38, 0
	v_mov_b32_e32 v30, 0
	v_mov_b32_e32 v28, 0
	v_mov_b32_e32 v26, 0
	v_mov_b32_e32 v24, 0
	v_mov_b32_e32 v34, 0
	v_mov_b32_e32 v32, 0
	v_mov_b32_e32 v20, v14
	s_mov_b64 s[20:21], 0
	v_subb_co_u32_e64 v43, s[2:3], 0, 0, vcc
	v_mov_b32_e32 v37, 0
	s_movk_i32 s17, 0x1000
	s_waitcnt lgkmcnt(0)
	v_mov_b32_e32 v44, s11
	v_mov_b32_e32 v17, v9
	;; [unrolled: 1-line block ×10, first 2 shown]
.LBB37_15:                              ; =>This Inner Loop Header: Depth=1
	global_load_dword v65, v[40:41], off
	global_load_dwordx4 v[45:48], v[19:20], off
	global_load_dwordx4 v[49:52], v[19:20], off offset:64
	global_load_dwordx4 v[53:56], v[19:20], off offset:128
	;; [unrolled: 1-line block ×4, first 2 shown]
	v_add_co_u32_e64 v17, s[2:3], 16, v17
	v_add_co_u32_e64 v40, s[6:7], 64, v40
	;; [unrolled: 1-line block ×3, first 2 shown]
	v_addc_co_u32_e64 v18, s[2:3], 0, v18, s[2:3]
	v_addc_co_u32_e64 v41, s[2:3], 0, v41, s[6:7]
	;; [unrolled: 1-line block ×3, first 2 shown]
	v_cmp_eq_u64_e64 s[2:3], 0, v[42:43]
	s_or_b64 s[20:21], s[2:3], s[20:21]
	s_waitcnt vmcnt(5)
	v_subrev_u32_e32 v65, s16, v65
	v_lshlrev_b32_e32 v65, 2, v65
	v_ashrrev_i32_e32 v66, 31, v65
	v_lshlrev_b64 v[65:66], 4, v[65:66]
	v_add_co_u32_e32 v69, vcc, s10, v65
	v_addc_co_u32_e32 v70, vcc, v44, v66, vcc
	global_load_dwordx4 v[65:68], v[69:70], off
	s_waitcnt vmcnt(0)
	v_fma_f64 v[38:39], v[45:46], v[65:66], v[38:39]
	v_fma_f64 v[36:37], v[47:48], v[65:66], v[36:37]
	;; [unrolled: 1-line block ×8, first 2 shown]
	v_fma_f64 v[71:72], -v[47:48], v[67:68], v[38:39]
	v_fma_f64 v[73:74], v[45:46], v[67:68], v[36:37]
	global_load_dwordx4 v[36:39], v[19:20], off offset:80
	v_fma_f64 v[75:76], -v[51:52], v[67:68], v[34:35]
	v_fma_f64 v[77:78], v[49:50], v[67:68], v[32:33]
	global_load_dwordx4 v[32:35], v[19:20], off offset:144
	;; [unrolled: 3-line block ×4, first 2 shown]
	global_load_dwordx4 v[45:48], v[69:70], off offset:16
	s_waitcnt vmcnt(0)
	v_fma_f64 v[49:50], v[61:62], v[45:46], v[71:72]
	v_fma_f64 v[51:52], v[63:64], v[45:46], v[73:74]
	v_fma_f64 v[65:66], v[36:37], v[45:46], v[75:76]
	v_fma_f64 v[67:68], v[38:39], v[45:46], v[77:78]
	v_fma_f64 v[55:56], v[32:33], v[45:46], v[55:56]
	v_fma_f64 v[53:54], v[34:35], v[45:46], v[53:54]
	v_fma_f64 v[59:60], v[24:25], v[45:46], v[59:60]
	v_fma_f64 v[45:46], v[26:27], v[45:46], v[57:58]
	v_fma_f64 v[63:64], -v[63:64], v[47:48], v[49:50]
	v_fma_f64 v[61:62], v[61:62], v[47:48], v[51:52]
	global_load_dwordx4 v[49:52], v[19:20], off offset:96
	v_fma_f64 v[65:66], -v[38:39], v[47:48], v[65:66]
	v_fma_f64 v[67:68], v[36:37], v[47:48], v[67:68]
	global_load_dwordx4 v[36:39], v[19:20], off offset:160
	;; [unrolled: 3-line block ×4, first 2 shown]
	global_load_dwordx4 v[45:48], v[69:70], off offset:32
	s_waitcnt vmcnt(0)
	v_fma_f64 v[57:58], v[28:29], v[45:46], v[63:64]
	v_fma_f64 v[59:60], v[30:31], v[45:46], v[61:62]
	v_fma_f64 v[55:56], v[36:37], v[45:46], v[55:56]
	v_fma_f64 v[53:54], v[38:39], v[45:46], v[53:54]
	v_fma_f64 v[61:62], -v[30:31], v[47:48], v[57:58]
	v_fma_f64 v[63:64], v[28:29], v[47:48], v[59:60]
	v_fma_f64 v[57:58], v[49:50], v[45:46], v[65:66]
	;; [unrolled: 1-line block ×3, first 2 shown]
	global_load_dwordx4 v[28:31], v[19:20], off offset:112
	v_fma_f64 v[38:39], -v[38:39], v[47:48], v[55:56]
	v_fma_f64 v[36:37], v[36:37], v[47:48], v[53:54]
	v_fma_f64 v[65:66], -v[51:52], v[47:48], v[57:58]
	v_fma_f64 v[67:68], v[49:50], v[47:48], v[59:60]
	global_load_dwordx4 v[49:52], v[19:20], off offset:176
	global_load_dwordx4 v[53:56], v[19:20], off offset:240
	;; [unrolled: 1-line block ×3, first 2 shown]
	v_fma_f64 v[69:70], v[32:33], v[45:46], v[71:72]
	v_fma_f64 v[45:46], v[34:35], v[45:46], v[73:74]
	v_add_co_u32_e32 v19, vcc, s17, v19
	v_addc_co_u32_e32 v20, vcc, 0, v20, vcc
	v_fma_f64 v[34:35], -v[34:35], v[47:48], v[69:70]
	v_fma_f64 v[32:33], v[32:33], v[47:48], v[45:46]
	s_waitcnt vmcnt(0)
	v_fma_f64 v[45:46], v[24:25], v[57:58], v[61:62]
	v_fma_f64 v[47:48], v[26:27], v[57:58], v[63:64]
	;; [unrolled: 1-line block ×8, first 2 shown]
	v_fma_f64 v[38:39], -v[26:27], v[59:60], v[45:46]
	v_fma_f64 v[36:37], v[24:25], v[59:60], v[47:48]
	v_fma_f64 v[34:35], -v[30:31], v[59:60], v[61:62]
	v_fma_f64 v[32:33], v[28:29], v[59:60], v[63:64]
	;; [unrolled: 2-line block ×4, first 2 shown]
	s_andn2_b64 exec, exec, s[20:21]
	s_cbranch_execnz .LBB37_15
; %bb.16:
	s_or_b64 exec, exec, s[20:21]
.LBB37_17:
	s_or_b64 exec, exec, s[18:19]
	v_cmp_lt_u64_e32 vcc, 47, v[22:23]
	s_and_saveexec_b64 s[6:7], vcc
	s_cbranch_execz .LBB37_21
; %bb.18:
	v_lshlrev_b64 v[22:23], 2, v[17:18]
	v_mov_b32_e32 v40, s13
	v_add_co_u32_e32 v22, vcc, s12, v22
	v_addc_co_u32_e32 v23, vcc, v40, v23, vcc
	v_add_co_u32_e32 v22, vcc, 0x80, v22
	v_addc_co_u32_e32 v23, vcc, 0, v23, vcc
	s_mov_b64 s[8:9], 0
	s_waitcnt lgkmcnt(0)
	v_mov_b32_e32 v42, s11
	s_movk_i32 s17, 0x1000
	s_movk_i32 s18, 0x2000
	;; [unrolled: 1-line block ×3, first 2 shown]
.LBB37_19:                              ; =>This Inner Loop Header: Depth=1
	global_load_dword v40, v[22:23], off offset:-128
	global_load_dwordx4 v[43:46], v[19:20], off offset:48
	global_load_dwordx4 v[47:50], v[19:20], off offset:32
	;; [unrolled: 1-line block ×3, first 2 shown]
	global_load_dwordx4 v[55:58], v[19:20], off
	s_waitcnt vmcnt(4)
	v_subrev_u32_e32 v40, s16, v40
	v_lshlrev_b32_e32 v40, 2, v40
	v_ashrrev_i32_e32 v41, 31, v40
	v_lshlrev_b64 v[40:41], 4, v[40:41]
	v_add_co_u32_e32 v40, vcc, s10, v40
	v_addc_co_u32_e32 v41, vcc, v42, v41, vcc
	global_load_dwordx4 v[59:62], v[40:41], off offset:48
	global_load_dwordx4 v[63:66], v[40:41], off offset:32
	;; [unrolled: 1-line block ×3, first 2 shown]
	global_load_dwordx4 v[71:74], v[40:41], off
	s_waitcnt vmcnt(0)
	v_fma_f64 v[38:39], v[55:56], v[71:72], v[38:39]
	v_fma_f64 v[36:37], v[57:58], v[71:72], v[36:37]
	v_fma_f64 v[38:39], -v[57:58], v[73:74], v[38:39]
	v_fma_f64 v[36:37], v[55:56], v[73:74], v[36:37]
	v_fma_f64 v[38:39], v[51:52], v[67:68], v[38:39]
	v_fma_f64 v[36:37], v[53:54], v[67:68], v[36:37]
	v_fma_f64 v[38:39], -v[53:54], v[69:70], v[38:39]
	v_fma_f64 v[36:37], v[51:52], v[69:70], v[36:37]
	v_fma_f64 v[38:39], v[47:48], v[63:64], v[38:39]
	v_fma_f64 v[36:37], v[49:50], v[63:64], v[36:37]
	v_fma_f64 v[38:39], -v[49:50], v[65:66], v[38:39]
	v_fma_f64 v[36:37], v[47:48], v[65:66], v[36:37]
	v_fma_f64 v[38:39], v[43:44], v[59:60], v[38:39]
	v_fma_f64 v[36:37], v[45:46], v[59:60], v[36:37]
	v_fma_f64 v[40:41], -v[45:46], v[61:62], v[38:39]
	v_fma_f64 v[75:76], v[43:44], v[61:62], v[36:37]
	global_load_dwordx4 v[36:39], v[19:20], off offset:112
	global_load_dwordx4 v[43:46], v[19:20], off offset:96
	global_load_dwordx4 v[47:50], v[19:20], off offset:80
	global_load_dwordx4 v[51:54], v[19:20], off offset:64
	s_waitcnt vmcnt(0)
	v_fma_f64 v[34:35], v[51:52], v[71:72], v[34:35]
	v_fma_f64 v[32:33], v[53:54], v[71:72], v[32:33]
	v_fma_f64 v[34:35], -v[53:54], v[73:74], v[34:35]
	v_fma_f64 v[32:33], v[51:52], v[73:74], v[32:33]
	v_fma_f64 v[34:35], v[47:48], v[67:68], v[34:35]
	v_fma_f64 v[32:33], v[49:50], v[67:68], v[32:33]
	v_fma_f64 v[34:35], -v[49:50], v[69:70], v[34:35]
	v_fma_f64 v[32:33], v[47:48], v[69:70], v[32:33]
	v_fma_f64 v[34:35], v[43:44], v[63:64], v[34:35]
	v_fma_f64 v[32:33], v[45:46], v[63:64], v[32:33]
	v_fma_f64 v[34:35], -v[45:46], v[65:66], v[34:35]
	v_fma_f64 v[32:33], v[43:44], v[65:66], v[32:33]
	v_fma_f64 v[34:35], v[36:37], v[59:60], v[34:35]
	v_fma_f64 v[32:33], v[38:39], v[59:60], v[32:33]
	v_fma_f64 v[77:78], -v[38:39], v[61:62], v[34:35]
	v_fma_f64 v[79:80], v[36:37], v[61:62], v[32:33]
	global_load_dwordx4 v[32:35], v[19:20], off offset:176
	global_load_dwordx4 v[36:39], v[19:20], off offset:160
	global_load_dwordx4 v[43:46], v[19:20], off offset:144
	global_load_dwordx4 v[47:50], v[19:20], off offset:128
	;; [unrolled: 21-line block ×3, first 2 shown]
	s_waitcnt vmcnt(0)
	v_fma_f64 v[30:31], v[43:44], v[71:72], v[30:31]
	v_fma_f64 v[28:29], v[45:46], v[71:72], v[28:29]
	v_fma_f64 v[30:31], -v[45:46], v[73:74], v[30:31]
	v_fma_f64 v[28:29], v[43:44], v[73:74], v[28:29]
	v_fma_f64 v[30:31], v[36:37], v[67:68], v[30:31]
	v_fma_f64 v[28:29], v[38:39], v[67:68], v[28:29]
	v_fma_f64 v[30:31], -v[38:39], v[69:70], v[30:31]
	v_fma_f64 v[28:29], v[36:37], v[69:70], v[28:29]
	;; [unrolled: 4-line block ×3, first 2 shown]
	v_fma_f64 v[30:31], v[24:25], v[59:60], v[30:31]
	v_fma_f64 v[63:64], -v[26:27], v[61:62], v[30:31]
	v_fma_f64 v[26:27], v[26:27], v[59:60], v[28:29]
	v_fma_f64 v[59:60], v[24:25], v[61:62], v[26:27]
	global_load_dword v24, v[22:23], off offset:-64
	v_add_co_u32_e32 v61, vcc, s17, v19
	v_addc_co_u32_e32 v62, vcc, 0, v20, vcc
	v_add_co_u32_e32 v71, vcc, s18, v19
	v_addc_co_u32_e32 v72, vcc, 0, v20, vcc
	s_waitcnt vmcnt(0)
	v_subrev_u32_e32 v24, s16, v24
	v_lshlrev_b32_e32 v43, 2, v24
	v_ashrrev_i32_e32 v44, 31, v43
	v_lshlrev_b64 v[43:44], 4, v[43:44]
	global_load_dwordx4 v[24:27], v[71:72], off offset:-4096
	global_load_dwordx4 v[28:31], v[61:62], off offset:48
	global_load_dwordx4 v[32:35], v[61:62], off offset:32
	;; [unrolled: 1-line block ×3, first 2 shown]
	v_add_co_u32_e32 v65, vcc, s10, v43
	v_addc_co_u32_e32 v66, vcc, v42, v44, vcc
	global_load_dwordx4 v[43:46], v[65:66], off offset:48
	global_load_dwordx4 v[47:50], v[65:66], off offset:32
	;; [unrolled: 1-line block ×3, first 2 shown]
	global_load_dwordx4 v[55:58], v[65:66], off
	s_waitcnt vmcnt(0)
	v_fma_f64 v[40:41], v[24:25], v[55:56], v[40:41]
	v_fma_f64 v[40:41], -v[26:27], v[57:58], v[40:41]
	v_fma_f64 v[26:27], v[26:27], v[55:56], v[75:76]
	v_fma_f64 v[24:25], v[24:25], v[57:58], v[26:27]
	;; [unrolled: 1-line block ×4, first 2 shown]
	v_fma_f64 v[26:27], -v[38:39], v[53:54], v[26:27]
	v_fma_f64 v[24:25], v[36:37], v[53:54], v[24:25]
	v_fma_f64 v[26:27], v[32:33], v[47:48], v[26:27]
	v_fma_f64 v[24:25], v[34:35], v[47:48], v[24:25]
	v_fma_f64 v[26:27], -v[34:35], v[49:50], v[26:27]
	v_fma_f64 v[24:25], v[32:33], v[49:50], v[24:25]
	v_fma_f64 v[26:27], v[28:29], v[43:44], v[26:27]
	;; [unrolled: 1-line block ×3, first 2 shown]
	v_fma_f64 v[40:41], -v[30:31], v[45:46], v[26:27]
	v_fma_f64 v[65:66], v[28:29], v[45:46], v[24:25]
	global_load_dwordx4 v[24:27], v[61:62], off offset:112
	global_load_dwordx4 v[28:31], v[61:62], off offset:96
	global_load_dwordx4 v[32:35], v[61:62], off offset:80
	global_load_dwordx4 v[36:39], v[61:62], off offset:64
	s_waitcnt vmcnt(0)
	v_fma_f64 v[67:68], v[36:37], v[55:56], v[77:78]
	v_fma_f64 v[67:68], -v[38:39], v[57:58], v[67:68]
	v_fma_f64 v[38:39], v[38:39], v[55:56], v[79:80]
	v_fma_f64 v[36:37], v[36:37], v[57:58], v[38:39]
	v_fma_f64 v[38:39], v[32:33], v[51:52], v[67:68]
	v_fma_f64 v[38:39], -v[34:35], v[53:54], v[38:39]
	v_fma_f64 v[34:35], v[34:35], v[51:52], v[36:37]
	v_fma_f64 v[32:33], v[32:33], v[53:54], v[34:35]
	v_fma_f64 v[34:35], v[28:29], v[47:48], v[38:39]
	v_fma_f64 v[34:35], -v[30:31], v[49:50], v[34:35]
	v_fma_f64 v[30:31], v[30:31], v[47:48], v[32:33]
	v_fma_f64 v[28:29], v[28:29], v[49:50], v[30:31]
	v_fma_f64 v[30:31], v[24:25], v[43:44], v[34:35]
	v_fma_f64 v[67:68], -v[26:27], v[45:46], v[30:31]
	v_fma_f64 v[26:27], v[26:27], v[43:44], v[28:29]
	v_fma_f64 v[69:70], v[24:25], v[45:46], v[26:27]
	global_load_dwordx4 v[24:27], v[61:62], off offset:176
	global_load_dwordx4 v[28:31], v[61:62], off offset:160
	global_load_dwordx4 v[32:35], v[61:62], off offset:144
	global_load_dwordx4 v[36:39], v[61:62], off offset:128
	s_waitcnt vmcnt(0)
	v_fma_f64 v[73:74], v[36:37], v[55:56], v[81:82]
	v_fma_f64 v[73:74], -v[38:39], v[57:58], v[73:74]
	v_fma_f64 v[38:39], v[38:39], v[55:56], v[83:84]
	v_fma_f64 v[36:37], v[36:37], v[57:58], v[38:39]
	v_fma_f64 v[38:39], v[32:33], v[51:52], v[73:74]
	v_fma_f64 v[38:39], -v[34:35], v[53:54], v[38:39]
	v_fma_f64 v[34:35], v[34:35], v[51:52], v[36:37]
	v_fma_f64 v[32:33], v[32:33], v[53:54], v[34:35]
	v_fma_f64 v[34:35], v[28:29], v[47:48], v[38:39]
	v_fma_f64 v[34:35], -v[30:31], v[49:50], v[34:35]
	v_fma_f64 v[30:31], v[30:31], v[47:48], v[32:33]
	v_fma_f64 v[28:29], v[28:29], v[49:50], v[30:31]
	v_fma_f64 v[30:31], v[24:25], v[43:44], v[34:35]
	v_fma_f64 v[73:74], -v[26:27], v[45:46], v[30:31]
	v_fma_f64 v[26:27], v[26:27], v[43:44], v[28:29]
	;; [unrolled: 21-line block ×3, first 2 shown]
	v_fma_f64 v[79:80], v[24:25], v[45:46], v[26:27]
	global_load_dword v24, v[22:23], off
	s_waitcnt vmcnt(0)
	v_subrev_u32_e32 v24, s16, v24
	v_lshlrev_b32_e32 v43, 2, v24
	v_ashrrev_i32_e32 v44, 31, v43
	v_lshlrev_b64 v[43:44], 4, v[43:44]
	global_load_dwordx4 v[24:27], v[71:72], off
	global_load_dwordx4 v[28:31], v[71:72], off offset:48
	global_load_dwordx4 v[32:35], v[71:72], off offset:32
	;; [unrolled: 1-line block ×3, first 2 shown]
	v_add_co_u32_e32 v59, vcc, s10, v43
	v_addc_co_u32_e32 v60, vcc, v42, v44, vcc
	global_load_dwordx4 v[43:46], v[59:60], off offset:48
	global_load_dwordx4 v[47:50], v[59:60], off offset:32
	;; [unrolled: 1-line block ×3, first 2 shown]
	global_load_dwordx4 v[55:58], v[59:60], off
	s_waitcnt vmcnt(0)
	v_fma_f64 v[40:41], v[24:25], v[55:56], v[40:41]
	v_fma_f64 v[40:41], -v[26:27], v[57:58], v[40:41]
	v_fma_f64 v[26:27], v[26:27], v[55:56], v[65:66]
	v_fma_f64 v[24:25], v[24:25], v[57:58], v[26:27]
	;; [unrolled: 1-line block ×4, first 2 shown]
	v_fma_f64 v[26:27], -v[38:39], v[53:54], v[26:27]
	v_fma_f64 v[24:25], v[36:37], v[53:54], v[24:25]
	v_fma_f64 v[26:27], v[32:33], v[47:48], v[26:27]
	;; [unrolled: 1-line block ×3, first 2 shown]
	v_fma_f64 v[26:27], -v[34:35], v[49:50], v[26:27]
	v_fma_f64 v[24:25], v[32:33], v[49:50], v[24:25]
	v_fma_f64 v[26:27], v[28:29], v[43:44], v[26:27]
	;; [unrolled: 1-line block ×3, first 2 shown]
	v_fma_f64 v[36:37], -v[30:31], v[45:46], v[26:27]
	v_fma_f64 v[38:39], v[28:29], v[45:46], v[24:25]
	global_load_dwordx4 v[24:27], v[71:72], off offset:112
	global_load_dwordx4 v[28:31], v[71:72], off offset:96
	;; [unrolled: 1-line block ×4, first 2 shown]
	s_waitcnt vmcnt(0)
	v_fma_f64 v[40:41], v[59:60], v[55:56], v[67:68]
	v_fma_f64 v[40:41], -v[61:62], v[57:58], v[40:41]
	v_fma_f64 v[61:62], v[61:62], v[55:56], v[69:70]
	v_fma_f64 v[40:41], v[32:33], v[51:52], v[40:41]
	v_fma_f64 v[59:60], v[59:60], v[57:58], v[61:62]
	v_fma_f64 v[40:41], -v[34:35], v[53:54], v[40:41]
	v_fma_f64 v[34:35], v[34:35], v[51:52], v[59:60]
	v_fma_f64 v[32:33], v[32:33], v[53:54], v[34:35]
	;; [unrolled: 4-line block ×4, first 2 shown]
	global_load_dwordx4 v[26:29], v[71:72], off offset:176
	global_load_dwordx4 v[59:62], v[71:72], off offset:160
	;; [unrolled: 1-line block ×4, first 2 shown]
	s_waitcnt vmcnt(0)
	v_fma_f64 v[24:25], v[67:68], v[55:56], v[73:74]
	v_fma_f64 v[30:31], v[69:70], v[55:56], v[75:76]
	v_fma_f64 v[24:25], -v[69:70], v[57:58], v[24:25]
	v_fma_f64 v[30:31], v[67:68], v[57:58], v[30:31]
	v_fma_f64 v[24:25], v[63:64], v[51:52], v[24:25]
	v_fma_f64 v[30:31], v[65:66], v[51:52], v[30:31]
	v_fma_f64 v[24:25], -v[65:66], v[53:54], v[24:25]
	v_fma_f64 v[30:31], v[63:64], v[53:54], v[30:31]
	v_fma_f64 v[24:25], v[59:60], v[47:48], v[24:25]
	v_fma_f64 v[30:31], v[61:62], v[47:48], v[30:31]
	v_fma_f64 v[24:25], -v[61:62], v[49:50], v[24:25]
	v_fma_f64 v[30:31], v[59:60], v[49:50], v[30:31]
	v_fma_f64 v[24:25], v[26:27], v[43:44], v[24:25]
	v_fma_f64 v[24:25], -v[28:29], v[45:46], v[24:25]
	v_fma_f64 v[28:29], v[28:29], v[43:44], v[30:31]
	v_fma_f64 v[26:27], v[26:27], v[45:46], v[28:29]
	global_load_dwordx4 v[59:62], v[71:72], off offset:240
	global_load_dwordx4 v[28:31], v[71:72], off offset:224
	;; [unrolled: 1-line block ×4, first 2 shown]
	s_waitcnt vmcnt(0)
	v_fma_f64 v[40:41], v[67:68], v[55:56], v[77:78]
	v_fma_f64 v[55:56], v[69:70], v[55:56], v[79:80]
	v_fma_f64 v[40:41], -v[69:70], v[57:58], v[40:41]
	v_fma_f64 v[55:56], v[67:68], v[57:58], v[55:56]
	v_fma_f64 v[40:41], v[63:64], v[51:52], v[40:41]
	;; [unrolled: 1-line block ×3, first 2 shown]
	v_fma_f64 v[40:41], -v[65:66], v[53:54], v[40:41]
	v_fma_f64 v[51:52], v[63:64], v[53:54], v[51:52]
	v_fma_f64 v[40:41], v[28:29], v[47:48], v[40:41]
	v_fma_f64 v[40:41], -v[30:31], v[49:50], v[40:41]
	v_fma_f64 v[30:31], v[30:31], v[47:48], v[51:52]
	v_fma_f64 v[28:29], v[28:29], v[49:50], v[30:31]
	;; [unrolled: 1-line block ×3, first 2 shown]
	global_load_dword v40, v[22:23], off offset:64
	v_fma_f64 v[28:29], v[61:62], v[43:44], v[28:29]
	v_fma_f64 v[30:31], -v[61:62], v[45:46], v[30:31]
	v_fma_f64 v[28:29], v[59:60], v[45:46], v[28:29]
	s_waitcnt vmcnt(0)
	v_subrev_u32_e32 v40, s16, v40
	v_lshlrev_b32_e32 v59, 2, v40
	v_ashrrev_i32_e32 v60, 31, v59
	v_add_co_u32_e32 v40, vcc, s19, v19
	v_lshlrev_b64 v[59:60], 4, v[59:60]
	v_addc_co_u32_e32 v41, vcc, 0, v20, vcc
	v_add_co_u32_e32 v75, vcc, s10, v59
	v_addc_co_u32_e32 v76, vcc, v42, v60, vcc
	global_load_dwordx4 v[43:46], v[40:41], off
	global_load_dwordx4 v[47:50], v[40:41], off offset:48
	global_load_dwordx4 v[51:54], v[40:41], off offset:32
	;; [unrolled: 1-line block ×6, first 2 shown]
	global_load_dwordx4 v[71:74], v[75:76], off
	v_add_co_u32_e32 v17, vcc, 64, v17
	v_addc_co_u32_e32 v18, vcc, 0, v18, vcc
	v_add_co_u32_e32 v22, vcc, 0x100, v22
	v_addc_co_u32_e32 v23, vcc, 0, v23, vcc
	v_cmp_ge_i64_e64 s[2:3], v[17:18], v[11:12]
	v_add_co_u32_e32 v19, vcc, 0x4000, v19
	v_addc_co_u32_e32 v20, vcc, 0, v20, vcc
	s_or_b64 s[8:9], s[2:3], s[8:9]
	s_waitcnt vmcnt(0)
	v_fma_f64 v[36:37], v[43:44], v[71:72], v[36:37]
	v_fma_f64 v[38:39], v[45:46], v[71:72], v[38:39]
	v_fma_f64 v[36:37], -v[45:46], v[73:74], v[36:37]
	v_fma_f64 v[38:39], v[43:44], v[73:74], v[38:39]
	v_fma_f64 v[36:37], v[55:56], v[67:68], v[36:37]
	v_fma_f64 v[38:39], v[57:58], v[67:68], v[38:39]
	v_fma_f64 v[36:37], -v[57:58], v[69:70], v[36:37]
	v_fma_f64 v[38:39], v[55:56], v[69:70], v[38:39]
	v_fma_f64 v[36:37], v[51:52], v[63:64], v[36:37]
	v_fma_f64 v[38:39], v[53:54], v[63:64], v[38:39]
	v_fma_f64 v[36:37], -v[53:54], v[65:66], v[36:37]
	v_fma_f64 v[43:44], v[51:52], v[65:66], v[38:39]
	v_fma_f64 v[36:37], v[47:48], v[59:60], v[36:37]
	v_fma_f64 v[38:39], -v[49:50], v[61:62], v[36:37]
	v_fma_f64 v[36:37], v[49:50], v[59:60], v[43:44]
	v_fma_f64 v[36:37], v[47:48], v[61:62], v[36:37]
	global_load_dwordx4 v[43:46], v[40:41], off offset:112
	global_load_dwordx4 v[47:50], v[40:41], off offset:96
	global_load_dwordx4 v[51:54], v[40:41], off offset:80
	global_load_dwordx4 v[55:58], v[40:41], off offset:64
	s_waitcnt vmcnt(0)
	v_fma_f64 v[32:33], v[55:56], v[71:72], v[32:33]
	v_fma_f64 v[34:35], v[57:58], v[71:72], v[34:35]
	v_fma_f64 v[32:33], -v[57:58], v[73:74], v[32:33]
	v_fma_f64 v[34:35], v[55:56], v[73:74], v[34:35]
	v_fma_f64 v[32:33], v[51:52], v[67:68], v[32:33]
	v_fma_f64 v[34:35], v[53:54], v[67:68], v[34:35]
	v_fma_f64 v[32:33], -v[53:54], v[69:70], v[32:33]
	v_fma_f64 v[34:35], v[51:52], v[69:70], v[34:35]
	v_fma_f64 v[32:33], v[47:48], v[63:64], v[32:33]
	v_fma_f64 v[34:35], v[49:50], v[63:64], v[34:35]
	v_fma_f64 v[32:33], -v[49:50], v[65:66], v[32:33]
	v_fma_f64 v[47:48], v[47:48], v[65:66], v[34:35]
	v_fma_f64 v[32:33], v[43:44], v[59:60], v[32:33]
	v_fma_f64 v[34:35], -v[45:46], v[61:62], v[32:33]
	v_fma_f64 v[32:33], v[45:46], v[59:60], v[47:48]
	v_fma_f64 v[32:33], v[43:44], v[61:62], v[32:33]
	global_load_dwordx4 v[43:46], v[40:41], off offset:176
	global_load_dwordx4 v[47:50], v[40:41], off offset:160
	global_load_dwordx4 v[51:54], v[40:41], off offset:144
	global_load_dwordx4 v[55:58], v[40:41], off offset:128
	;; [unrolled: 21-line block ×3, first 2 shown]
	s_waitcnt vmcnt(0)
	v_fma_f64 v[30:31], v[55:56], v[71:72], v[30:31]
	v_fma_f64 v[28:29], v[57:58], v[71:72], v[28:29]
	v_fma_f64 v[30:31], -v[57:58], v[73:74], v[30:31]
	v_fma_f64 v[28:29], v[55:56], v[73:74], v[28:29]
	v_fma_f64 v[30:31], v[51:52], v[67:68], v[30:31]
	v_fma_f64 v[28:29], v[53:54], v[67:68], v[28:29]
	v_fma_f64 v[30:31], -v[53:54], v[69:70], v[30:31]
	v_fma_f64 v[28:29], v[51:52], v[69:70], v[28:29]
	;; [unrolled: 4-line block ×4, first 2 shown]
	s_andn2_b64 exec, exec, s[8:9]
	s_cbranch_execnz .LBB37_19
; %bb.20:
	s_or_b64 exec, exec, s[8:9]
.LBB37_21:
	s_or_b64 exec, exec, s[6:7]
.LBB37_22:
	s_or_b64 exec, exec, s[14:15]
	s_cbranch_execz .LBB37_24
	s_branch .LBB37_35
.LBB37_23:
                                        ; implicit-def: $vgpr36_vgpr37
                                        ; implicit-def: $vgpr38_vgpr39
                                        ; implicit-def: $vgpr30_vgpr31
                                        ; implicit-def: $vgpr28_vgpr29
                                        ; implicit-def: $vgpr26_vgpr27
                                        ; implicit-def: $vgpr24_vgpr25
                                        ; implicit-def: $vgpr34_vgpr35
                                        ; implicit-def: $vgpr32_vgpr33
.LBB37_24:
	v_mov_b32_e32 v36, 0
	v_mov_b32_e32 v38, 0
	;; [unrolled: 1-line block ×16, first 2 shown]
	s_and_saveexec_b64 s[2:3], s[0:1]
	s_cbranch_execz .LBB37_34
; %bb.25:
	v_or_b32_e32 v17, 16, v0
	v_subrev_co_u32_e32 v17, vcc, s16, v17
	v_subb_co_u32_e64 v18, s[0:1], 0, 0, vcc
	v_add_co_u32_e32 v17, vcc, v17, v15
	v_addc_co_u32_e32 v18, vcc, v18, v16, vcc
	v_cmp_gt_i64_e32 vcc, v[17:18], v[11:12]
	v_not_b32_e32 v15, v15
	v_cndmask_b32_e32 v18, v12, v18, vcc
	v_cndmask_b32_e32 v17, v11, v17, vcc
	v_sub_co_u32_e32 v19, vcc, s16, v0
	v_not_b32_e32 v16, v16
	v_subb_co_u32_e64 v20, s[0:1], 0, 0, vcc
	v_add_co_u32_e32 v15, vcc, v19, v15
	v_addc_co_u32_e32 v16, vcc, v20, v16, vcc
	v_add_co_u32_e32 v15, vcc, v15, v17
	v_addc_co_u32_e32 v16, vcc, v16, v18, vcc
	v_and_b32_e32 v17, 48, v15
	v_mov_b32_e32 v18, 0
	v_cmp_ne_u64_e32 vcc, 48, v[17:18]
	v_mov_b32_e32 v32, 0
	v_mov_b32_e32 v34, 0
	;; [unrolled: 1-line block ×16, first 2 shown]
	s_and_saveexec_b64 s[0:1], vcc
	s_cbranch_execz .LBB37_29
; %bb.26:
	v_lshrrev_b32_e32 v17, 4, v15
	v_add_u32_e32 v17, 1, v17
	v_and_b32_e32 v19, 3, v17
	v_lshlrev_b64 v[17:18], 2, v[9:10]
	v_mov_b32_e32 v20, s13
	v_add_co_u32_e32 v17, vcc, s12, v17
	v_addc_co_u32_e32 v18, vcc, v20, v18, vcc
	v_sub_co_u32_e32 v19, vcc, 0, v19
	v_subb_co_u32_e64 v20, s[8:9], 0, 0, vcc
	v_mov_b32_e32 v36, 0
	v_mov_b32_e32 v38, 0
	;; [unrolled: 1-line block ×8, first 2 shown]
	s_mov_b64 s[6:7], 0
	v_mov_b32_e32 v37, 0
	s_movk_i32 s8, 0x1000
	v_mov_b32_e32 v39, 0
	v_mov_b32_e32 v31, 0
	v_mov_b32_e32 v29, 0
	v_mov_b32_e32 v27, 0
	v_mov_b32_e32 v25, 0
	v_mov_b32_e32 v35, 0
	v_mov_b32_e32 v33, 0
	s_waitcnt lgkmcnt(0)
	v_mov_b32_e32 v22, s11
.LBB37_27:                              ; =>This Inner Loop Header: Depth=1
	global_load_dword v23, v[17:18], off
	global_load_dwordx4 v[40:43], v[13:14], off offset:48
	global_load_dwordx4 v[44:47], v[13:14], off offset:32
	;; [unrolled: 1-line block ×3, first 2 shown]
	global_load_dwordx4 v[52:55], v[13:14], off
	s_waitcnt vmcnt(4)
	v_subrev_u32_e32 v23, s16, v23
	v_lshlrev_b32_e32 v56, 2, v23
	v_ashrrev_i32_e32 v57, 31, v56
	v_lshlrev_b64 v[56:57], 4, v[56:57]
	v_add_co_u32_e32 v72, vcc, s10, v56
	v_addc_co_u32_e32 v73, vcc, v22, v57, vcc
	global_load_dwordx4 v[56:59], v[72:73], off offset:48
	global_load_dwordx4 v[60:63], v[72:73], off offset:32
	;; [unrolled: 1-line block ×3, first 2 shown]
	global_load_dwordx4 v[68:71], v[72:73], off
	s_waitcnt vmcnt(0)
	v_fma_f64 v[23:24], v[46:47], v[68:69], v[24:25]
	v_fma_f64 v[38:39], v[52:53], v[68:69], v[38:39]
	v_fma_f64 v[34:35], v[48:49], v[68:69], v[34:35]
	v_fma_f64 v[26:27], v[44:45], v[68:69], v[26:27]
	v_fma_f64 v[36:37], v[54:55], v[68:69], v[36:37]
	v_fma_f64 v[32:33], v[50:51], v[68:69], v[32:33]
	v_fma_f64 v[44:45], v[44:45], v[70:71], v[23:24]
	v_fma_f64 v[23:24], v[40:41], v[68:69], v[30:31]
	v_fma_f64 v[72:73], -v[54:55], v[70:71], v[38:39]
	v_fma_f64 v[54:55], -v[50:51], v[70:71], v[34:35]
	;; [unrolled: 1-line block ×3, first 2 shown]
	v_fma_f64 v[52:53], v[52:53], v[70:71], v[36:37]
	v_fma_f64 v[48:49], v[48:49], v[70:71], v[32:33]
	v_fma_f64 v[46:47], -v[42:43], v[70:71], v[23:24]
	v_fma_f64 v[23:24], v[42:43], v[68:69], v[28:29]
	v_fma_f64 v[39:40], v[40:41], v[70:71], v[23:24]
	global_load_dwordx4 v[23:26], v[13:14], off offset:112
	global_load_dwordx4 v[27:30], v[13:14], off offset:96
	;; [unrolled: 1-line block ×4, first 2 shown]
	s_waitcnt vmcnt(0)
	v_fma_f64 v[41:42], v[35:36], v[64:65], v[72:73]
	v_fma_f64 v[41:42], -v[37:38], v[66:67], v[41:42]
	v_fma_f64 v[37:38], v[37:38], v[64:65], v[52:53]
	v_fma_f64 v[52:53], v[35:36], v[66:67], v[37:38]
	v_fma_f64 v[35:36], v[31:32], v[64:65], v[54:55]
	v_fma_f64 v[54:55], -v[33:34], v[66:67], v[35:36]
	v_fma_f64 v[33:34], v[33:34], v[64:65], v[48:49]
	v_fma_f64 v[48:49], v[31:32], v[66:67], v[33:34]
	;; [unrolled: 4-line block ×4, first 2 shown]
	global_load_dwordx4 v[23:26], v[13:14], off offset:176
	global_load_dwordx4 v[27:30], v[13:14], off offset:160
	;; [unrolled: 1-line block ×4, first 2 shown]
	s_waitcnt vmcnt(0)
	v_fma_f64 v[41:42], v[35:36], v[60:61], v[41:42]
	v_fma_f64 v[64:65], -v[37:38], v[62:63], v[41:42]
	v_fma_f64 v[41:42], v[31:32], v[60:61], v[54:55]
	v_fma_f64 v[37:38], v[37:38], v[60:61], v[52:53]
	v_fma_f64 v[52:53], -v[33:34], v[62:63], v[41:42]
	v_fma_f64 v[33:34], v[33:34], v[60:61], v[48:49]
	v_fma_f64 v[36:37], v[35:36], v[62:63], v[37:38]
	v_fma_f64 v[47:48], v[31:32], v[62:63], v[33:34]
	v_fma_f64 v[31:32], v[27:28], v[60:61], v[50:51]
	v_fma_f64 v[49:50], -v[29:30], v[62:63], v[31:32]
	v_fma_f64 v[29:30], v[29:30], v[60:61], v[43:44]
	v_fma_f64 v[54:55], v[27:28], v[62:63], v[29:30]
	;; [unrolled: 1-line block ×3, first 2 shown]
	v_fma_f64 v[44:45], -v[25:26], v[62:63], v[27:28]
	v_fma_f64 v[25:26], v[25:26], v[60:61], v[39:40]
	v_fma_f64 v[60:61], v[23:24], v[62:63], v[25:26]
	global_load_dwordx4 v[40:43], v[13:14], off offset:240
	global_load_dwordx4 v[28:31], v[13:14], off offset:224
	;; [unrolled: 1-line block ×4, first 2 shown]
	v_add_co_u32_e32 v13, vcc, s8, v13
	v_addc_co_u32_e32 v14, vcc, 0, v14, vcc
	v_add_co_u32_e32 v9, vcc, 16, v9
	v_addc_co_u32_e32 v10, vcc, 0, v10, vcc
	;; [unrolled: 2-line block ×4, first 2 shown]
	v_cmp_eq_u64_e32 vcc, 0, v[19:20]
	s_or_b64 s[6:7], vcc, s[6:7]
	s_waitcnt vmcnt(0)
	v_fma_f64 v[38:39], v[32:33], v[56:57], v[64:65]
	v_fma_f64 v[38:39], -v[34:35], v[58:59], v[38:39]
	v_fma_f64 v[34:35], v[34:35], v[56:57], v[36:37]
	v_fma_f64 v[36:37], v[32:33], v[58:59], v[34:35]
	v_fma_f64 v[32:33], v[23:24], v[56:57], v[52:53]
	v_fma_f64 v[34:35], -v[25:26], v[58:59], v[32:33]
	v_fma_f64 v[25:26], v[25:26], v[56:57], v[47:48]
	v_fma_f64 v[32:33], v[23:24], v[58:59], v[25:26]
	;; [unrolled: 4-line block ×4, first 2 shown]
	s_andn2_b64 exec, exec, s[6:7]
	s_cbranch_execnz .LBB37_27
; %bb.28:
	s_or_b64 exec, exec, s[6:7]
.LBB37_29:
	s_or_b64 exec, exec, s[0:1]
	v_cmp_lt_u64_e32 vcc, 47, v[15:16]
	s_and_saveexec_b64 s[6:7], vcc
	s_cbranch_execz .LBB37_33
; %bb.30:
	v_lshlrev_b64 v[15:16], 2, v[9:10]
	v_mov_b32_e32 v17, s13
	v_add_co_u32_e32 v15, vcc, s12, v15
	v_addc_co_u32_e32 v16, vcc, v17, v16, vcc
	v_add_co_u32_e32 v15, vcc, 0x80, v15
	v_addc_co_u32_e32 v16, vcc, 0, v16, vcc
	s_mov_b64 s[8:9], 0
	s_waitcnt lgkmcnt(0)
	v_mov_b32_e32 v40, s11
	s_movk_i32 s11, 0x1000
	s_movk_i32 s12, 0x2000
	;; [unrolled: 1-line block ×3, first 2 shown]
.LBB37_31:                              ; =>This Inner Loop Header: Depth=1
	global_load_dword v17, v[15:16], off offset:-128
	s_waitcnt vmcnt(0)
	v_subrev_u32_e32 v17, s16, v17
	v_lshlrev_b32_e32 v22, 2, v17
	v_ashrrev_i32_e32 v23, 31, v22
	v_lshlrev_b64 v[22:23], 4, v[22:23]
	global_load_dwordx4 v[17:20], v[13:14], off offset:48
	global_load_dwordx4 v[41:44], v[13:14], off offset:32
	;; [unrolled: 1-line block ×3, first 2 shown]
	global_load_dwordx4 v[49:52], v[13:14], off
	v_add_co_u32_e32 v22, vcc, s10, v22
	v_addc_co_u32_e32 v23, vcc, v40, v23, vcc
	global_load_dwordx4 v[53:56], v[22:23], off offset:48
	global_load_dwordx4 v[57:60], v[22:23], off offset:32
	global_load_dwordx4 v[61:64], v[22:23], off offset:16
	global_load_dwordx4 v[65:68], v[22:23], off
	s_waitcnt vmcnt(0)
	v_fma_f64 v[22:23], v[49:50], v[65:66], v[38:39]
	v_fma_f64 v[38:39], -v[51:52], v[67:68], v[22:23]
	v_fma_f64 v[22:23], v[51:52], v[65:66], v[36:37]
	v_fma_f64 v[36:37], v[49:50], v[67:68], v[22:23]
	v_fma_f64 v[22:23], v[45:46], v[65:66], v[34:35]
	v_fma_f64 v[34:35], -v[47:48], v[67:68], v[22:23]
	v_fma_f64 v[22:23], v[47:48], v[65:66], v[32:33]
	v_fma_f64 v[45:46], v[45:46], v[67:68], v[22:23]
	v_fma_f64 v[22:23], v[41:42], v[65:66], v[26:27]
	v_fma_f64 v[47:48], -v[43:44], v[67:68], v[22:23]
	v_fma_f64 v[22:23], v[43:44], v[65:66], v[24:25]
	v_fma_f64 v[41:42], v[41:42], v[67:68], v[22:23]
	v_fma_f64 v[22:23], v[17:18], v[65:66], v[30:31]
	v_fma_f64 v[43:44], -v[19:20], v[67:68], v[22:23]
	v_fma_f64 v[19:20], v[19:20], v[65:66], v[28:29]
	v_fma_f64 v[49:50], v[17:18], v[67:68], v[19:20]
	global_load_dwordx4 v[17:20], v[13:14], off offset:112
	global_load_dwordx4 v[22:25], v[13:14], off offset:96
	global_load_dwordx4 v[26:29], v[13:14], off offset:80
	global_load_dwordx4 v[30:33], v[13:14], off offset:64
	s_waitcnt vmcnt(0)
	v_fma_f64 v[38:39], v[30:31], v[61:62], v[38:39]
	v_fma_f64 v[38:39], -v[32:33], v[63:64], v[38:39]
	v_fma_f64 v[32:33], v[32:33], v[61:62], v[36:37]
	v_fma_f64 v[36:37], v[30:31], v[63:64], v[32:33]
	v_fma_f64 v[30:31], v[26:27], v[61:62], v[34:35]
	v_fma_f64 v[34:35], -v[28:29], v[63:64], v[30:31]
	v_fma_f64 v[28:29], v[28:29], v[61:62], v[45:46]
	v_fma_f64 v[45:46], v[26:27], v[63:64], v[28:29]
	v_fma_f64 v[26:27], v[22:23], v[61:62], v[47:48]
	v_fma_f64 v[47:48], -v[24:25], v[63:64], v[26:27]
	v_fma_f64 v[24:25], v[24:25], v[61:62], v[41:42]
	v_fma_f64 v[41:42], v[22:23], v[63:64], v[24:25]
	v_fma_f64 v[22:23], v[17:18], v[61:62], v[43:44]
	v_fma_f64 v[43:44], -v[19:20], v[63:64], v[22:23]
	v_fma_f64 v[19:20], v[19:20], v[61:62], v[49:50]
	v_fma_f64 v[49:50], v[17:18], v[63:64], v[19:20]
	global_load_dwordx4 v[17:20], v[13:14], off offset:176
	global_load_dwordx4 v[22:25], v[13:14], off offset:160
	global_load_dwordx4 v[26:29], v[13:14], off offset:144
	global_load_dwordx4 v[30:33], v[13:14], off offset:128
	;; [unrolled: 21-line block ×3, first 2 shown]
	s_waitcnt vmcnt(0)
	v_fma_f64 v[38:39], v[30:31], v[53:54], v[38:39]
	v_fma_f64 v[38:39], -v[32:33], v[55:56], v[38:39]
	v_fma_f64 v[32:33], v[32:33], v[53:54], v[36:37]
	v_fma_f64 v[57:58], v[30:31], v[55:56], v[32:33]
	v_fma_f64 v[30:31], v[26:27], v[53:54], v[34:35]
	v_fma_f64 v[59:60], -v[28:29], v[55:56], v[30:31]
	v_fma_f64 v[28:29], v[28:29], v[53:54], v[45:46]
	v_fma_f64 v[61:62], v[26:27], v[55:56], v[28:29]
	;; [unrolled: 4-line block ×4, first 2 shown]
	global_load_dword v17, v[15:16], off offset:-64
	v_add_co_u32_e32 v55, vcc, s11, v13
	v_addc_co_u32_e32 v56, vcc, 0, v14, vcc
	v_add_co_u32_e32 v69, vcc, s12, v13
	v_addc_co_u32_e32 v70, vcc, 0, v14, vcc
	s_waitcnt vmcnt(0)
	v_subrev_u32_e32 v17, s16, v17
	v_lshlrev_b32_e32 v34, 2, v17
	v_ashrrev_i32_e32 v35, 31, v34
	v_lshlrev_b64 v[34:35], 4, v[34:35]
	global_load_dwordx4 v[17:20], v[69:70], off offset:-4096
	global_load_dwordx4 v[22:25], v[55:56], off offset:48
	global_load_dwordx4 v[26:29], v[55:56], off offset:32
	global_load_dwordx4 v[30:33], v[55:56], off offset:16
	v_add_co_u32_e32 v71, vcc, s10, v34
	v_addc_co_u32_e32 v72, vcc, v40, v35, vcc
	global_load_dwordx4 v[34:37], v[71:72], off offset:48
	global_load_dwordx4 v[41:44], v[71:72], off offset:32
	;; [unrolled: 1-line block ×3, first 2 shown]
	global_load_dwordx4 v[49:52], v[71:72], off
	s_waitcnt vmcnt(0)
	v_fma_f64 v[38:39], v[17:18], v[49:50], v[38:39]
	v_fma_f64 v[38:39], -v[19:20], v[51:52], v[38:39]
	v_fma_f64 v[19:20], v[19:20], v[49:50], v[57:58]
	v_fma_f64 v[57:58], v[17:18], v[51:52], v[19:20]
	v_fma_f64 v[17:18], v[30:31], v[49:50], v[59:60]
	v_fma_f64 v[59:60], -v[32:33], v[51:52], v[17:18]
	v_fma_f64 v[17:18], v[32:33], v[49:50], v[61:62]
	v_fma_f64 v[61:62], v[30:31], v[51:52], v[17:18]
	v_fma_f64 v[17:18], v[26:27], v[49:50], v[63:64]
	v_fma_f64 v[63:64], -v[28:29], v[51:52], v[17:18]
	v_fma_f64 v[17:18], v[28:29], v[49:50], v[65:66]
	v_fma_f64 v[65:66], v[26:27], v[51:52], v[17:18]
	v_fma_f64 v[17:18], v[22:23], v[49:50], v[67:68]
	v_fma_f64 v[67:68], -v[24:25], v[51:52], v[17:18]
	v_fma_f64 v[17:18], v[24:25], v[49:50], v[53:54]
	v_fma_f64 v[49:50], v[22:23], v[51:52], v[17:18]
	global_load_dwordx4 v[17:20], v[55:56], off offset:112
	global_load_dwordx4 v[22:25], v[55:56], off offset:96
	global_load_dwordx4 v[26:29], v[55:56], off offset:80
	global_load_dwordx4 v[30:33], v[55:56], off offset:64
	s_waitcnt vmcnt(0)
	v_fma_f64 v[38:39], v[30:31], v[45:46], v[38:39]
	v_fma_f64 v[38:39], -v[32:33], v[47:48], v[38:39]
	v_fma_f64 v[32:33], v[32:33], v[45:46], v[57:58]
	v_fma_f64 v[51:52], v[30:31], v[47:48], v[32:33]
	v_fma_f64 v[30:31], v[26:27], v[45:46], v[59:60]
	v_fma_f64 v[53:54], -v[28:29], v[47:48], v[30:31]
	v_fma_f64 v[28:29], v[28:29], v[45:46], v[61:62]
	v_fma_f64 v[57:58], v[26:27], v[47:48], v[28:29]
	v_fma_f64 v[26:27], v[22:23], v[45:46], v[63:64]
	v_fma_f64 v[59:60], -v[24:25], v[47:48], v[26:27]
	v_fma_f64 v[24:25], v[24:25], v[45:46], v[65:66]
	v_fma_f64 v[61:62], v[22:23], v[47:48], v[24:25]
	v_fma_f64 v[22:23], v[17:18], v[45:46], v[67:68]
	v_fma_f64 v[63:64], -v[19:20], v[47:48], v[22:23]
	v_fma_f64 v[19:20], v[19:20], v[45:46], v[49:50]
	v_fma_f64 v[45:46], v[17:18], v[47:48], v[19:20]
	global_load_dwordx4 v[17:20], v[55:56], off offset:176
	global_load_dwordx4 v[22:25], v[55:56], off offset:160
	global_load_dwordx4 v[26:29], v[55:56], off offset:144
	global_load_dwordx4 v[30:33], v[55:56], off offset:128
	;; [unrolled: 21-line block ×3, first 2 shown]
	s_waitcnt vmcnt(0)
	v_fma_f64 v[38:39], v[30:31], v[34:35], v[38:39]
	v_fma_f64 v[38:39], -v[32:33], v[36:37], v[38:39]
	v_fma_f64 v[32:33], v[32:33], v[34:35], v[47:48]
	v_fma_f64 v[55:56], v[30:31], v[36:37], v[32:33]
	v_fma_f64 v[30:31], v[26:27], v[34:35], v[49:50]
	v_fma_f64 v[61:62], -v[28:29], v[36:37], v[30:31]
	v_fma_f64 v[28:29], v[28:29], v[34:35], v[51:52]
	v_fma_f64 v[63:64], v[26:27], v[36:37], v[28:29]
	;; [unrolled: 4-line block ×4, first 2 shown]
	global_load_dword v17, v[15:16], off
	s_waitcnt vmcnt(0)
	v_subrev_u32_e32 v17, s16, v17
	v_lshlrev_b32_e32 v34, 2, v17
	v_ashrrev_i32_e32 v35, 31, v34
	v_lshlrev_b64 v[34:35], 4, v[34:35]
	global_load_dwordx4 v[17:20], v[69:70], off
	global_load_dwordx4 v[22:25], v[69:70], off offset:48
	global_load_dwordx4 v[26:29], v[69:70], off offset:32
	;; [unrolled: 1-line block ×3, first 2 shown]
	v_add_co_u32_e32 v67, vcc, s10, v34
	v_addc_co_u32_e32 v68, vcc, v40, v35, vcc
	global_load_dwordx4 v[34:37], v[67:68], off offset:48
	global_load_dwordx4 v[41:44], v[67:68], off offset:32
	;; [unrolled: 1-line block ×3, first 2 shown]
	global_load_dwordx4 v[49:52], v[67:68], off
	s_waitcnt vmcnt(0)
	v_fma_f64 v[38:39], v[17:18], v[49:50], v[38:39]
	v_fma_f64 v[38:39], -v[19:20], v[51:52], v[38:39]
	v_fma_f64 v[19:20], v[19:20], v[49:50], v[55:56]
	v_fma_f64 v[55:56], v[17:18], v[51:52], v[19:20]
	v_fma_f64 v[17:18], v[30:31], v[49:50], v[61:62]
	v_fma_f64 v[61:62], -v[32:33], v[51:52], v[17:18]
	v_fma_f64 v[17:18], v[32:33], v[49:50], v[63:64]
	v_fma_f64 v[63:64], v[30:31], v[51:52], v[17:18]
	v_fma_f64 v[17:18], v[26:27], v[49:50], v[53:54]
	v_fma_f64 v[53:54], -v[28:29], v[51:52], v[17:18]
	v_fma_f64 v[17:18], v[28:29], v[49:50], v[57:58]
	v_fma_f64 v[57:58], v[26:27], v[51:52], v[17:18]
	v_fma_f64 v[17:18], v[22:23], v[49:50], v[59:60]
	v_fma_f64 v[59:60], -v[24:25], v[51:52], v[17:18]
	v_fma_f64 v[17:18], v[24:25], v[49:50], v[65:66]
	v_fma_f64 v[49:50], v[22:23], v[51:52], v[17:18]
	global_load_dwordx4 v[17:20], v[69:70], off offset:112
	global_load_dwordx4 v[22:25], v[69:70], off offset:96
	global_load_dwordx4 v[26:29], v[69:70], off offset:80
	global_load_dwordx4 v[30:33], v[69:70], off offset:64
	s_waitcnt vmcnt(0)
	v_fma_f64 v[38:39], v[30:31], v[45:46], v[38:39]
	v_fma_f64 v[38:39], -v[32:33], v[47:48], v[38:39]
	v_fma_f64 v[32:33], v[32:33], v[45:46], v[55:56]
	v_fma_f64 v[51:52], v[30:31], v[47:48], v[32:33]
	v_fma_f64 v[30:31], v[26:27], v[45:46], v[61:62]
	v_fma_f64 v[55:56], -v[28:29], v[47:48], v[30:31]
	v_fma_f64 v[28:29], v[28:29], v[45:46], v[63:64]
	v_fma_f64 v[61:62], v[26:27], v[47:48], v[28:29]
	v_fma_f64 v[26:27], v[22:23], v[45:46], v[53:54]
	v_fma_f64 v[53:54], -v[24:25], v[47:48], v[26:27]
	v_fma_f64 v[24:25], v[24:25], v[45:46], v[57:58]
	v_fma_f64 v[57:58], v[22:23], v[47:48], v[24:25]
	v_fma_f64 v[22:23], v[17:18], v[45:46], v[59:60]
	v_fma_f64 v[59:60], -v[19:20], v[47:48], v[22:23]
	v_fma_f64 v[19:20], v[19:20], v[45:46], v[49:50]
	v_fma_f64 v[45:46], v[17:18], v[47:48], v[19:20]
	global_load_dwordx4 v[17:20], v[69:70], off offset:176
	global_load_dwordx4 v[22:25], v[69:70], off offset:160
	global_load_dwordx4 v[26:29], v[69:70], off offset:144
	global_load_dwordx4 v[30:33], v[69:70], off offset:128
	;; [unrolled: 21-line block ×3, first 2 shown]
	s_waitcnt vmcnt(1)
	v_fma_f64 v[22:23], v[24:25], v[34:35], v[49:50]
	s_waitcnt vmcnt(0)
	v_fma_f64 v[17:18], v[45:46], v[34:35], v[38:39]
	v_fma_f64 v[19:20], v[47:48], v[34:35], v[32:33]
	;; [unrolled: 1-line block ×3, first 2 shown]
	v_fma_f64 v[22:23], -v[26:27], v[36:37], v[22:23]
	v_fma_f64 v[26:27], v[26:27], v[34:35], v[51:52]
	v_fma_f64 v[17:18], -v[47:48], v[36:37], v[17:18]
	v_fma_f64 v[19:20], v[45:46], v[36:37], v[19:20]
	v_fma_f64 v[32:33], v[41:42], v[36:37], v[32:33]
	;; [unrolled: 1-line block ×4, first 2 shown]
	v_fma_f64 v[26:27], -v[30:31], v[36:37], v[26:27]
	v_fma_f64 v[30:31], v[30:31], v[34:35], v[55:56]
	v_fma_f64 v[28:29], v[28:29], v[36:37], v[30:31]
	;; [unrolled: 1-line block ×3, first 2 shown]
	global_load_dword v34, v[15:16], off offset:64
	v_fma_f64 v[30:31], -v[43:44], v[36:37], v[30:31]
	s_waitcnt vmcnt(0)
	v_subrev_u32_e32 v34, s16, v34
	v_lshlrev_b32_e32 v53, 2, v34
	v_ashrrev_i32_e32 v54, 31, v53
	v_add_co_u32_e32 v34, vcc, s13, v13
	v_lshlrev_b64 v[53:54], 4, v[53:54]
	v_addc_co_u32_e32 v35, vcc, 0, v14, vcc
	v_add_co_u32_e32 v69, vcc, s10, v53
	v_addc_co_u32_e32 v70, vcc, v40, v54, vcc
	global_load_dwordx4 v[36:39], v[34:35], off
	global_load_dwordx4 v[41:44], v[34:35], off offset:48
	global_load_dwordx4 v[45:48], v[34:35], off offset:32
	;; [unrolled: 1-line block ×6, first 2 shown]
	global_load_dwordx4 v[65:68], v[69:70], off
	v_add_co_u32_e32 v9, vcc, 64, v9
	v_addc_co_u32_e32 v10, vcc, 0, v10, vcc
	v_add_co_u32_e32 v15, vcc, 0x100, v15
	v_addc_co_u32_e32 v16, vcc, 0, v16, vcc
	v_cmp_ge_i64_e64 s[0:1], v[9:10], v[11:12]
	v_add_co_u32_e32 v13, vcc, 0x4000, v13
	v_addc_co_u32_e32 v14, vcc, 0, v14, vcc
	s_or_b64 s[8:9], s[0:1], s[8:9]
	s_waitcnt vmcnt(0)
	v_fma_f64 v[17:18], v[36:37], v[65:66], v[17:18]
	v_fma_f64 v[69:70], -v[38:39], v[67:68], v[17:18]
	v_fma_f64 v[17:18], v[38:39], v[65:66], v[19:20]
	v_fma_f64 v[36:37], v[36:37], v[67:68], v[17:18]
	v_fma_f64 v[17:18], v[49:50], v[65:66], v[22:23]
	v_fma_f64 v[38:39], -v[51:52], v[67:68], v[17:18]
	v_fma_f64 v[17:18], v[51:52], v[65:66], v[24:25]
	v_fma_f64 v[49:50], v[49:50], v[67:68], v[17:18]
	v_fma_f64 v[17:18], v[45:46], v[65:66], v[26:27]
	v_fma_f64 v[51:52], -v[47:48], v[67:68], v[17:18]
	v_fma_f64 v[17:18], v[47:48], v[65:66], v[28:29]
	v_fma_f64 v[45:46], v[45:46], v[67:68], v[17:18]
	v_fma_f64 v[17:18], v[41:42], v[65:66], v[30:31]
	v_fma_f64 v[47:48], -v[43:44], v[67:68], v[17:18]
	v_fma_f64 v[17:18], v[43:44], v[65:66], v[32:33]
	v_fma_f64 v[41:42], v[41:42], v[67:68], v[17:18]
	global_load_dwordx4 v[17:20], v[34:35], off offset:112
	global_load_dwordx4 v[22:25], v[34:35], off offset:96
	global_load_dwordx4 v[26:29], v[34:35], off offset:80
	global_load_dwordx4 v[30:33], v[34:35], off offset:64
	s_waitcnt vmcnt(0)
	v_fma_f64 v[43:44], v[30:31], v[61:62], v[69:70]
	v_fma_f64 v[43:44], -v[32:33], v[63:64], v[43:44]
	v_fma_f64 v[32:33], v[32:33], v[61:62], v[36:37]
	v_fma_f64 v[36:37], v[30:31], v[63:64], v[32:33]
	v_fma_f64 v[30:31], v[26:27], v[61:62], v[38:39]
	v_fma_f64 v[38:39], -v[28:29], v[63:64], v[30:31]
	v_fma_f64 v[28:29], v[28:29], v[61:62], v[49:50]
	v_fma_f64 v[49:50], v[26:27], v[63:64], v[28:29]
	v_fma_f64 v[26:27], v[22:23], v[61:62], v[51:52]
	v_fma_f64 v[51:52], -v[24:25], v[63:64], v[26:27]
	v_fma_f64 v[24:25], v[24:25], v[61:62], v[45:46]
	v_fma_f64 v[45:46], v[22:23], v[63:64], v[24:25]
	v_fma_f64 v[22:23], v[17:18], v[61:62], v[47:48]
	v_fma_f64 v[47:48], -v[19:20], v[63:64], v[22:23]
	v_fma_f64 v[19:20], v[19:20], v[61:62], v[41:42]
	v_fma_f64 v[41:42], v[17:18], v[63:64], v[19:20]
	global_load_dwordx4 v[17:20], v[34:35], off offset:176
	global_load_dwordx4 v[22:25], v[34:35], off offset:160
	global_load_dwordx4 v[26:29], v[34:35], off offset:144
	global_load_dwordx4 v[30:33], v[34:35], off offset:128
	;; [unrolled: 21-line block ×3, first 2 shown]
	s_waitcnt vmcnt(0)
	v_fma_f64 v[34:35], v[30:31], v[53:54], v[43:44]
	v_fma_f64 v[38:39], -v[32:33], v[55:56], v[34:35]
	v_fma_f64 v[32:33], v[32:33], v[53:54], v[36:37]
	v_fma_f64 v[36:37], v[30:31], v[55:56], v[32:33]
	v_fma_f64 v[30:31], v[26:27], v[53:54], v[61:62]
	v_fma_f64 v[34:35], -v[28:29], v[55:56], v[30:31]
	v_fma_f64 v[28:29], v[28:29], v[53:54], v[49:50]
	v_fma_f64 v[32:33], v[26:27], v[55:56], v[28:29]
	;; [unrolled: 4-line block ×4, first 2 shown]
	s_andn2_b64 exec, exec, s[8:9]
	s_cbranch_execnz .LBB37_31
; %bb.32:
	s_or_b64 exec, exec, s[8:9]
.LBB37_33:
	s_or_b64 exec, exec, s[6:7]
.LBB37_34:
	s_or_b64 exec, exec, s[2:3]
.LBB37_35:
	v_mov_b32_dpp v9, v38 row_shr:1 row_mask:0xf bank_mask:0xf
	v_mov_b32_dpp v10, v39 row_shr:1 row_mask:0xf bank_mask:0xf
	v_add_f64 v[9:10], v[38:39], v[9:10]
	v_mov_b32_dpp v11, v36 row_shr:1 row_mask:0xf bank_mask:0xf
	v_mov_b32_dpp v12, v37 row_shr:1 row_mask:0xf bank_mask:0xf
	v_add_f64 v[11:12], v[36:37], v[11:12]
	v_mov_b32_dpp v13, v34 row_shr:1 row_mask:0xf bank_mask:0xf
	v_mov_b32_dpp v14, v35 row_shr:1 row_mask:0xf bank_mask:0xf
	v_add_f64 v[13:14], v[34:35], v[13:14]
	v_mov_b32_dpp v35, v24 row_shr:1 row_mask:0xf bank_mask:0xf
	v_mov_b32_dpp v15, v9 row_shr:2 row_mask:0xf bank_mask:0xf
	;; [unrolled: 1-line block ×3, first 2 shown]
	v_add_f64 v[9:10], v[9:10], v[15:16]
	v_mov_b32_dpp v15, v11 row_shr:2 row_mask:0xf bank_mask:0xf
	v_mov_b32_dpp v16, v12 row_shr:2 row_mask:0xf bank_mask:0xf
	v_add_f64 v[11:12], v[11:12], v[15:16]
	v_mov_b32_dpp v15, v32 row_shr:1 row_mask:0xf bank_mask:0xf
	v_mov_b32_dpp v16, v33 row_shr:1 row_mask:0xf bank_mask:0xf
	;; [unrolled: 3-line block ×3, first 2 shown]
	v_add_f64 v[13:14], v[13:14], v[19:20]
	v_mov_b32_dpp v36, v25 row_shr:1 row_mask:0xf bank_mask:0xf
	v_add_f64 v[24:25], v[24:25], v[35:36]
	v_mov_b32_dpp v35, v30 row_shr:1 row_mask:0xf bank_mask:0xf
	v_mov_b32_dpp v36, v31 row_shr:1 row_mask:0xf bank_mask:0xf
	;; [unrolled: 1-line block ×4, first 2 shown]
	v_add_f64 v[15:16], v[15:16], v[19:20]
	v_mov_b32_dpp v19, v26 row_shr:1 row_mask:0xf bank_mask:0xf
	v_mov_b32_dpp v20, v27 row_shr:1 row_mask:0xf bank_mask:0xf
	v_add_f64 v[19:20], v[26:27], v[19:20]
	v_add_f64 v[30:31], v[30:31], v[35:36]
	v_mov_b32_dpp v35, v28 row_shr:1 row_mask:0xf bank_mask:0xf
	v_mov_b32_dpp v36, v29 row_shr:1 row_mask:0xf bank_mask:0xf
	v_add_f64 v[28:29], v[28:29], v[35:36]
	v_mov_b32_dpp v17, v9 row_shr:4 row_mask:0xf bank_mask:0xe
	v_mov_b32_dpp v18, v10 row_shr:4 row_mask:0xf bank_mask:0xe
	;; [unrolled: 3-line block ×6, first 2 shown]
	v_mov_b32_dpp v36, v24 row_shr:2 row_mask:0xf bank_mask:0xf
	v_mov_b32_dpp v37, v25 row_shr:2 row_mask:0xf bank_mask:0xf
	v_add_f64 v[32:33], v[19:20], v[17:18]
	v_add_f64 v[36:37], v[24:25], v[36:37]
	v_mov_b32_dpp v24, v30 row_shr:2 row_mask:0xf bank_mask:0xf
	v_mov_b32_dpp v25, v31 row_shr:2 row_mask:0xf bank_mask:0xf
	v_add_f64 v[30:31], v[30:31], v[24:25]
	v_mov_b32_dpp v24, v28 row_shr:2 row_mask:0xf bank_mask:0xf
	v_mov_b32_dpp v25, v29 row_shr:2 row_mask:0xf bank_mask:0xf
	;; [unrolled: 3-line block ×4, first 2 shown]
	v_mov_b32_dpp v33, v31 row_shr:4 row_mask:0xf bank_mask:0xe
	v_mov_b32_dpp v29, v37 row_shr:4 row_mask:0xf bank_mask:0xe
	v_add_f64 v[30:31], v[30:31], v[32:33]
	v_mov_b32_dpp v32, v38 row_shr:4 row_mask:0xf bank_mask:0xe
	v_mov_b32_dpp v33, v39 row_shr:4 row_mask:0xf bank_mask:0xe
	v_add_f64 v[28:29], v[36:37], v[28:29]
	v_add_f64 v[32:33], v[38:39], v[32:33]
	v_mov_b32_dpp v26, v9 row_shr:8 row_mask:0xf bank_mask:0xc
	v_mov_b32_dpp v27, v10 row_shr:8 row_mask:0xf bank_mask:0xc
	;; [unrolled: 1-line block ×16, first 2 shown]
	v_cmp_eq_u32_e32 vcc, 15, v0
	s_and_b64 exec, exec, vcc
	s_cbranch_execz .LBB37_8
; %bb.36:
	v_add_f64 v[11:12], v[11:12], v[22:23]
	v_add_f64 v[22:23], v[13:14], v[19:20]
	;; [unrolled: 1-line block ×8, first 2 shown]
	v_mul_f64 v[19:20], v[11:12], -v[7:8]
	v_mul_f64 v[11:12], v[5:6], v[11:12]
	v_mul_f64 v[28:29], v[13:14], -v[7:8]
	v_mul_f64 v[30:31], v[5:6], v[13:14]
	;; [unrolled: 2-line block ×4, first 2 shown]
	v_cmp_eq_f64_e32 vcc, 0, v[1:2]
	v_cmp_eq_f64_e64 s[0:1], 0, v[3:4]
	v_fma_f64 v[17:18], v[5:6], v[9:10], v[19:20]
	v_fma_f64 v[19:20], v[7:8], v[9:10], v[11:12]
	;; [unrolled: 1-line block ×8, first 2 shown]
	s_load_dwordx2 s[2:3], s[4:5], 0x60
	s_and_b64 s[0:1], vcc, s[0:1]
	v_lshlrev_b32_e32 v21, 2, v21
	s_and_saveexec_b64 s[4:5], s[0:1]
	s_xor_b64 s[0:1], exec, s[4:5]
	s_cbranch_execz .LBB37_38
; %bb.37:
	v_ashrrev_i32_e32 v22, 31, v21
	v_lshlrev_b64 v[0:1], 4, v[21:22]
	s_waitcnt lgkmcnt(0)
	v_mov_b32_e32 v2, s3
	v_add_co_u32_e32 v0, vcc, s2, v0
	v_addc_co_u32_e32 v1, vcc, v2, v1, vcc
	global_store_dwordx4 v[0:1], v[17:20], off
	global_store_dwordx4 v[0:1], v[13:16], off offset:16
	global_store_dwordx4 v[0:1], v[9:12], off offset:32
	;; [unrolled: 1-line block ×3, first 2 shown]
                                        ; implicit-def: $vgpr3_vgpr4
                                        ; implicit-def: $vgpr17_vgpr18
                                        ; implicit-def: $vgpr21
                                        ; implicit-def: $vgpr13_vgpr14
                                        ; implicit-def: $vgpr9_vgpr10
                                        ; implicit-def: $vgpr5_vgpr6
.LBB37_38:
	s_andn2_saveexec_b64 s[0:1], s[0:1]
	s_cbranch_execz .LBB37_8
; %bb.39:
	v_ashrrev_i32_e32 v22, 31, v21
	v_lshlrev_b64 v[21:22], 4, v[21:22]
	s_waitcnt lgkmcnt(0)
	v_mov_b32_e32 v0, s3
	v_add_co_u32_e32 v37, vcc, s2, v21
	v_addc_co_u32_e32 v38, vcc, v0, v22, vcc
	global_load_dwordx4 v[21:24], v[37:38], off
	global_load_dwordx4 v[25:28], v[37:38], off offset:16
	global_load_dwordx4 v[29:32], v[37:38], off offset:32
	;; [unrolled: 1-line block ×3, first 2 shown]
	s_waitcnt vmcnt(3)
	v_fma_f64 v[17:18], v[1:2], v[21:22], v[17:18]
	v_fma_f64 v[19:20], v[3:4], v[21:22], v[19:20]
	s_waitcnt vmcnt(2)
	v_fma_f64 v[13:14], v[1:2], v[25:26], v[13:14]
	v_fma_f64 v[15:16], v[3:4], v[25:26], v[15:16]
	;; [unrolled: 3-line block ×4, first 2 shown]
	v_fma_f64 v[5:6], -v[3:4], v[23:24], v[17:18]
	v_fma_f64 v[7:8], v[1:2], v[23:24], v[19:20]
	v_fma_f64 v[9:10], -v[3:4], v[27:28], v[13:14]
	v_fma_f64 v[11:12], v[1:2], v[27:28], v[15:16]
	;; [unrolled: 2-line block ×4, first 2 shown]
	global_store_dwordx4 v[37:38], v[5:8], off
	global_store_dwordx4 v[37:38], v[9:12], off offset:16
	global_store_dwordx4 v[37:38], v[13:16], off offset:32
	;; [unrolled: 1-line block ×3, first 2 shown]
	s_endpgm
	.section	.rodata,"a",@progbits
	.p2align	6, 0x0
	.amdhsa_kernel _ZN9rocsparseL18bsrxmvn_4x4_kernelILj128ELj16E21rocsparse_complex_numIdEliS2_S2_S2_EEvT3_20rocsparse_direction_NS_24const_host_device_scalarIT1_EES3_PKS3_PKT2_SC_S9_PKT4_PKT5_S7_PT6_21rocsparse_index_base_b
		.amdhsa_group_segment_fixed_size 0
		.amdhsa_private_segment_fixed_size 0
		.amdhsa_kernarg_size 112
		.amdhsa_user_sgpr_count 6
		.amdhsa_user_sgpr_private_segment_buffer 1
		.amdhsa_user_sgpr_dispatch_ptr 0
		.amdhsa_user_sgpr_queue_ptr 0
		.amdhsa_user_sgpr_kernarg_segment_ptr 1
		.amdhsa_user_sgpr_dispatch_id 0
		.amdhsa_user_sgpr_flat_scratch_init 0
		.amdhsa_user_sgpr_private_segment_size 0
		.amdhsa_uses_dynamic_stack 0
		.amdhsa_system_sgpr_private_segment_wavefront_offset 0
		.amdhsa_system_sgpr_workgroup_id_x 1
		.amdhsa_system_sgpr_workgroup_id_y 0
		.amdhsa_system_sgpr_workgroup_id_z 0
		.amdhsa_system_sgpr_workgroup_info 0
		.amdhsa_system_vgpr_workitem_id 0
		.amdhsa_next_free_vgpr 85
		.amdhsa_next_free_sgpr 22
		.amdhsa_reserve_vcc 1
		.amdhsa_reserve_flat_scratch 0
		.amdhsa_float_round_mode_32 0
		.amdhsa_float_round_mode_16_64 0
		.amdhsa_float_denorm_mode_32 3
		.amdhsa_float_denorm_mode_16_64 3
		.amdhsa_dx10_clamp 1
		.amdhsa_ieee_mode 1
		.amdhsa_fp16_overflow 0
		.amdhsa_exception_fp_ieee_invalid_op 0
		.amdhsa_exception_fp_denorm_src 0
		.amdhsa_exception_fp_ieee_div_zero 0
		.amdhsa_exception_fp_ieee_overflow 0
		.amdhsa_exception_fp_ieee_underflow 0
		.amdhsa_exception_fp_ieee_inexact 0
		.amdhsa_exception_int_div_zero 0
	.end_amdhsa_kernel
	.section	.text._ZN9rocsparseL18bsrxmvn_4x4_kernelILj128ELj16E21rocsparse_complex_numIdEliS2_S2_S2_EEvT3_20rocsparse_direction_NS_24const_host_device_scalarIT1_EES3_PKS3_PKT2_SC_S9_PKT4_PKT5_S7_PT6_21rocsparse_index_base_b,"axG",@progbits,_ZN9rocsparseL18bsrxmvn_4x4_kernelILj128ELj16E21rocsparse_complex_numIdEliS2_S2_S2_EEvT3_20rocsparse_direction_NS_24const_host_device_scalarIT1_EES3_PKS3_PKT2_SC_S9_PKT4_PKT5_S7_PT6_21rocsparse_index_base_b,comdat
.Lfunc_end37:
	.size	_ZN9rocsparseL18bsrxmvn_4x4_kernelILj128ELj16E21rocsparse_complex_numIdEliS2_S2_S2_EEvT3_20rocsparse_direction_NS_24const_host_device_scalarIT1_EES3_PKS3_PKT2_SC_S9_PKT4_PKT5_S7_PT6_21rocsparse_index_base_b, .Lfunc_end37-_ZN9rocsparseL18bsrxmvn_4x4_kernelILj128ELj16E21rocsparse_complex_numIdEliS2_S2_S2_EEvT3_20rocsparse_direction_NS_24const_host_device_scalarIT1_EES3_PKS3_PKT2_SC_S9_PKT4_PKT5_S7_PT6_21rocsparse_index_base_b
                                        ; -- End function
	.set _ZN9rocsparseL18bsrxmvn_4x4_kernelILj128ELj16E21rocsparse_complex_numIdEliS2_S2_S2_EEvT3_20rocsparse_direction_NS_24const_host_device_scalarIT1_EES3_PKS3_PKT2_SC_S9_PKT4_PKT5_S7_PT6_21rocsparse_index_base_b.num_vgpr, 85
	.set _ZN9rocsparseL18bsrxmvn_4x4_kernelILj128ELj16E21rocsparse_complex_numIdEliS2_S2_S2_EEvT3_20rocsparse_direction_NS_24const_host_device_scalarIT1_EES3_PKS3_PKT2_SC_S9_PKT4_PKT5_S7_PT6_21rocsparse_index_base_b.num_agpr, 0
	.set _ZN9rocsparseL18bsrxmvn_4x4_kernelILj128ELj16E21rocsparse_complex_numIdEliS2_S2_S2_EEvT3_20rocsparse_direction_NS_24const_host_device_scalarIT1_EES3_PKS3_PKT2_SC_S9_PKT4_PKT5_S7_PT6_21rocsparse_index_base_b.numbered_sgpr, 22
	.set _ZN9rocsparseL18bsrxmvn_4x4_kernelILj128ELj16E21rocsparse_complex_numIdEliS2_S2_S2_EEvT3_20rocsparse_direction_NS_24const_host_device_scalarIT1_EES3_PKS3_PKT2_SC_S9_PKT4_PKT5_S7_PT6_21rocsparse_index_base_b.num_named_barrier, 0
	.set _ZN9rocsparseL18bsrxmvn_4x4_kernelILj128ELj16E21rocsparse_complex_numIdEliS2_S2_S2_EEvT3_20rocsparse_direction_NS_24const_host_device_scalarIT1_EES3_PKS3_PKT2_SC_S9_PKT4_PKT5_S7_PT6_21rocsparse_index_base_b.private_seg_size, 0
	.set _ZN9rocsparseL18bsrxmvn_4x4_kernelILj128ELj16E21rocsparse_complex_numIdEliS2_S2_S2_EEvT3_20rocsparse_direction_NS_24const_host_device_scalarIT1_EES3_PKS3_PKT2_SC_S9_PKT4_PKT5_S7_PT6_21rocsparse_index_base_b.uses_vcc, 1
	.set _ZN9rocsparseL18bsrxmvn_4x4_kernelILj128ELj16E21rocsparse_complex_numIdEliS2_S2_S2_EEvT3_20rocsparse_direction_NS_24const_host_device_scalarIT1_EES3_PKS3_PKT2_SC_S9_PKT4_PKT5_S7_PT6_21rocsparse_index_base_b.uses_flat_scratch, 0
	.set _ZN9rocsparseL18bsrxmvn_4x4_kernelILj128ELj16E21rocsparse_complex_numIdEliS2_S2_S2_EEvT3_20rocsparse_direction_NS_24const_host_device_scalarIT1_EES3_PKS3_PKT2_SC_S9_PKT4_PKT5_S7_PT6_21rocsparse_index_base_b.has_dyn_sized_stack, 0
	.set _ZN9rocsparseL18bsrxmvn_4x4_kernelILj128ELj16E21rocsparse_complex_numIdEliS2_S2_S2_EEvT3_20rocsparse_direction_NS_24const_host_device_scalarIT1_EES3_PKS3_PKT2_SC_S9_PKT4_PKT5_S7_PT6_21rocsparse_index_base_b.has_recursion, 0
	.set _ZN9rocsparseL18bsrxmvn_4x4_kernelILj128ELj16E21rocsparse_complex_numIdEliS2_S2_S2_EEvT3_20rocsparse_direction_NS_24const_host_device_scalarIT1_EES3_PKS3_PKT2_SC_S9_PKT4_PKT5_S7_PT6_21rocsparse_index_base_b.has_indirect_call, 0
	.section	.AMDGPU.csdata,"",@progbits
; Kernel info:
; codeLenInByte = 10244
; TotalNumSgprs: 26
; NumVgprs: 85
; ScratchSize: 0
; MemoryBound: 1
; FloatMode: 240
; IeeeMode: 1
; LDSByteSize: 0 bytes/workgroup (compile time only)
; SGPRBlocks: 3
; VGPRBlocks: 21
; NumSGPRsForWavesPerEU: 26
; NumVGPRsForWavesPerEU: 85
; Occupancy: 2
; WaveLimiterHint : 1
; COMPUTE_PGM_RSRC2:SCRATCH_EN: 0
; COMPUTE_PGM_RSRC2:USER_SGPR: 6
; COMPUTE_PGM_RSRC2:TRAP_HANDLER: 0
; COMPUTE_PGM_RSRC2:TGID_X_EN: 1
; COMPUTE_PGM_RSRC2:TGID_Y_EN: 0
; COMPUTE_PGM_RSRC2:TGID_Z_EN: 0
; COMPUTE_PGM_RSRC2:TIDIG_COMP_CNT: 0
	.section	.text._ZN9rocsparseL18bsrxmvn_4x4_kernelILj128ELj32E21rocsparse_complex_numIdEliS2_S2_S2_EEvT3_20rocsparse_direction_NS_24const_host_device_scalarIT1_EES3_PKS3_PKT2_SC_S9_PKT4_PKT5_S7_PT6_21rocsparse_index_base_b,"axG",@progbits,_ZN9rocsparseL18bsrxmvn_4x4_kernelILj128ELj32E21rocsparse_complex_numIdEliS2_S2_S2_EEvT3_20rocsparse_direction_NS_24const_host_device_scalarIT1_EES3_PKS3_PKT2_SC_S9_PKT4_PKT5_S7_PT6_21rocsparse_index_base_b,comdat
	.globl	_ZN9rocsparseL18bsrxmvn_4x4_kernelILj128ELj32E21rocsparse_complex_numIdEliS2_S2_S2_EEvT3_20rocsparse_direction_NS_24const_host_device_scalarIT1_EES3_PKS3_PKT2_SC_S9_PKT4_PKT5_S7_PT6_21rocsparse_index_base_b ; -- Begin function _ZN9rocsparseL18bsrxmvn_4x4_kernelILj128ELj32E21rocsparse_complex_numIdEliS2_S2_S2_EEvT3_20rocsparse_direction_NS_24const_host_device_scalarIT1_EES3_PKS3_PKT2_SC_S9_PKT4_PKT5_S7_PT6_21rocsparse_index_base_b
	.p2align	8
	.type	_ZN9rocsparseL18bsrxmvn_4x4_kernelILj128ELj32E21rocsparse_complex_numIdEliS2_S2_S2_EEvT3_20rocsparse_direction_NS_24const_host_device_scalarIT1_EES3_PKS3_PKT2_SC_S9_PKT4_PKT5_S7_PT6_21rocsparse_index_base_b,@function
_ZN9rocsparseL18bsrxmvn_4x4_kernelILj128ELj32E21rocsparse_complex_numIdEliS2_S2_S2_EEvT3_20rocsparse_direction_NS_24const_host_device_scalarIT1_EES3_PKS3_PKT2_SC_S9_PKT4_PKT5_S7_PT6_21rocsparse_index_base_b: ; @_ZN9rocsparseL18bsrxmvn_4x4_kernelILj128ELj32E21rocsparse_complex_numIdEliS2_S2_S2_EEvT3_20rocsparse_direction_NS_24const_host_device_scalarIT1_EES3_PKS3_PKT2_SC_S9_PKT4_PKT5_S7_PT6_21rocsparse_index_base_b
; %bb.0:
	s_load_dwordx2 s[0:1], s[4:5], 0x8
	s_load_dwordx2 s[16:17], s[4:5], 0x68
	s_add_u32 s7, s4, 8
	s_addc_u32 s8, s5, 0
	s_add_u32 s9, s4, 0x50
	s_addc_u32 s10, s5, 0
	s_waitcnt lgkmcnt(0)
	s_bitcmp1_b32 s17, 0
	s_cselect_b32 s1, s8, s1
	s_cselect_b32 s0, s7, s0
	v_mov_b32_e32 v1, s0
	v_mov_b32_e32 v2, s1
	flat_load_dwordx4 v[5:8], v[1:2]
	s_load_dwordx2 s[2:3], s[4:5], 0x50
	s_waitcnt lgkmcnt(0)
	s_cselect_b32 s0, s10, s3
	s_cselect_b32 s1, s9, s2
	v_mov_b32_e32 v1, s1
	v_mov_b32_e32 v2, s0
	flat_load_dwordx4 v[1:4], v[1:2]
	s_waitcnt vmcnt(0)
	v_cmp_eq_f64_e32 vcc, 0, v[5:6]
	v_cmp_eq_f64_e64 s[0:1], 0, v[7:8]
	s_and_b64 s[8:9], vcc, s[0:1]
	s_mov_b64 s[0:1], -1
	s_and_saveexec_b64 s[2:3], s[8:9]
	s_cbranch_execz .LBB38_2
; %bb.1:
	s_waitcnt lgkmcnt(0)
	v_cmp_neq_f64_e32 vcc, 1.0, v[1:2]
	v_cmp_neq_f64_e64 s[0:1], 0, v[3:4]
	s_or_b64 s[0:1], vcc, s[0:1]
	s_orn2_b64 s[0:1], s[0:1], exec
.LBB38_2:
	s_or_b64 exec, exec, s[2:3]
	s_and_saveexec_b64 s[2:3], s[0:1]
	s_cbranch_execz .LBB38_8
; %bb.3:
	s_load_dwordx2 s[8:9], s[4:5], 0x20
	s_load_dwordx2 s[0:1], s[4:5], 0x0
	v_lshrrev_b32_e32 v9, 5, v0
	v_lshl_or_b32 v21, s6, 2, v9
	s_mov_b64 s[2:3], 0
	s_waitcnt lgkmcnt(0)
	s_cmp_lg_u64 s[8:9], 0
	s_cbranch_scc0 .LBB38_9
; %bb.4:
	s_load_dword s6, s[4:5], 0x18
                                        ; implicit-def: $vgpr9
	s_waitcnt lgkmcnt(0)
	v_cmp_gt_i32_e32 vcc, s6, v21
	s_and_saveexec_b64 s[6:7], vcc
	s_xor_b64 s[6:7], exec, s[6:7]
	s_cbranch_execz .LBB38_6
; %bb.5:
	v_ashrrev_i32_e32 v22, 31, v21
	v_lshlrev_b64 v[9:10], 2, v[21:22]
	v_mov_b32_e32 v11, s9
	v_add_co_u32_e32 v9, vcc, s8, v9
	v_addc_co_u32_e32 v10, vcc, v11, v10, vcc
	global_load_dword v9, v[9:10], off
	s_mov_b64 s[2:3], exec
	s_waitcnt vmcnt(0)
	v_subrev_u32_e32 v9, s16, v9
.LBB38_6:
	s_or_b64 exec, exec, s[6:7]
	s_branch .LBB38_10
.LBB38_7:
	v_cmp_gt_i32_e32 vcc, s0, v21
	s_andn2_b64 s[2:3], s[2:3], exec
	s_and_b64 s[6:7], vcc, exec
	s_or_b64 s[2:3], s[2:3], s[6:7]
	s_and_b64 exec, exec, s[2:3]
	s_cbranch_execnz .LBB38_11
.LBB38_8:
	s_endpgm
.LBB38_9:
                                        ; implicit-def: $vgpr9
	s_cbranch_execnz .LBB38_7
.LBB38_10:
	v_mov_b32_e32 v21, v9
	s_and_b64 exec, exec, s[2:3]
	s_cbranch_execz .LBB38_8
.LBB38_11:
	s_load_dwordx8 s[8:15], s[4:5], 0x28
	v_ashrrev_i32_e32 v22, 31, v21
	v_lshlrev_b64 v[9:10], 3, v[21:22]
	v_and_b32_e32 v0, 31, v0
	s_waitcnt lgkmcnt(0)
	v_mov_b32_e32 v12, s9
	v_add_co_u32_e32 v11, vcc, s8, v9
	v_addc_co_u32_e32 v12, vcc, v12, v10, vcc
	global_load_dwordx2 v[15:16], v[11:12], off
	v_add_co_u32_e32 v11, vcc, 8, v11
	v_addc_co_u32_e32 v12, vcc, 0, v12, vcc
	v_mov_b32_e32 v13, s11
	v_add_co_u32_e32 v9, vcc, s10, v9
	s_cmp_eq_u64 s[10:11], 0
	v_addc_co_u32_e32 v10, vcc, v13, v10, vcc
	s_cselect_b64 vcc, -1, 0
	v_cndmask_b32_e32 v10, v10, v12, vcc
	v_cndmask_b32_e32 v9, v9, v11, vcc
	global_load_dwordx2 v[11:12], v[9:10], off
	s_load_dwordx2 s[8:9], s[4:5], 0x48
	v_mov_b32_e32 v17, s15
	s_cmp_eq_u32 s1, 1
	s_waitcnt vmcnt(1)
	v_subrev_co_u32_e32 v9, vcc, s16, v15
	v_subbrev_co_u32_e32 v10, vcc, 0, v16, vcc
	v_add_co_u32_e32 v9, vcc, v9, v0
	v_addc_co_u32_e32 v10, vcc, 0, v10, vcc
	v_lshlrev_b64 v[13:14], 8, v[9:10]
	s_waitcnt vmcnt(0)
	v_subrev_co_u32_e32 v11, vcc, s16, v11
	v_subbrev_co_u32_e32 v12, vcc, 0, v12, vcc
	v_cmp_lt_i64_e64 s[0:1], v[9:10], v[11:12]
	v_add_co_u32_e32 v13, vcc, s14, v13
	v_addc_co_u32_e32 v14, vcc, v17, v14, vcc
	s_cbranch_scc1 .LBB38_23
; %bb.12:
	v_mov_b32_e32 v36, 0
	v_mov_b32_e32 v38, 0
	;; [unrolled: 1-line block ×16, first 2 shown]
	s_and_saveexec_b64 s[10:11], s[0:1]
	s_cbranch_execz .LBB38_22
; %bb.13:
	v_or_b32_e32 v17, 32, v0
	v_subrev_co_u32_e32 v17, vcc, s16, v17
	v_subb_co_u32_e64 v18, s[2:3], 0, 0, vcc
	v_add_co_u32_e32 v17, vcc, v17, v15
	v_addc_co_u32_e32 v18, vcc, v18, v16, vcc
	v_cmp_gt_i64_e32 vcc, v[17:18], v[11:12]
	v_not_b32_e32 v20, v15
	v_cndmask_b32_e32 v18, v12, v18, vcc
	v_cndmask_b32_e32 v17, v11, v17, vcc
	v_sub_co_u32_e32 v22, vcc, s16, v0
	v_not_b32_e32 v19, v16
	v_subb_co_u32_e64 v23, s[2:3], 0, 0, vcc
	v_add_co_u32_e32 v20, vcc, v22, v20
	v_addc_co_u32_e32 v19, vcc, v23, v19, vcc
	v_add_co_u32_e32 v22, vcc, v20, v17
	v_addc_co_u32_e32 v23, vcc, v19, v18, vcc
	v_and_b32_e32 v17, 0x60, v22
	v_mov_b32_e32 v18, 0
	s_mov_b64 s[2:3], 0x60
	v_cmp_ne_u64_e32 vcc, s[2:3], v[17:18]
	v_mov_b32_e32 v32, 0
	v_mov_b32_e32 v34, 0
	;; [unrolled: 1-line block ×20, first 2 shown]
	s_and_saveexec_b64 s[14:15], vcc
	s_cbranch_execz .LBB38_17
; %bb.14:
	v_lshrrev_b32_e32 v17, 5, v22
	v_add_u32_e32 v17, 1, v17
	v_and_b32_e32 v19, 3, v17
	v_lshlrev_b64 v[17:18], 2, v[9:10]
	v_mov_b32_e32 v20, s13
	v_add_co_u32_e32 v40, vcc, s12, v17
	v_addc_co_u32_e32 v41, vcc, v20, v18, vcc
	v_sub_co_u32_e32 v42, vcc, 0, v19
	v_mov_b32_e32 v36, 0
	v_mov_b32_e32 v18, v10
	;; [unrolled: 1-line block ×10, first 2 shown]
	s_mov_b64 s[18:19], 0
	v_subb_co_u32_e64 v43, s[2:3], 0, 0, vcc
	v_mov_b32_e32 v37, 0
	s_movk_i32 s17, 0x2000
	s_waitcnt lgkmcnt(0)
	v_mov_b32_e32 v44, s9
	v_mov_b32_e32 v17, v9
	;; [unrolled: 1-line block ×10, first 2 shown]
.LBB38_15:                              ; =>This Inner Loop Header: Depth=1
	global_load_dword v65, v[40:41], off
	global_load_dwordx4 v[45:48], v[19:20], off
	global_load_dwordx4 v[49:52], v[19:20], off offset:64
	global_load_dwordx4 v[53:56], v[19:20], off offset:128
	global_load_dwordx4 v[57:60], v[19:20], off offset:192
	global_load_dwordx4 v[61:64], v[19:20], off offset:16
	v_add_co_u32_e64 v42, s[6:7], 1, v42
	s_waitcnt vmcnt(5)
	v_subrev_u32_e32 v65, s16, v65
	v_lshlrev_b32_e32 v65, 2, v65
	v_ashrrev_i32_e32 v66, 31, v65
	v_lshlrev_b64 v[65:66], 4, v[65:66]
	v_add_co_u32_e32 v69, vcc, s8, v65
	v_addc_co_u32_e32 v70, vcc, v44, v66, vcc
	global_load_dwordx4 v[65:68], v[69:70], off
	s_waitcnt vmcnt(0)
	v_fma_f64 v[24:25], v[55:56], v[65:66], v[24:25]
	v_fma_f64 v[38:39], v[45:46], v[65:66], v[38:39]
	;; [unrolled: 1-line block ×9, first 2 shown]
	v_fma_f64 v[71:72], -v[47:48], v[67:68], v[38:39]
	v_fma_f64 v[73:74], v[45:46], v[67:68], v[36:37]
	global_load_dwordx4 v[36:39], v[19:20], off offset:80
	v_fma_f64 v[75:76], -v[51:52], v[67:68], v[34:35]
	v_fma_f64 v[77:78], v[49:50], v[67:68], v[32:33]
	global_load_dwordx4 v[32:35], v[19:20], off offset:144
	v_fma_f64 v[55:56], -v[55:56], v[67:68], v[28:29]
	global_load_dwordx4 v[45:48], v[19:20], off offset:208
	v_fma_f64 v[59:60], -v[59:60], v[67:68], v[24:25]
	v_fma_f64 v[57:58], v[57:58], v[67:68], v[26:27]
	global_load_dwordx4 v[24:27], v[19:20], off offset:32
	global_load_dwordx4 v[28:31], v[69:70], off offset:16
	s_waitcnt vmcnt(0)
	v_fma_f64 v[49:50], v[61:62], v[28:29], v[71:72]
	v_fma_f64 v[51:52], v[63:64], v[28:29], v[73:74]
	;; [unrolled: 1-line block ×8, first 2 shown]
	v_fma_f64 v[63:64], -v[63:64], v[30:31], v[49:50]
	v_fma_f64 v[61:62], v[61:62], v[30:31], v[51:52]
	global_load_dwordx4 v[49:52], v[19:20], off offset:96
	v_fma_f64 v[65:66], -v[38:39], v[30:31], v[65:66]
	v_fma_f64 v[67:68], v[36:37], v[30:31], v[67:68]
	global_load_dwordx4 v[36:39], v[19:20], off offset:160
	;; [unrolled: 3-line block ×4, first 2 shown]
	global_load_dwordx4 v[45:48], v[69:70], off offset:32
	s_waitcnt vmcnt(0)
	v_fma_f64 v[57:58], v[24:25], v[45:46], v[63:64]
	v_fma_f64 v[59:60], v[26:27], v[45:46], v[61:62]
	;; [unrolled: 1-line block ×4, first 2 shown]
	v_fma_f64 v[61:62], -v[26:27], v[47:48], v[57:58]
	v_fma_f64 v[63:64], v[24:25], v[47:48], v[59:60]
	v_fma_f64 v[57:58], v[49:50], v[45:46], v[65:66]
	;; [unrolled: 1-line block ×3, first 2 shown]
	global_load_dwordx4 v[24:27], v[19:20], off offset:112
	v_fma_f64 v[38:39], -v[38:39], v[47:48], v[55:56]
	v_fma_f64 v[36:37], v[36:37], v[47:48], v[53:54]
	v_fma_f64 v[65:66], -v[51:52], v[47:48], v[57:58]
	v_fma_f64 v[67:68], v[49:50], v[47:48], v[59:60]
	global_load_dwordx4 v[49:52], v[19:20], off offset:176
	global_load_dwordx4 v[53:56], v[19:20], off offset:240
	;; [unrolled: 1-line block ×3, first 2 shown]
	v_fma_f64 v[69:70], v[32:33], v[45:46], v[71:72]
	v_fma_f64 v[45:46], v[34:35], v[45:46], v[73:74]
	v_add_co_u32_e32 v19, vcc, s17, v19
	s_mov_b64 s[2:3], vcc
	v_add_co_u32_e32 v17, vcc, 32, v17
	v_addc_co_u32_e32 v18, vcc, 0, v18, vcc
	v_fma_f64 v[34:35], -v[34:35], v[47:48], v[69:70]
	v_fma_f64 v[32:33], v[32:33], v[47:48], v[45:46]
	v_addc_co_u32_e64 v43, vcc, 0, v43, s[6:7]
	v_cmp_eq_u64_e64 s[6:7], 0, v[42:43]
	v_add_co_u32_e32 v40, vcc, 0x80, v40
	v_addc_co_u32_e64 v20, s[2:3], 0, v20, s[2:3]
	s_or_b64 s[18:19], s[6:7], s[18:19]
	v_addc_co_u32_e32 v41, vcc, 0, v41, vcc
	s_waitcnt vmcnt(0)
	v_fma_f64 v[45:46], v[28:29], v[57:58], v[61:62]
	v_fma_f64 v[47:48], v[30:31], v[57:58], v[63:64]
	;; [unrolled: 1-line block ×8, first 2 shown]
	v_fma_f64 v[38:39], -v[30:31], v[59:60], v[45:46]
	v_fma_f64 v[36:37], v[28:29], v[59:60], v[47:48]
	v_fma_f64 v[34:35], -v[26:27], v[59:60], v[61:62]
	v_fma_f64 v[32:33], v[24:25], v[59:60], v[63:64]
	;; [unrolled: 2-line block ×4, first 2 shown]
	s_andn2_b64 exec, exec, s[18:19]
	s_cbranch_execnz .LBB38_15
; %bb.16:
	s_or_b64 exec, exec, s[18:19]
.LBB38_17:
	s_or_b64 exec, exec, s[14:15]
	s_mov_b64 s[2:3], 0x5f
	v_cmp_lt_u64_e32 vcc, s[2:3], v[22:23]
	s_and_saveexec_b64 s[6:7], vcc
	s_cbranch_execz .LBB38_21
; %bb.18:
	v_lshlrev_b64 v[22:23], 2, v[17:18]
	v_mov_b32_e32 v40, s13
	v_add_co_u32_e32 v22, vcc, s12, v22
	v_addc_co_u32_e32 v23, vcc, v40, v23, vcc
	v_add_co_u32_e32 v22, vcc, 0x100, v22
	v_addc_co_u32_e32 v23, vcc, 0, v23, vcc
	s_mov_b64 s[14:15], 0
	s_waitcnt lgkmcnt(0)
	v_mov_b32_e32 v42, s9
	s_movk_i32 s17, 0x2000
	s_movk_i32 s18, 0x4000
	;; [unrolled: 1-line block ×3, first 2 shown]
.LBB38_19:                              ; =>This Inner Loop Header: Depth=1
	global_load_dword v40, v[22:23], off offset:-256
	global_load_dwordx4 v[43:46], v[19:20], off offset:48
	global_load_dwordx4 v[47:50], v[19:20], off offset:32
	;; [unrolled: 1-line block ×3, first 2 shown]
	global_load_dwordx4 v[55:58], v[19:20], off
	s_waitcnt vmcnt(4)
	v_subrev_u32_e32 v40, s16, v40
	v_lshlrev_b32_e32 v40, 2, v40
	v_ashrrev_i32_e32 v41, 31, v40
	v_lshlrev_b64 v[40:41], 4, v[40:41]
	v_add_co_u32_e32 v40, vcc, s8, v40
	v_addc_co_u32_e32 v41, vcc, v42, v41, vcc
	global_load_dwordx4 v[59:62], v[40:41], off offset:48
	global_load_dwordx4 v[63:66], v[40:41], off offset:32
	;; [unrolled: 1-line block ×3, first 2 shown]
	global_load_dwordx4 v[71:74], v[40:41], off
	s_waitcnt vmcnt(0)
	v_fma_f64 v[38:39], v[55:56], v[71:72], v[38:39]
	v_fma_f64 v[36:37], v[57:58], v[71:72], v[36:37]
	v_fma_f64 v[38:39], -v[57:58], v[73:74], v[38:39]
	v_fma_f64 v[36:37], v[55:56], v[73:74], v[36:37]
	v_fma_f64 v[38:39], v[51:52], v[67:68], v[38:39]
	v_fma_f64 v[36:37], v[53:54], v[67:68], v[36:37]
	v_fma_f64 v[38:39], -v[53:54], v[69:70], v[38:39]
	v_fma_f64 v[36:37], v[51:52], v[69:70], v[36:37]
	v_fma_f64 v[38:39], v[47:48], v[63:64], v[38:39]
	v_fma_f64 v[36:37], v[49:50], v[63:64], v[36:37]
	v_fma_f64 v[38:39], -v[49:50], v[65:66], v[38:39]
	v_fma_f64 v[36:37], v[47:48], v[65:66], v[36:37]
	v_fma_f64 v[38:39], v[43:44], v[59:60], v[38:39]
	v_fma_f64 v[36:37], v[45:46], v[59:60], v[36:37]
	v_fma_f64 v[40:41], -v[45:46], v[61:62], v[38:39]
	v_fma_f64 v[75:76], v[43:44], v[61:62], v[36:37]
	global_load_dwordx4 v[36:39], v[19:20], off offset:112
	global_load_dwordx4 v[43:46], v[19:20], off offset:96
	global_load_dwordx4 v[47:50], v[19:20], off offset:80
	global_load_dwordx4 v[51:54], v[19:20], off offset:64
	s_waitcnt vmcnt(0)
	v_fma_f64 v[34:35], v[51:52], v[71:72], v[34:35]
	v_fma_f64 v[32:33], v[53:54], v[71:72], v[32:33]
	v_fma_f64 v[34:35], -v[53:54], v[73:74], v[34:35]
	v_fma_f64 v[32:33], v[51:52], v[73:74], v[32:33]
	v_fma_f64 v[34:35], v[47:48], v[67:68], v[34:35]
	v_fma_f64 v[32:33], v[49:50], v[67:68], v[32:33]
	v_fma_f64 v[34:35], -v[49:50], v[69:70], v[34:35]
	v_fma_f64 v[32:33], v[47:48], v[69:70], v[32:33]
	v_fma_f64 v[34:35], v[43:44], v[63:64], v[34:35]
	v_fma_f64 v[32:33], v[45:46], v[63:64], v[32:33]
	v_fma_f64 v[34:35], -v[45:46], v[65:66], v[34:35]
	v_fma_f64 v[32:33], v[43:44], v[65:66], v[32:33]
	v_fma_f64 v[34:35], v[36:37], v[59:60], v[34:35]
	v_fma_f64 v[32:33], v[38:39], v[59:60], v[32:33]
	v_fma_f64 v[77:78], -v[38:39], v[61:62], v[34:35]
	v_fma_f64 v[79:80], v[36:37], v[61:62], v[32:33]
	global_load_dwordx4 v[32:35], v[19:20], off offset:176
	global_load_dwordx4 v[36:39], v[19:20], off offset:160
	global_load_dwordx4 v[43:46], v[19:20], off offset:144
	global_load_dwordx4 v[47:50], v[19:20], off offset:128
	;; [unrolled: 21-line block ×3, first 2 shown]
	s_waitcnt vmcnt(0)
	v_fma_f64 v[24:25], v[47:48], v[71:72], v[30:31]
	v_fma_f64 v[26:27], v[49:50], v[71:72], v[26:27]
	v_fma_f64 v[24:25], -v[49:50], v[73:74], v[24:25]
	v_fma_f64 v[26:27], v[47:48], v[73:74], v[26:27]
	v_fma_f64 v[24:25], v[43:44], v[67:68], v[24:25]
	v_fma_f64 v[26:27], v[45:46], v[67:68], v[26:27]
	v_fma_f64 v[24:25], -v[45:46], v[69:70], v[24:25]
	v_fma_f64 v[26:27], v[43:44], v[69:70], v[26:27]
	;; [unrolled: 4-line block ×3, first 2 shown]
	v_fma_f64 v[24:25], v[32:33], v[59:60], v[24:25]
	v_fma_f64 v[63:64], -v[34:35], v[61:62], v[24:25]
	v_fma_f64 v[24:25], v[34:35], v[59:60], v[26:27]
	v_fma_f64 v[59:60], v[32:33], v[61:62], v[24:25]
	global_load_dword v24, v[22:23], off offset:-128
	v_add_co_u32_e32 v61, vcc, s17, v19
	v_addc_co_u32_e32 v62, vcc, 0, v20, vcc
	s_waitcnt vmcnt(0)
	v_subrev_u32_e32 v24, s16, v24
	v_lshlrev_b32_e32 v43, 2, v24
	v_ashrrev_i32_e32 v44, 31, v43
	v_lshlrev_b64 v[43:44], 4, v[43:44]
	global_load_dwordx4 v[24:27], v[61:62], off
	global_load_dwordx4 v[28:31], v[61:62], off offset:48
	global_load_dwordx4 v[32:35], v[61:62], off offset:32
	;; [unrolled: 1-line block ×3, first 2 shown]
	v_add_co_u32_e32 v65, vcc, s8, v43
	v_addc_co_u32_e32 v66, vcc, v42, v44, vcc
	global_load_dwordx4 v[43:46], v[65:66], off offset:48
	global_load_dwordx4 v[47:50], v[65:66], off offset:32
	;; [unrolled: 1-line block ×3, first 2 shown]
	global_load_dwordx4 v[55:58], v[65:66], off
	s_waitcnt vmcnt(0)
	v_fma_f64 v[40:41], v[24:25], v[55:56], v[40:41]
	v_fma_f64 v[40:41], -v[26:27], v[57:58], v[40:41]
	v_fma_f64 v[26:27], v[26:27], v[55:56], v[75:76]
	v_fma_f64 v[24:25], v[24:25], v[57:58], v[26:27]
	v_fma_f64 v[26:27], v[36:37], v[51:52], v[40:41]
	v_fma_f64 v[24:25], v[38:39], v[51:52], v[24:25]
	v_fma_f64 v[26:27], -v[38:39], v[53:54], v[26:27]
	v_fma_f64 v[24:25], v[36:37], v[53:54], v[24:25]
	v_fma_f64 v[26:27], v[32:33], v[47:48], v[26:27]
	;; [unrolled: 1-line block ×3, first 2 shown]
	v_fma_f64 v[26:27], -v[34:35], v[49:50], v[26:27]
	v_fma_f64 v[24:25], v[32:33], v[49:50], v[24:25]
	v_fma_f64 v[26:27], v[28:29], v[43:44], v[26:27]
	;; [unrolled: 1-line block ×3, first 2 shown]
	v_fma_f64 v[40:41], -v[30:31], v[45:46], v[26:27]
	v_fma_f64 v[65:66], v[28:29], v[45:46], v[24:25]
	global_load_dwordx4 v[24:27], v[61:62], off offset:112
	global_load_dwordx4 v[28:31], v[61:62], off offset:96
	;; [unrolled: 1-line block ×4, first 2 shown]
	s_waitcnt vmcnt(0)
	v_fma_f64 v[67:68], v[36:37], v[55:56], v[77:78]
	v_fma_f64 v[67:68], -v[38:39], v[57:58], v[67:68]
	v_fma_f64 v[38:39], v[38:39], v[55:56], v[79:80]
	v_add_co_u32_e32 v79, vcc, s18, v19
	v_addc_co_u32_e32 v80, vcc, 0, v20, vcc
	v_fma_f64 v[36:37], v[36:37], v[57:58], v[38:39]
	v_fma_f64 v[38:39], v[32:33], v[51:52], v[67:68]
	v_fma_f64 v[38:39], -v[34:35], v[53:54], v[38:39]
	v_fma_f64 v[34:35], v[34:35], v[51:52], v[36:37]
	v_fma_f64 v[32:33], v[32:33], v[53:54], v[34:35]
	v_fma_f64 v[34:35], v[28:29], v[47:48], v[38:39]
	v_fma_f64 v[34:35], -v[30:31], v[49:50], v[34:35]
	v_fma_f64 v[30:31], v[30:31], v[47:48], v[32:33]
	;; [unrolled: 4-line block ×3, first 2 shown]
	v_fma_f64 v[69:70], v[24:25], v[45:46], v[26:27]
	global_load_dwordx4 v[24:27], v[61:62], off offset:176
	global_load_dwordx4 v[28:31], v[61:62], off offset:160
	;; [unrolled: 1-line block ×4, first 2 shown]
	s_waitcnt vmcnt(0)
	v_fma_f64 v[71:72], v[36:37], v[55:56], v[81:82]
	v_fma_f64 v[71:72], -v[38:39], v[57:58], v[71:72]
	v_fma_f64 v[38:39], v[38:39], v[55:56], v[83:84]
	v_fma_f64 v[36:37], v[36:37], v[57:58], v[38:39]
	v_fma_f64 v[38:39], v[32:33], v[51:52], v[71:72]
	v_fma_f64 v[38:39], -v[34:35], v[53:54], v[38:39]
	v_fma_f64 v[34:35], v[34:35], v[51:52], v[36:37]
	v_fma_f64 v[32:33], v[32:33], v[53:54], v[34:35]
	;; [unrolled: 4-line block ×4, first 2 shown]
	global_load_dwordx4 v[24:27], v[61:62], off offset:240
	global_load_dwordx4 v[28:31], v[61:62], off offset:224
	;; [unrolled: 1-line block ×4, first 2 shown]
	s_waitcnt vmcnt(0)
	v_fma_f64 v[61:62], v[36:37], v[55:56], v[63:64]
	v_fma_f64 v[61:62], -v[38:39], v[57:58], v[61:62]
	v_fma_f64 v[38:39], v[38:39], v[55:56], v[59:60]
	v_fma_f64 v[36:37], v[36:37], v[57:58], v[38:39]
	v_fma_f64 v[38:39], v[32:33], v[51:52], v[61:62]
	v_fma_f64 v[38:39], -v[34:35], v[53:54], v[38:39]
	v_fma_f64 v[34:35], v[34:35], v[51:52], v[36:37]
	v_fma_f64 v[32:33], v[32:33], v[53:54], v[34:35]
	v_fma_f64 v[34:35], v[28:29], v[47:48], v[38:39]
	v_fma_f64 v[34:35], -v[30:31], v[49:50], v[34:35]
	v_fma_f64 v[30:31], v[30:31], v[47:48], v[32:33]
	v_fma_f64 v[28:29], v[28:29], v[49:50], v[30:31]
	v_fma_f64 v[30:31], v[24:25], v[43:44], v[34:35]
	v_fma_f64 v[75:76], -v[26:27], v[45:46], v[30:31]
	v_fma_f64 v[26:27], v[26:27], v[43:44], v[28:29]
	v_fma_f64 v[77:78], v[24:25], v[45:46], v[26:27]
	global_load_dword v24, v[22:23], off
	s_waitcnt vmcnt(0)
	v_subrev_u32_e32 v24, s16, v24
	v_lshlrev_b32_e32 v43, 2, v24
	v_ashrrev_i32_e32 v44, 31, v43
	v_lshlrev_b64 v[43:44], 4, v[43:44]
	global_load_dwordx4 v[24:27], v[79:80], off
	global_load_dwordx4 v[28:31], v[79:80], off offset:48
	global_load_dwordx4 v[32:35], v[79:80], off offset:32
	;; [unrolled: 1-line block ×3, first 2 shown]
	v_add_co_u32_e32 v59, vcc, s8, v43
	v_addc_co_u32_e32 v60, vcc, v42, v44, vcc
	global_load_dwordx4 v[43:46], v[59:60], off offset:48
	global_load_dwordx4 v[47:50], v[59:60], off offset:32
	;; [unrolled: 1-line block ×3, first 2 shown]
	global_load_dwordx4 v[55:58], v[59:60], off
	s_waitcnt vmcnt(0)
	v_fma_f64 v[40:41], v[24:25], v[55:56], v[40:41]
	v_fma_f64 v[40:41], -v[26:27], v[57:58], v[40:41]
	v_fma_f64 v[26:27], v[26:27], v[55:56], v[65:66]
	v_fma_f64 v[24:25], v[24:25], v[57:58], v[26:27]
	;; [unrolled: 1-line block ×4, first 2 shown]
	v_fma_f64 v[26:27], -v[38:39], v[53:54], v[26:27]
	v_fma_f64 v[24:25], v[36:37], v[53:54], v[24:25]
	v_fma_f64 v[26:27], v[32:33], v[47:48], v[26:27]
	;; [unrolled: 1-line block ×3, first 2 shown]
	v_fma_f64 v[26:27], -v[34:35], v[49:50], v[26:27]
	v_fma_f64 v[24:25], v[32:33], v[49:50], v[24:25]
	v_fma_f64 v[26:27], v[28:29], v[43:44], v[26:27]
	;; [unrolled: 1-line block ×3, first 2 shown]
	v_fma_f64 v[36:37], -v[30:31], v[45:46], v[26:27]
	v_fma_f64 v[38:39], v[28:29], v[45:46], v[24:25]
	global_load_dwordx4 v[24:27], v[79:80], off offset:112
	global_load_dwordx4 v[28:31], v[79:80], off offset:96
	;; [unrolled: 1-line block ×4, first 2 shown]
	s_waitcnt vmcnt(0)
	v_fma_f64 v[40:41], v[59:60], v[55:56], v[67:68]
	v_fma_f64 v[40:41], -v[61:62], v[57:58], v[40:41]
	v_fma_f64 v[61:62], v[61:62], v[55:56], v[69:70]
	v_fma_f64 v[40:41], v[32:33], v[51:52], v[40:41]
	v_fma_f64 v[59:60], v[59:60], v[57:58], v[61:62]
	v_fma_f64 v[40:41], -v[34:35], v[53:54], v[40:41]
	v_fma_f64 v[34:35], v[34:35], v[51:52], v[59:60]
	v_fma_f64 v[32:33], v[32:33], v[53:54], v[34:35]
	v_fma_f64 v[34:35], v[28:29], v[47:48], v[40:41]
	v_fma_f64 v[34:35], -v[30:31], v[49:50], v[34:35]
	v_fma_f64 v[30:31], v[30:31], v[47:48], v[32:33]
	v_fma_f64 v[28:29], v[28:29], v[49:50], v[30:31]
	v_fma_f64 v[30:31], v[24:25], v[43:44], v[34:35]
	v_fma_f64 v[32:33], -v[26:27], v[45:46], v[30:31]
	v_fma_f64 v[26:27], v[26:27], v[43:44], v[28:29]
	v_fma_f64 v[34:35], v[24:25], v[45:46], v[26:27]
	global_load_dwordx4 v[26:29], v[79:80], off offset:176
	global_load_dwordx4 v[59:62], v[79:80], off offset:160
	;; [unrolled: 1-line block ×4, first 2 shown]
	s_waitcnt vmcnt(0)
	v_fma_f64 v[24:25], v[67:68], v[55:56], v[71:72]
	v_fma_f64 v[30:31], v[69:70], v[55:56], v[73:74]
	v_fma_f64 v[24:25], -v[69:70], v[57:58], v[24:25]
	v_fma_f64 v[30:31], v[67:68], v[57:58], v[30:31]
	v_fma_f64 v[24:25], v[63:64], v[51:52], v[24:25]
	v_fma_f64 v[30:31], v[65:66], v[51:52], v[30:31]
	v_fma_f64 v[24:25], -v[65:66], v[53:54], v[24:25]
	v_fma_f64 v[30:31], v[63:64], v[53:54], v[30:31]
	;; [unrolled: 4-line block ×3, first 2 shown]
	global_load_dwordx4 v[59:62], v[79:80], off offset:240
	global_load_dwordx4 v[63:66], v[79:80], off offset:224
	;; [unrolled: 1-line block ×4, first 2 shown]
	v_fma_f64 v[24:25], v[26:27], v[43:44], v[24:25]
	v_fma_f64 v[24:25], -v[28:29], v[45:46], v[24:25]
	v_fma_f64 v[28:29], v[28:29], v[43:44], v[30:31]
	v_fma_f64 v[28:29], v[26:27], v[45:46], v[28:29]
	s_waitcnt vmcnt(0)
	v_fma_f64 v[26:27], v[71:72], v[55:56], v[75:76]
	v_fma_f64 v[30:31], v[73:74], v[55:56], v[77:78]
	v_fma_f64 v[26:27], -v[73:74], v[57:58], v[26:27]
	v_fma_f64 v[30:31], v[71:72], v[57:58], v[30:31]
	v_fma_f64 v[26:27], v[67:68], v[51:52], v[26:27]
	v_fma_f64 v[30:31], v[69:70], v[51:52], v[30:31]
	v_fma_f64 v[26:27], -v[69:70], v[53:54], v[26:27]
	v_fma_f64 v[30:31], v[67:68], v[53:54], v[30:31]
	v_fma_f64 v[26:27], v[63:64], v[47:48], v[26:27]
	v_fma_f64 v[30:31], v[65:66], v[47:48], v[30:31]
	v_fma_f64 v[26:27], -v[65:66], v[49:50], v[26:27]
	v_fma_f64 v[40:41], v[63:64], v[49:50], v[30:31]
	v_fma_f64 v[26:27], v[59:60], v[43:44], v[26:27]
	v_fma_f64 v[30:31], -v[61:62], v[45:46], v[26:27]
	v_fma_f64 v[26:27], v[61:62], v[43:44], v[40:41]
	global_load_dword v40, v[22:23], off offset:128
	v_fma_f64 v[26:27], v[59:60], v[45:46], v[26:27]
	s_waitcnt vmcnt(0)
	v_subrev_u32_e32 v40, s16, v40
	v_lshlrev_b32_e32 v59, 2, v40
	v_ashrrev_i32_e32 v60, 31, v59
	v_add_co_u32_e32 v40, vcc, s19, v19
	v_lshlrev_b64 v[59:60], 4, v[59:60]
	v_addc_co_u32_e32 v41, vcc, 0, v20, vcc
	v_add_co_u32_e32 v75, vcc, s8, v59
	v_addc_co_u32_e32 v76, vcc, v42, v60, vcc
	global_load_dwordx4 v[43:46], v[40:41], off
	global_load_dwordx4 v[47:50], v[40:41], off offset:48
	global_load_dwordx4 v[51:54], v[40:41], off offset:32
	global_load_dwordx4 v[55:58], v[40:41], off offset:16
	global_load_dwordx4 v[59:62], v[75:76], off offset:48
	global_load_dwordx4 v[63:66], v[75:76], off offset:32
	global_load_dwordx4 v[67:70], v[75:76], off offset:16
	global_load_dwordx4 v[71:74], v[75:76], off
	v_add_co_u32_e32 v17, vcc, 0x80, v17
	v_addc_co_u32_e32 v18, vcc, 0, v18, vcc
	v_add_co_u32_e32 v22, vcc, 0x200, v22
	v_addc_co_u32_e32 v23, vcc, 0, v23, vcc
	v_cmp_ge_i64_e64 s[2:3], v[17:18], v[11:12]
	v_add_co_u32_e32 v19, vcc, 0x8000, v19
	v_addc_co_u32_e32 v20, vcc, 0, v20, vcc
	s_or_b64 s[14:15], s[2:3], s[14:15]
	s_waitcnt vmcnt(0)
	v_fma_f64 v[36:37], v[43:44], v[71:72], v[36:37]
	v_fma_f64 v[38:39], v[45:46], v[71:72], v[38:39]
	v_fma_f64 v[36:37], -v[45:46], v[73:74], v[36:37]
	v_fma_f64 v[38:39], v[43:44], v[73:74], v[38:39]
	v_fma_f64 v[36:37], v[55:56], v[67:68], v[36:37]
	v_fma_f64 v[38:39], v[57:58], v[67:68], v[38:39]
	v_fma_f64 v[36:37], -v[57:58], v[69:70], v[36:37]
	v_fma_f64 v[38:39], v[55:56], v[69:70], v[38:39]
	v_fma_f64 v[36:37], v[51:52], v[63:64], v[36:37]
	v_fma_f64 v[38:39], v[53:54], v[63:64], v[38:39]
	v_fma_f64 v[36:37], -v[53:54], v[65:66], v[36:37]
	v_fma_f64 v[43:44], v[51:52], v[65:66], v[38:39]
	v_fma_f64 v[36:37], v[47:48], v[59:60], v[36:37]
	v_fma_f64 v[38:39], -v[49:50], v[61:62], v[36:37]
	v_fma_f64 v[36:37], v[49:50], v[59:60], v[43:44]
	v_fma_f64 v[36:37], v[47:48], v[61:62], v[36:37]
	global_load_dwordx4 v[43:46], v[40:41], off offset:112
	global_load_dwordx4 v[47:50], v[40:41], off offset:96
	global_load_dwordx4 v[51:54], v[40:41], off offset:80
	global_load_dwordx4 v[55:58], v[40:41], off offset:64
	s_waitcnt vmcnt(0)
	v_fma_f64 v[32:33], v[55:56], v[71:72], v[32:33]
	v_fma_f64 v[34:35], v[57:58], v[71:72], v[34:35]
	v_fma_f64 v[32:33], -v[57:58], v[73:74], v[32:33]
	v_fma_f64 v[34:35], v[55:56], v[73:74], v[34:35]
	v_fma_f64 v[32:33], v[51:52], v[67:68], v[32:33]
	v_fma_f64 v[34:35], v[53:54], v[67:68], v[34:35]
	v_fma_f64 v[32:33], -v[53:54], v[69:70], v[32:33]
	v_fma_f64 v[34:35], v[51:52], v[69:70], v[34:35]
	v_fma_f64 v[32:33], v[47:48], v[63:64], v[32:33]
	v_fma_f64 v[34:35], v[49:50], v[63:64], v[34:35]
	v_fma_f64 v[32:33], -v[49:50], v[65:66], v[32:33]
	v_fma_f64 v[47:48], v[47:48], v[65:66], v[34:35]
	v_fma_f64 v[32:33], v[43:44], v[59:60], v[32:33]
	v_fma_f64 v[34:35], -v[45:46], v[61:62], v[32:33]
	v_fma_f64 v[32:33], v[45:46], v[59:60], v[47:48]
	v_fma_f64 v[32:33], v[43:44], v[61:62], v[32:33]
	global_load_dwordx4 v[43:46], v[40:41], off offset:176
	global_load_dwordx4 v[47:50], v[40:41], off offset:160
	global_load_dwordx4 v[51:54], v[40:41], off offset:144
	global_load_dwordx4 v[55:58], v[40:41], off offset:128
	;; [unrolled: 21-line block ×3, first 2 shown]
	s_waitcnt vmcnt(0)
	v_fma_f64 v[30:31], v[55:56], v[71:72], v[30:31]
	v_fma_f64 v[26:27], v[57:58], v[71:72], v[26:27]
	v_fma_f64 v[30:31], -v[57:58], v[73:74], v[30:31]
	v_fma_f64 v[26:27], v[55:56], v[73:74], v[26:27]
	v_fma_f64 v[30:31], v[51:52], v[67:68], v[30:31]
	v_fma_f64 v[26:27], v[53:54], v[67:68], v[26:27]
	v_fma_f64 v[30:31], -v[53:54], v[69:70], v[30:31]
	v_fma_f64 v[26:27], v[51:52], v[69:70], v[26:27]
	;; [unrolled: 4-line block ×4, first 2 shown]
	s_andn2_b64 exec, exec, s[14:15]
	s_cbranch_execnz .LBB38_19
; %bb.20:
	s_or_b64 exec, exec, s[14:15]
.LBB38_21:
	s_or_b64 exec, exec, s[6:7]
.LBB38_22:
	s_or_b64 exec, exec, s[10:11]
	s_cbranch_execz .LBB38_24
	s_branch .LBB38_35
.LBB38_23:
                                        ; implicit-def: $vgpr36_vgpr37
                                        ; implicit-def: $vgpr38_vgpr39
                                        ; implicit-def: $vgpr30_vgpr31
                                        ; implicit-def: $vgpr26_vgpr27
                                        ; implicit-def: $vgpr28_vgpr29
                                        ; implicit-def: $vgpr24_vgpr25
                                        ; implicit-def: $vgpr34_vgpr35
                                        ; implicit-def: $vgpr32_vgpr33
.LBB38_24:
	v_mov_b32_e32 v36, 0
	v_mov_b32_e32 v38, 0
	;; [unrolled: 1-line block ×16, first 2 shown]
	s_and_saveexec_b64 s[2:3], s[0:1]
	s_cbranch_execz .LBB38_34
; %bb.25:
	v_or_b32_e32 v17, 32, v0
	v_subrev_co_u32_e32 v17, vcc, s16, v17
	v_subb_co_u32_e64 v18, s[0:1], 0, 0, vcc
	v_add_co_u32_e32 v17, vcc, v17, v15
	v_addc_co_u32_e32 v18, vcc, v18, v16, vcc
	v_cmp_gt_i64_e32 vcc, v[17:18], v[11:12]
	v_not_b32_e32 v15, v15
	v_cndmask_b32_e32 v18, v12, v18, vcc
	v_cndmask_b32_e32 v17, v11, v17, vcc
	v_sub_co_u32_e32 v19, vcc, s16, v0
	v_not_b32_e32 v16, v16
	v_subb_co_u32_e64 v20, s[0:1], 0, 0, vcc
	v_add_co_u32_e32 v15, vcc, v19, v15
	v_addc_co_u32_e32 v16, vcc, v20, v16, vcc
	v_add_co_u32_e32 v15, vcc, v15, v17
	v_addc_co_u32_e32 v16, vcc, v16, v18, vcc
	v_and_b32_e32 v17, 0x60, v15
	v_mov_b32_e32 v18, 0
	s_mov_b64 s[0:1], 0x60
	v_cmp_ne_u64_e32 vcc, s[0:1], v[17:18]
	v_mov_b32_e32 v32, 0
	v_mov_b32_e32 v34, 0
	;; [unrolled: 1-line block ×16, first 2 shown]
	s_and_saveexec_b64 s[0:1], vcc
	s_cbranch_execz .LBB38_29
; %bb.26:
	v_lshrrev_b32_e32 v17, 5, v15
	v_add_u32_e32 v17, 1, v17
	v_and_b32_e32 v19, 3, v17
	v_lshlrev_b64 v[17:18], 2, v[9:10]
	v_mov_b32_e32 v20, s13
	v_add_co_u32_e32 v17, vcc, s12, v17
	v_addc_co_u32_e32 v18, vcc, v20, v18, vcc
	v_sub_co_u32_e32 v19, vcc, 0, v19
	v_subb_co_u32_e64 v20, s[10:11], 0, 0, vcc
	v_mov_b32_e32 v36, 0
	v_mov_b32_e32 v38, 0
	;; [unrolled: 1-line block ×8, first 2 shown]
	s_mov_b64 s[6:7], 0
	v_mov_b32_e32 v37, 0
	s_movk_i32 s10, 0x2000
	v_mov_b32_e32 v39, 0
	v_mov_b32_e32 v31, 0
	;; [unrolled: 1-line block ×7, first 2 shown]
	s_waitcnt lgkmcnt(0)
	v_mov_b32_e32 v22, s9
.LBB38_27:                              ; =>This Inner Loop Header: Depth=1
	global_load_dword v23, v[17:18], off
	global_load_dwordx4 v[40:43], v[13:14], off offset:48
	global_load_dwordx4 v[44:47], v[13:14], off offset:32
	;; [unrolled: 1-line block ×3, first 2 shown]
	global_load_dwordx4 v[52:55], v[13:14], off
	s_waitcnt vmcnt(4)
	v_subrev_u32_e32 v23, s16, v23
	v_lshlrev_b32_e32 v56, 2, v23
	v_ashrrev_i32_e32 v57, 31, v56
	v_lshlrev_b64 v[56:57], 4, v[56:57]
	v_add_co_u32_e32 v72, vcc, s8, v56
	v_addc_co_u32_e32 v73, vcc, v22, v57, vcc
	global_load_dwordx4 v[56:59], v[72:73], off offset:48
	global_load_dwordx4 v[60:63], v[72:73], off offset:32
	;; [unrolled: 1-line block ×3, first 2 shown]
	global_load_dwordx4 v[68:71], v[72:73], off
	s_waitcnt vmcnt(0)
	v_fma_f64 v[23:24], v[46:47], v[68:69], v[24:25]
	v_fma_f64 v[38:39], v[52:53], v[68:69], v[38:39]
	;; [unrolled: 1-line block ×8, first 2 shown]
	v_fma_f64 v[72:73], -v[54:55], v[70:71], v[38:39]
	v_fma_f64 v[54:55], -v[50:51], v[70:71], v[34:35]
	;; [unrolled: 1-line block ×3, first 2 shown]
	v_fma_f64 v[52:53], v[52:53], v[70:71], v[36:37]
	v_fma_f64 v[48:49], v[48:49], v[70:71], v[32:33]
	v_fma_f64 v[46:47], -v[42:43], v[70:71], v[23:24]
	v_fma_f64 v[23:24], v[42:43], v[68:69], v[26:27]
	v_fma_f64 v[39:40], v[40:41], v[70:71], v[23:24]
	global_load_dwordx4 v[23:26], v[13:14], off offset:112
	global_load_dwordx4 v[27:30], v[13:14], off offset:96
	;; [unrolled: 1-line block ×4, first 2 shown]
	s_waitcnt vmcnt(0)
	v_fma_f64 v[41:42], v[35:36], v[64:65], v[72:73]
	v_fma_f64 v[41:42], -v[37:38], v[66:67], v[41:42]
	v_fma_f64 v[37:38], v[37:38], v[64:65], v[52:53]
	v_fma_f64 v[52:53], v[35:36], v[66:67], v[37:38]
	v_fma_f64 v[35:36], v[31:32], v[64:65], v[54:55]
	v_fma_f64 v[54:55], -v[33:34], v[66:67], v[35:36]
	v_fma_f64 v[33:34], v[33:34], v[64:65], v[48:49]
	v_fma_f64 v[48:49], v[31:32], v[66:67], v[33:34]
	;; [unrolled: 4-line block ×4, first 2 shown]
	global_load_dwordx4 v[23:26], v[13:14], off offset:176
	global_load_dwordx4 v[27:30], v[13:14], off offset:160
	;; [unrolled: 1-line block ×4, first 2 shown]
	s_waitcnt vmcnt(0)
	v_fma_f64 v[41:42], v[35:36], v[60:61], v[41:42]
	v_fma_f64 v[64:65], -v[37:38], v[62:63], v[41:42]
	v_fma_f64 v[37:38], v[37:38], v[60:61], v[52:53]
	v_fma_f64 v[35:36], v[35:36], v[62:63], v[37:38]
	v_fma_f64 v[37:38], v[31:32], v[60:61], v[54:55]
	v_fma_f64 v[52:53], -v[33:34], v[62:63], v[37:38]
	v_fma_f64 v[33:34], v[33:34], v[60:61], v[48:49]
	v_fma_f64 v[47:48], v[31:32], v[62:63], v[33:34]
	;; [unrolled: 4-line block ×4, first 2 shown]
	global_load_dwordx4 v[40:43], v[13:14], off offset:240
	global_load_dwordx4 v[23:26], v[13:14], off offset:224
	;; [unrolled: 1-line block ×4, first 2 shown]
	v_add_co_u32_e32 v13, vcc, s10, v13
	v_addc_co_u32_e32 v14, vcc, 0, v14, vcc
	v_add_co_u32_e32 v9, vcc, 32, v9
	v_addc_co_u32_e32 v10, vcc, 0, v10, vcc
	;; [unrolled: 2-line block ×4, first 2 shown]
	v_cmp_eq_u64_e32 vcc, 0, v[19:20]
	s_or_b64 s[6:7], vcc, s[6:7]
	s_waitcnt vmcnt(0)
	v_fma_f64 v[37:38], v[31:32], v[56:57], v[64:65]
	v_fma_f64 v[38:39], -v[33:34], v[58:59], v[37:38]
	v_fma_f64 v[33:34], v[33:34], v[56:57], v[35:36]
	v_fma_f64 v[36:37], v[31:32], v[58:59], v[33:34]
	v_fma_f64 v[31:32], v[27:28], v[56:57], v[52:53]
	v_fma_f64 v[34:35], -v[29:30], v[58:59], v[31:32]
	v_fma_f64 v[29:30], v[29:30], v[56:57], v[47:48]
	v_fma_f64 v[32:33], v[27:28], v[58:59], v[29:30]
	;; [unrolled: 4-line block ×4, first 2 shown]
	s_andn2_b64 exec, exec, s[6:7]
	s_cbranch_execnz .LBB38_27
; %bb.28:
	s_or_b64 exec, exec, s[6:7]
.LBB38_29:
	s_or_b64 exec, exec, s[0:1]
	s_mov_b64 s[0:1], 0x5f
	v_cmp_lt_u64_e32 vcc, s[0:1], v[15:16]
	s_and_saveexec_b64 s[6:7], vcc
	s_cbranch_execz .LBB38_33
; %bb.30:
	v_lshlrev_b64 v[15:16], 2, v[9:10]
	v_mov_b32_e32 v17, s13
	v_add_co_u32_e32 v15, vcc, s12, v15
	v_addc_co_u32_e32 v16, vcc, v17, v16, vcc
	v_add_co_u32_e32 v15, vcc, 0x100, v15
	v_addc_co_u32_e32 v16, vcc, 0, v16, vcc
	s_mov_b64 s[10:11], 0
	s_waitcnt lgkmcnt(0)
	v_mov_b32_e32 v40, s9
	s_movk_i32 s9, 0x2000
	s_movk_i32 s12, 0x4000
	;; [unrolled: 1-line block ×3, first 2 shown]
.LBB38_31:                              ; =>This Inner Loop Header: Depth=1
	global_load_dword v17, v[15:16], off offset:-256
	s_waitcnt vmcnt(0)
	v_subrev_u32_e32 v17, s16, v17
	v_lshlrev_b32_e32 v22, 2, v17
	v_ashrrev_i32_e32 v23, 31, v22
	v_lshlrev_b64 v[22:23], 4, v[22:23]
	global_load_dwordx4 v[17:20], v[13:14], off offset:48
	global_load_dwordx4 v[41:44], v[13:14], off offset:32
	;; [unrolled: 1-line block ×3, first 2 shown]
	global_load_dwordx4 v[49:52], v[13:14], off
	v_add_co_u32_e32 v22, vcc, s8, v22
	v_addc_co_u32_e32 v23, vcc, v40, v23, vcc
	global_load_dwordx4 v[53:56], v[22:23], off offset:48
	global_load_dwordx4 v[57:60], v[22:23], off offset:32
	;; [unrolled: 1-line block ×3, first 2 shown]
	global_load_dwordx4 v[65:68], v[22:23], off
	s_waitcnt vmcnt(0)
	v_fma_f64 v[22:23], v[49:50], v[65:66], v[38:39]
	v_fma_f64 v[38:39], -v[51:52], v[67:68], v[22:23]
	v_fma_f64 v[22:23], v[51:52], v[65:66], v[36:37]
	v_fma_f64 v[36:37], v[49:50], v[67:68], v[22:23]
	v_fma_f64 v[22:23], v[45:46], v[65:66], v[34:35]
	v_fma_f64 v[34:35], -v[47:48], v[67:68], v[22:23]
	v_fma_f64 v[22:23], v[47:48], v[65:66], v[32:33]
	v_fma_f64 v[45:46], v[45:46], v[67:68], v[22:23]
	v_fma_f64 v[22:23], v[41:42], v[65:66], v[28:29]
	v_fma_f64 v[47:48], -v[43:44], v[67:68], v[22:23]
	v_fma_f64 v[22:23], v[43:44], v[65:66], v[24:25]
	v_fma_f64 v[41:42], v[41:42], v[67:68], v[22:23]
	v_fma_f64 v[22:23], v[17:18], v[65:66], v[30:31]
	v_fma_f64 v[43:44], -v[19:20], v[67:68], v[22:23]
	v_fma_f64 v[19:20], v[19:20], v[65:66], v[26:27]
	v_fma_f64 v[49:50], v[17:18], v[67:68], v[19:20]
	global_load_dwordx4 v[17:20], v[13:14], off offset:112
	global_load_dwordx4 v[22:25], v[13:14], off offset:96
	global_load_dwordx4 v[26:29], v[13:14], off offset:80
	global_load_dwordx4 v[30:33], v[13:14], off offset:64
	s_waitcnt vmcnt(0)
	v_fma_f64 v[38:39], v[30:31], v[61:62], v[38:39]
	v_fma_f64 v[38:39], -v[32:33], v[63:64], v[38:39]
	v_fma_f64 v[32:33], v[32:33], v[61:62], v[36:37]
	v_fma_f64 v[36:37], v[30:31], v[63:64], v[32:33]
	v_fma_f64 v[30:31], v[26:27], v[61:62], v[34:35]
	v_fma_f64 v[34:35], -v[28:29], v[63:64], v[30:31]
	v_fma_f64 v[28:29], v[28:29], v[61:62], v[45:46]
	v_fma_f64 v[45:46], v[26:27], v[63:64], v[28:29]
	v_fma_f64 v[26:27], v[22:23], v[61:62], v[47:48]
	v_fma_f64 v[47:48], -v[24:25], v[63:64], v[26:27]
	v_fma_f64 v[24:25], v[24:25], v[61:62], v[41:42]
	v_fma_f64 v[41:42], v[22:23], v[63:64], v[24:25]
	v_fma_f64 v[22:23], v[17:18], v[61:62], v[43:44]
	v_fma_f64 v[43:44], -v[19:20], v[63:64], v[22:23]
	v_fma_f64 v[19:20], v[19:20], v[61:62], v[49:50]
	v_fma_f64 v[49:50], v[17:18], v[63:64], v[19:20]
	global_load_dwordx4 v[17:20], v[13:14], off offset:176
	global_load_dwordx4 v[22:25], v[13:14], off offset:160
	global_load_dwordx4 v[26:29], v[13:14], off offset:144
	global_load_dwordx4 v[30:33], v[13:14], off offset:128
	;; [unrolled: 21-line block ×3, first 2 shown]
	s_waitcnt vmcnt(0)
	v_fma_f64 v[38:39], v[30:31], v[53:54], v[38:39]
	v_fma_f64 v[38:39], -v[32:33], v[55:56], v[38:39]
	v_fma_f64 v[32:33], v[32:33], v[53:54], v[36:37]
	v_fma_f64 v[57:58], v[30:31], v[55:56], v[32:33]
	v_fma_f64 v[30:31], v[26:27], v[53:54], v[34:35]
	v_fma_f64 v[59:60], -v[28:29], v[55:56], v[30:31]
	v_fma_f64 v[28:29], v[28:29], v[53:54], v[45:46]
	v_fma_f64 v[61:62], v[26:27], v[55:56], v[28:29]
	;; [unrolled: 4-line block ×4, first 2 shown]
	global_load_dword v17, v[15:16], off offset:-128
	v_add_co_u32_e32 v55, vcc, s9, v13
	v_addc_co_u32_e32 v56, vcc, 0, v14, vcc
	s_waitcnt vmcnt(0)
	v_subrev_u32_e32 v17, s16, v17
	v_lshlrev_b32_e32 v34, 2, v17
	v_ashrrev_i32_e32 v35, 31, v34
	v_lshlrev_b64 v[34:35], 4, v[34:35]
	global_load_dwordx4 v[17:20], v[55:56], off
	global_load_dwordx4 v[22:25], v[55:56], off offset:48
	global_load_dwordx4 v[26:29], v[55:56], off offset:32
	;; [unrolled: 1-line block ×3, first 2 shown]
	v_add_co_u32_e32 v69, vcc, s8, v34
	v_addc_co_u32_e32 v70, vcc, v40, v35, vcc
	global_load_dwordx4 v[34:37], v[69:70], off offset:48
	global_load_dwordx4 v[41:44], v[69:70], off offset:32
	;; [unrolled: 1-line block ×3, first 2 shown]
	global_load_dwordx4 v[49:52], v[69:70], off
	s_waitcnt vmcnt(0)
	v_fma_f64 v[38:39], v[17:18], v[49:50], v[38:39]
	v_fma_f64 v[38:39], -v[19:20], v[51:52], v[38:39]
	v_fma_f64 v[19:20], v[19:20], v[49:50], v[57:58]
	v_fma_f64 v[57:58], v[17:18], v[51:52], v[19:20]
	v_fma_f64 v[17:18], v[30:31], v[49:50], v[59:60]
	v_fma_f64 v[59:60], -v[32:33], v[51:52], v[17:18]
	v_fma_f64 v[17:18], v[32:33], v[49:50], v[61:62]
	v_fma_f64 v[61:62], v[30:31], v[51:52], v[17:18]
	;; [unrolled: 4-line block ×4, first 2 shown]
	global_load_dwordx4 v[17:20], v[55:56], off offset:112
	global_load_dwordx4 v[22:25], v[55:56], off offset:96
	;; [unrolled: 1-line block ×4, first 2 shown]
	s_waitcnt vmcnt(0)
	v_fma_f64 v[38:39], v[30:31], v[45:46], v[38:39]
	v_fma_f64 v[38:39], -v[32:33], v[47:48], v[38:39]
	v_fma_f64 v[32:33], v[32:33], v[45:46], v[57:58]
	v_fma_f64 v[51:52], v[30:31], v[47:48], v[32:33]
	v_fma_f64 v[30:31], v[26:27], v[45:46], v[59:60]
	v_fma_f64 v[53:54], -v[28:29], v[47:48], v[30:31]
	v_fma_f64 v[28:29], v[28:29], v[45:46], v[61:62]
	v_fma_f64 v[57:58], v[26:27], v[47:48], v[28:29]
	;; [unrolled: 4-line block ×3, first 2 shown]
	v_fma_f64 v[22:23], v[17:18], v[45:46], v[67:68]
	v_add_co_u32_e32 v67, vcc, s12, v13
	v_addc_co_u32_e32 v68, vcc, 0, v14, vcc
	v_fma_f64 v[63:64], -v[19:20], v[47:48], v[22:23]
	v_fma_f64 v[19:20], v[19:20], v[45:46], v[49:50]
	v_fma_f64 v[45:46], v[17:18], v[47:48], v[19:20]
	global_load_dwordx4 v[17:20], v[55:56], off offset:176
	global_load_dwordx4 v[22:25], v[55:56], off offset:160
	;; [unrolled: 1-line block ×4, first 2 shown]
	s_waitcnt vmcnt(0)
	v_fma_f64 v[38:39], v[30:31], v[41:42], v[38:39]
	v_fma_f64 v[38:39], -v[32:33], v[43:44], v[38:39]
	v_fma_f64 v[32:33], v[32:33], v[41:42], v[51:52]
	v_fma_f64 v[47:48], v[30:31], v[43:44], v[32:33]
	v_fma_f64 v[30:31], v[26:27], v[41:42], v[53:54]
	v_fma_f64 v[49:50], -v[28:29], v[43:44], v[30:31]
	v_fma_f64 v[28:29], v[28:29], v[41:42], v[57:58]
	v_fma_f64 v[51:52], v[26:27], v[43:44], v[28:29]
	;; [unrolled: 4-line block ×4, first 2 shown]
	global_load_dwordx4 v[17:20], v[55:56], off offset:240
	global_load_dwordx4 v[22:25], v[55:56], off offset:224
	global_load_dwordx4 v[26:29], v[55:56], off offset:208
	global_load_dwordx4 v[30:33], v[55:56], off offset:192
	s_waitcnt vmcnt(0)
	v_fma_f64 v[38:39], v[30:31], v[34:35], v[38:39]
	v_fma_f64 v[38:39], -v[32:33], v[36:37], v[38:39]
	v_fma_f64 v[32:33], v[32:33], v[34:35], v[47:48]
	v_fma_f64 v[55:56], v[30:31], v[36:37], v[32:33]
	v_fma_f64 v[30:31], v[26:27], v[34:35], v[49:50]
	v_fma_f64 v[61:62], -v[28:29], v[36:37], v[30:31]
	v_fma_f64 v[28:29], v[28:29], v[34:35], v[51:52]
	v_fma_f64 v[63:64], v[26:27], v[36:37], v[28:29]
	;; [unrolled: 4-line block ×4, first 2 shown]
	global_load_dword v17, v[15:16], off
	s_waitcnt vmcnt(0)
	v_subrev_u32_e32 v17, s16, v17
	v_lshlrev_b32_e32 v34, 2, v17
	v_ashrrev_i32_e32 v35, 31, v34
	v_lshlrev_b64 v[34:35], 4, v[34:35]
	global_load_dwordx4 v[17:20], v[67:68], off
	global_load_dwordx4 v[22:25], v[67:68], off offset:48
	global_load_dwordx4 v[26:29], v[67:68], off offset:32
	;; [unrolled: 1-line block ×3, first 2 shown]
	v_add_co_u32_e32 v69, vcc, s8, v34
	v_addc_co_u32_e32 v70, vcc, v40, v35, vcc
	global_load_dwordx4 v[34:37], v[69:70], off offset:48
	global_load_dwordx4 v[41:44], v[69:70], off offset:32
	;; [unrolled: 1-line block ×3, first 2 shown]
	global_load_dwordx4 v[49:52], v[69:70], off
	s_waitcnt vmcnt(0)
	v_fma_f64 v[38:39], v[17:18], v[49:50], v[38:39]
	v_fma_f64 v[38:39], -v[19:20], v[51:52], v[38:39]
	v_fma_f64 v[19:20], v[19:20], v[49:50], v[55:56]
	v_fma_f64 v[55:56], v[17:18], v[51:52], v[19:20]
	v_fma_f64 v[17:18], v[30:31], v[49:50], v[61:62]
	v_fma_f64 v[61:62], -v[32:33], v[51:52], v[17:18]
	v_fma_f64 v[17:18], v[32:33], v[49:50], v[63:64]
	v_fma_f64 v[63:64], v[30:31], v[51:52], v[17:18]
	v_fma_f64 v[17:18], v[26:27], v[49:50], v[53:54]
	v_fma_f64 v[53:54], -v[28:29], v[51:52], v[17:18]
	v_fma_f64 v[17:18], v[28:29], v[49:50], v[57:58]
	v_fma_f64 v[57:58], v[26:27], v[51:52], v[17:18]
	v_fma_f64 v[17:18], v[22:23], v[49:50], v[59:60]
	v_fma_f64 v[59:60], -v[24:25], v[51:52], v[17:18]
	v_fma_f64 v[17:18], v[24:25], v[49:50], v[65:66]
	v_fma_f64 v[49:50], v[22:23], v[51:52], v[17:18]
	global_load_dwordx4 v[17:20], v[67:68], off offset:112
	global_load_dwordx4 v[22:25], v[67:68], off offset:96
	global_load_dwordx4 v[26:29], v[67:68], off offset:80
	global_load_dwordx4 v[30:33], v[67:68], off offset:64
	s_waitcnt vmcnt(0)
	v_fma_f64 v[38:39], v[30:31], v[45:46], v[38:39]
	v_fma_f64 v[38:39], -v[32:33], v[47:48], v[38:39]
	v_fma_f64 v[32:33], v[32:33], v[45:46], v[55:56]
	v_fma_f64 v[51:52], v[30:31], v[47:48], v[32:33]
	v_fma_f64 v[30:31], v[26:27], v[45:46], v[61:62]
	v_fma_f64 v[55:56], -v[28:29], v[47:48], v[30:31]
	v_fma_f64 v[28:29], v[28:29], v[45:46], v[63:64]
	v_fma_f64 v[61:62], v[26:27], v[47:48], v[28:29]
	v_fma_f64 v[26:27], v[22:23], v[45:46], v[53:54]
	v_fma_f64 v[53:54], -v[24:25], v[47:48], v[26:27]
	v_fma_f64 v[24:25], v[24:25], v[45:46], v[57:58]
	v_fma_f64 v[57:58], v[22:23], v[47:48], v[24:25]
	v_fma_f64 v[22:23], v[17:18], v[45:46], v[59:60]
	v_fma_f64 v[59:60], -v[19:20], v[47:48], v[22:23]
	v_fma_f64 v[19:20], v[19:20], v[45:46], v[49:50]
	v_fma_f64 v[45:46], v[17:18], v[47:48], v[19:20]
	global_load_dwordx4 v[17:20], v[67:68], off offset:176
	global_load_dwordx4 v[22:25], v[67:68], off offset:160
	global_load_dwordx4 v[26:29], v[67:68], off offset:144
	global_load_dwordx4 v[30:33], v[67:68], off offset:128
	;; [unrolled: 21-line block ×3, first 2 shown]
	s_waitcnt vmcnt(1)
	v_fma_f64 v[22:23], v[24:25], v[34:35], v[49:50]
	s_waitcnt vmcnt(0)
	v_fma_f64 v[17:18], v[45:46], v[34:35], v[38:39]
	v_fma_f64 v[19:20], v[47:48], v[34:35], v[32:33]
	;; [unrolled: 1-line block ×3, first 2 shown]
	v_fma_f64 v[22:23], -v[26:27], v[36:37], v[22:23]
	v_fma_f64 v[26:27], v[26:27], v[34:35], v[51:52]
	v_fma_f64 v[17:18], -v[47:48], v[36:37], v[17:18]
	v_fma_f64 v[19:20], v[45:46], v[36:37], v[19:20]
	v_fma_f64 v[32:33], v[41:42], v[36:37], v[32:33]
	;; [unrolled: 1-line block ×4, first 2 shown]
	v_fma_f64 v[26:27], -v[30:31], v[36:37], v[26:27]
	v_fma_f64 v[30:31], v[30:31], v[34:35], v[55:56]
	v_fma_f64 v[28:29], v[28:29], v[36:37], v[30:31]
	;; [unrolled: 1-line block ×3, first 2 shown]
	global_load_dword v34, v[15:16], off offset:128
	v_fma_f64 v[30:31], -v[43:44], v[36:37], v[30:31]
	s_waitcnt vmcnt(0)
	v_subrev_u32_e32 v34, s16, v34
	v_lshlrev_b32_e32 v53, 2, v34
	v_ashrrev_i32_e32 v54, 31, v53
	v_add_co_u32_e32 v34, vcc, s13, v13
	v_lshlrev_b64 v[53:54], 4, v[53:54]
	v_addc_co_u32_e32 v35, vcc, 0, v14, vcc
	v_add_co_u32_e32 v69, vcc, s8, v53
	v_addc_co_u32_e32 v70, vcc, v40, v54, vcc
	global_load_dwordx4 v[36:39], v[34:35], off
	global_load_dwordx4 v[41:44], v[34:35], off offset:48
	global_load_dwordx4 v[45:48], v[34:35], off offset:32
	global_load_dwordx4 v[49:52], v[34:35], off offset:16
	global_load_dwordx4 v[53:56], v[69:70], off offset:48
	global_load_dwordx4 v[57:60], v[69:70], off offset:32
	global_load_dwordx4 v[61:64], v[69:70], off offset:16
	global_load_dwordx4 v[65:68], v[69:70], off
	v_add_co_u32_e32 v9, vcc, 0x80, v9
	v_addc_co_u32_e32 v10, vcc, 0, v10, vcc
	v_add_co_u32_e32 v15, vcc, 0x200, v15
	v_addc_co_u32_e32 v16, vcc, 0, v16, vcc
	v_cmp_ge_i64_e64 s[0:1], v[9:10], v[11:12]
	v_add_co_u32_e32 v13, vcc, 0x8000, v13
	v_addc_co_u32_e32 v14, vcc, 0, v14, vcc
	s_or_b64 s[10:11], s[0:1], s[10:11]
	s_waitcnt vmcnt(0)
	v_fma_f64 v[17:18], v[36:37], v[65:66], v[17:18]
	v_fma_f64 v[69:70], -v[38:39], v[67:68], v[17:18]
	v_fma_f64 v[17:18], v[38:39], v[65:66], v[19:20]
	v_fma_f64 v[36:37], v[36:37], v[67:68], v[17:18]
	v_fma_f64 v[17:18], v[49:50], v[65:66], v[22:23]
	v_fma_f64 v[38:39], -v[51:52], v[67:68], v[17:18]
	v_fma_f64 v[17:18], v[51:52], v[65:66], v[24:25]
	v_fma_f64 v[49:50], v[49:50], v[67:68], v[17:18]
	v_fma_f64 v[17:18], v[45:46], v[65:66], v[26:27]
	v_fma_f64 v[51:52], -v[47:48], v[67:68], v[17:18]
	v_fma_f64 v[17:18], v[47:48], v[65:66], v[28:29]
	v_fma_f64 v[45:46], v[45:46], v[67:68], v[17:18]
	v_fma_f64 v[17:18], v[41:42], v[65:66], v[30:31]
	v_fma_f64 v[47:48], -v[43:44], v[67:68], v[17:18]
	v_fma_f64 v[17:18], v[43:44], v[65:66], v[32:33]
	v_fma_f64 v[41:42], v[41:42], v[67:68], v[17:18]
	global_load_dwordx4 v[17:20], v[34:35], off offset:112
	global_load_dwordx4 v[22:25], v[34:35], off offset:96
	global_load_dwordx4 v[26:29], v[34:35], off offset:80
	global_load_dwordx4 v[30:33], v[34:35], off offset:64
	s_waitcnt vmcnt(0)
	v_fma_f64 v[43:44], v[30:31], v[61:62], v[69:70]
	v_fma_f64 v[43:44], -v[32:33], v[63:64], v[43:44]
	v_fma_f64 v[32:33], v[32:33], v[61:62], v[36:37]
	v_fma_f64 v[36:37], v[30:31], v[63:64], v[32:33]
	v_fma_f64 v[30:31], v[26:27], v[61:62], v[38:39]
	v_fma_f64 v[38:39], -v[28:29], v[63:64], v[30:31]
	v_fma_f64 v[28:29], v[28:29], v[61:62], v[49:50]
	v_fma_f64 v[49:50], v[26:27], v[63:64], v[28:29]
	v_fma_f64 v[26:27], v[22:23], v[61:62], v[51:52]
	v_fma_f64 v[51:52], -v[24:25], v[63:64], v[26:27]
	v_fma_f64 v[24:25], v[24:25], v[61:62], v[45:46]
	v_fma_f64 v[45:46], v[22:23], v[63:64], v[24:25]
	v_fma_f64 v[22:23], v[17:18], v[61:62], v[47:48]
	v_fma_f64 v[47:48], -v[19:20], v[63:64], v[22:23]
	v_fma_f64 v[19:20], v[19:20], v[61:62], v[41:42]
	v_fma_f64 v[41:42], v[17:18], v[63:64], v[19:20]
	global_load_dwordx4 v[17:20], v[34:35], off offset:176
	global_load_dwordx4 v[22:25], v[34:35], off offset:160
	global_load_dwordx4 v[26:29], v[34:35], off offset:144
	global_load_dwordx4 v[30:33], v[34:35], off offset:128
	;; [unrolled: 21-line block ×3, first 2 shown]
	s_waitcnt vmcnt(0)
	v_fma_f64 v[34:35], v[30:31], v[53:54], v[43:44]
	v_fma_f64 v[38:39], -v[32:33], v[55:56], v[34:35]
	v_fma_f64 v[32:33], v[32:33], v[53:54], v[36:37]
	v_fma_f64 v[36:37], v[30:31], v[55:56], v[32:33]
	v_fma_f64 v[30:31], v[26:27], v[53:54], v[61:62]
	v_fma_f64 v[34:35], -v[28:29], v[55:56], v[30:31]
	v_fma_f64 v[28:29], v[28:29], v[53:54], v[49:50]
	v_fma_f64 v[32:33], v[26:27], v[55:56], v[28:29]
	;; [unrolled: 4-line block ×4, first 2 shown]
	s_andn2_b64 exec, exec, s[10:11]
	s_cbranch_execnz .LBB38_31
; %bb.32:
	s_or_b64 exec, exec, s[10:11]
.LBB38_33:
	s_or_b64 exec, exec, s[6:7]
.LBB38_34:
	s_or_b64 exec, exec, s[2:3]
.LBB38_35:
	v_mov_b32_dpp v9, v38 row_shr:1 row_mask:0xf bank_mask:0xf
	v_mov_b32_dpp v10, v39 row_shr:1 row_mask:0xf bank_mask:0xf
	v_add_f64 v[9:10], v[38:39], v[9:10]
	v_mov_b32_dpp v11, v36 row_shr:1 row_mask:0xf bank_mask:0xf
	v_mov_b32_dpp v12, v37 row_shr:1 row_mask:0xf bank_mask:0xf
	v_add_f64 v[11:12], v[36:37], v[11:12]
	v_mov_b32_dpp v13, v34 row_shr:1 row_mask:0xf bank_mask:0xf
	v_cmp_eq_u32_e32 vcc, 31, v0
	v_mov_b32_dpp v14, v9 row_shr:2 row_mask:0xf bank_mask:0xf
	v_mov_b32_dpp v15, v10 row_shr:2 row_mask:0xf bank_mask:0xf
	v_add_f64 v[9:10], v[9:10], v[14:15]
	v_mov_b32_dpp v14, v35 row_shr:1 row_mask:0xf bank_mask:0xf
	v_mov_b32_dpp v16, v11 row_shr:2 row_mask:0xf bank_mask:0xf
	;; [unrolled: 1-line block ×4, first 2 shown]
	v_add_f64 v[13:14], v[34:35], v[13:14]
	v_add_f64 v[11:12], v[11:12], v[16:17]
	v_mov_b32_dpp v16, v33 row_shr:1 row_mask:0xf bank_mask:0xf
	v_add_f64 v[15:16], v[32:33], v[15:16]
	v_mov_b32_dpp v17, v9 row_shr:4 row_mask:0xf bank_mask:0xe
	v_mov_b32_dpp v18, v10 row_shr:4 row_mask:0xf bank_mask:0xe
	v_add_f64 v[9:10], v[9:10], v[17:18]
	v_mov_b32_dpp v17, v13 row_shr:2 row_mask:0xf bank_mask:0xf
	v_mov_b32_dpp v18, v14 row_shr:2 row_mask:0xf bank_mask:0xf
	;; [unrolled: 1-line block ×4, first 2 shown]
	v_add_f64 v[11:12], v[11:12], v[19:20]
	v_add_f64 v[13:14], v[13:14], v[17:18]
	v_mov_b32_dpp v18, v15 row_shr:2 row_mask:0xf bank_mask:0xf
	v_mov_b32_dpp v19, v16 row_shr:2 row_mask:0xf bank_mask:0xf
	v_add_f64 v[15:16], v[15:16], v[18:19]
	v_mov_b32_dpp v17, v9 row_shr:8 row_mask:0xf bank_mask:0xc
	v_mov_b32_dpp v18, v10 row_shr:8 row_mask:0xf bank_mask:0xc
	;; [unrolled: 3-line block ×3, first 2 shown]
	v_mov_b32_dpp v20, v14 row_shr:4 row_mask:0xf bank_mask:0xe
	v_add_f64 v[13:14], v[13:14], v[19:20]
	v_mov_b32_dpp v19, v15 row_shr:4 row_mask:0xf bank_mask:0xe
	v_mov_b32_dpp v20, v16 row_shr:4 row_mask:0xf bank_mask:0xe
	v_add_f64 v[15:16], v[15:16], v[19:20]
	v_mov_b32_dpp v19, v28 row_shr:1 row_mask:0xf bank_mask:0xf
	;; [unrolled: 3-line block ×3, first 2 shown]
	v_add_f64 v[11:12], v[11:12], v[17:18]
	v_mov_b32_dpp v17, v13 row_shr:8 row_mask:0xf bank_mask:0xc
	v_mov_b32_dpp v18, v14 row_shr:8 row_mask:0xf bank_mask:0xc
	v_add_f64 v[13:14], v[13:14], v[17:18]
	v_mov_b32_dpp v17, v15 row_shr:8 row_mask:0xf bank_mask:0xc
	v_mov_b32_dpp v18, v16 row_shr:8 row_mask:0xf bank_mask:0xc
	;; [unrolled: 3-line block ×3, first 2 shown]
	v_add_f64 v[32:33], v[19:20], v[17:18]
	v_mov_b32_dpp v28, v9 row_bcast:15 row_mask:0xa bank_mask:0xf
	v_mov_b32_dpp v29, v10 row_bcast:15 row_mask:0xa bank_mask:0xf
	;; [unrolled: 1-line block ×7, first 2 shown]
	v_mov_b32_dpp v34, v32 row_shr:4 row_mask:0xf bank_mask:0xe
	v_mov_b32_dpp v35, v33 row_shr:4 row_mask:0xf bank_mask:0xe
	v_add_f64 v[32:33], v[32:33], v[34:35]
	v_mov_b32_dpp v34, v24 row_shr:1 row_mask:0xf bank_mask:0xf
	v_mov_b32_dpp v35, v25 row_shr:1 row_mask:0xf bank_mask:0xf
	v_add_f64 v[24:25], v[24:25], v[34:35]
	;; [unrolled: 3-line block ×4, first 2 shown]
	v_mov_b32_dpp v34, v32 row_shr:8 row_mask:0xf bank_mask:0xc
	v_mov_b32_dpp v35, v24 row_shr:2 row_mask:0xf bank_mask:0xf
	;; [unrolled: 1-line block ×3, first 2 shown]
	v_add_f64 v[24:25], v[24:25], v[35:36]
	v_mov_b32_dpp v35, v30 row_shr:2 row_mask:0xf bank_mask:0xf
	v_mov_b32_dpp v36, v31 row_shr:2 row_mask:0xf bank_mask:0xf
	v_add_f64 v[30:31], v[30:31], v[35:36]
	v_mov_b32_dpp v35, v26 row_shr:2 row_mask:0xf bank_mask:0xf
	v_mov_b32_dpp v36, v27 row_shr:2 row_mask:0xf bank_mask:0xf
	v_add_f64 v[26:27], v[26:27], v[35:36]
	v_mov_b32_dpp v35, v33 row_shr:8 row_mask:0xf bank_mask:0xc
	v_mov_b32_dpp v36, v24 row_shr:4 row_mask:0xf bank_mask:0xe
	v_mov_b32_dpp v37, v25 row_shr:4 row_mask:0xf bank_mask:0xe
	v_add_f64 v[36:37], v[24:25], v[36:37]
	v_mov_b32_dpp v24, v30 row_shr:4 row_mask:0xf bank_mask:0xe
	v_mov_b32_dpp v25, v31 row_shr:4 row_mask:0xf bank_mask:0xe
	v_add_f64 v[30:31], v[30:31], v[24:25]
	v_mov_b32_dpp v24, v26 row_shr:4 row_mask:0xf bank_mask:0xe
	v_mov_b32_dpp v25, v27 row_shr:4 row_mask:0xf bank_mask:0xe
	v_add_f64 v[38:39], v[26:27], v[24:25]
	v_add_f64 v[24:25], v[32:33], v[34:35]
	v_mov_b32_dpp v26, v36 row_shr:8 row_mask:0xf bank_mask:0xc
	v_mov_b32_dpp v27, v37 row_shr:8 row_mask:0xf bank_mask:0xc
	v_add_f64 v[26:27], v[36:37], v[26:27]
	v_mov_b32_dpp v32, v30 row_shr:8 row_mask:0xf bank_mask:0xc
	v_mov_b32_dpp v33, v31 row_shr:8 row_mask:0xf bank_mask:0xc
	v_add_f64 v[30:31], v[30:31], v[32:33]
	v_mov_b32_dpp v32, v38 row_shr:8 row_mask:0xf bank_mask:0xc
	v_mov_b32_dpp v33, v39 row_shr:8 row_mask:0xf bank_mask:0xc
	v_add_f64 v[32:33], v[38:39], v[32:33]
	v_mov_b32_dpp v18, v16 row_bcast:15 row_mask:0xa bank_mask:0xf
	v_mov_b32_dpp v40, v24 row_bcast:15 row_mask:0xa bank_mask:0xf
	;; [unrolled: 1-line block ×9, first 2 shown]
	s_and_b64 exec, exec, vcc
	s_cbranch_execz .LBB38_8
; %bb.36:
	v_add_f64 v[11:12], v[11:12], v[22:23]
	v_add_f64 v[22:23], v[13:14], v[19:20]
	;; [unrolled: 1-line block ×8, first 2 shown]
	v_mul_f64 v[19:20], v[11:12], -v[7:8]
	v_mul_f64 v[11:12], v[5:6], v[11:12]
	v_mul_f64 v[28:29], v[13:14], -v[7:8]
	v_mul_f64 v[30:31], v[5:6], v[13:14]
	;; [unrolled: 2-line block ×4, first 2 shown]
	v_cmp_eq_f64_e32 vcc, 0, v[1:2]
	v_cmp_eq_f64_e64 s[0:1], 0, v[3:4]
	v_fma_f64 v[17:18], v[5:6], v[9:10], v[19:20]
	v_fma_f64 v[19:20], v[7:8], v[9:10], v[11:12]
	;; [unrolled: 1-line block ×8, first 2 shown]
	s_load_dwordx2 s[2:3], s[4:5], 0x60
	s_and_b64 s[0:1], vcc, s[0:1]
	v_lshlrev_b32_e32 v21, 2, v21
	s_and_saveexec_b64 s[4:5], s[0:1]
	s_xor_b64 s[0:1], exec, s[4:5]
	s_cbranch_execz .LBB38_38
; %bb.37:
	v_ashrrev_i32_e32 v22, 31, v21
	v_lshlrev_b64 v[0:1], 4, v[21:22]
	s_waitcnt lgkmcnt(0)
	v_mov_b32_e32 v2, s3
	v_add_co_u32_e32 v0, vcc, s2, v0
	v_addc_co_u32_e32 v1, vcc, v2, v1, vcc
	global_store_dwordx4 v[0:1], v[17:20], off
	global_store_dwordx4 v[0:1], v[13:16], off offset:16
	global_store_dwordx4 v[0:1], v[9:12], off offset:32
	;; [unrolled: 1-line block ×3, first 2 shown]
                                        ; implicit-def: $vgpr3_vgpr4
                                        ; implicit-def: $vgpr17_vgpr18
                                        ; implicit-def: $vgpr21
                                        ; implicit-def: $vgpr13_vgpr14
                                        ; implicit-def: $vgpr9_vgpr10
                                        ; implicit-def: $vgpr5_vgpr6
.LBB38_38:
	s_andn2_saveexec_b64 s[0:1], s[0:1]
	s_cbranch_execz .LBB38_8
; %bb.39:
	v_ashrrev_i32_e32 v22, 31, v21
	v_lshlrev_b64 v[21:22], 4, v[21:22]
	s_waitcnt lgkmcnt(0)
	v_mov_b32_e32 v0, s3
	v_add_co_u32_e32 v37, vcc, s2, v21
	v_addc_co_u32_e32 v38, vcc, v0, v22, vcc
	global_load_dwordx4 v[21:24], v[37:38], off
	global_load_dwordx4 v[25:28], v[37:38], off offset:16
	global_load_dwordx4 v[29:32], v[37:38], off offset:32
	;; [unrolled: 1-line block ×3, first 2 shown]
	s_waitcnt vmcnt(3)
	v_fma_f64 v[17:18], v[1:2], v[21:22], v[17:18]
	v_fma_f64 v[19:20], v[3:4], v[21:22], v[19:20]
	s_waitcnt vmcnt(2)
	v_fma_f64 v[13:14], v[1:2], v[25:26], v[13:14]
	v_fma_f64 v[15:16], v[3:4], v[25:26], v[15:16]
	;; [unrolled: 3-line block ×4, first 2 shown]
	v_fma_f64 v[5:6], -v[3:4], v[23:24], v[17:18]
	v_fma_f64 v[7:8], v[1:2], v[23:24], v[19:20]
	v_fma_f64 v[9:10], -v[3:4], v[27:28], v[13:14]
	v_fma_f64 v[11:12], v[1:2], v[27:28], v[15:16]
	;; [unrolled: 2-line block ×4, first 2 shown]
	global_store_dwordx4 v[37:38], v[5:8], off
	global_store_dwordx4 v[37:38], v[9:12], off offset:16
	global_store_dwordx4 v[37:38], v[13:16], off offset:32
	;; [unrolled: 1-line block ×3, first 2 shown]
	s_endpgm
	.section	.rodata,"a",@progbits
	.p2align	6, 0x0
	.amdhsa_kernel _ZN9rocsparseL18bsrxmvn_4x4_kernelILj128ELj32E21rocsparse_complex_numIdEliS2_S2_S2_EEvT3_20rocsparse_direction_NS_24const_host_device_scalarIT1_EES3_PKS3_PKT2_SC_S9_PKT4_PKT5_S7_PT6_21rocsparse_index_base_b
		.amdhsa_group_segment_fixed_size 0
		.amdhsa_private_segment_fixed_size 0
		.amdhsa_kernarg_size 112
		.amdhsa_user_sgpr_count 6
		.amdhsa_user_sgpr_private_segment_buffer 1
		.amdhsa_user_sgpr_dispatch_ptr 0
		.amdhsa_user_sgpr_queue_ptr 0
		.amdhsa_user_sgpr_kernarg_segment_ptr 1
		.amdhsa_user_sgpr_dispatch_id 0
		.amdhsa_user_sgpr_flat_scratch_init 0
		.amdhsa_user_sgpr_private_segment_size 0
		.amdhsa_uses_dynamic_stack 0
		.amdhsa_system_sgpr_private_segment_wavefront_offset 0
		.amdhsa_system_sgpr_workgroup_id_x 1
		.amdhsa_system_sgpr_workgroup_id_y 0
		.amdhsa_system_sgpr_workgroup_id_z 0
		.amdhsa_system_sgpr_workgroup_info 0
		.amdhsa_system_vgpr_workitem_id 0
		.amdhsa_next_free_vgpr 85
		.amdhsa_next_free_sgpr 20
		.amdhsa_reserve_vcc 1
		.amdhsa_reserve_flat_scratch 0
		.amdhsa_float_round_mode_32 0
		.amdhsa_float_round_mode_16_64 0
		.amdhsa_float_denorm_mode_32 3
		.amdhsa_float_denorm_mode_16_64 3
		.amdhsa_dx10_clamp 1
		.amdhsa_ieee_mode 1
		.amdhsa_fp16_overflow 0
		.amdhsa_exception_fp_ieee_invalid_op 0
		.amdhsa_exception_fp_denorm_src 0
		.amdhsa_exception_fp_ieee_div_zero 0
		.amdhsa_exception_fp_ieee_overflow 0
		.amdhsa_exception_fp_ieee_underflow 0
		.amdhsa_exception_fp_ieee_inexact 0
		.amdhsa_exception_int_div_zero 0
	.end_amdhsa_kernel
	.section	.text._ZN9rocsparseL18bsrxmvn_4x4_kernelILj128ELj32E21rocsparse_complex_numIdEliS2_S2_S2_EEvT3_20rocsparse_direction_NS_24const_host_device_scalarIT1_EES3_PKS3_PKT2_SC_S9_PKT4_PKT5_S7_PT6_21rocsparse_index_base_b,"axG",@progbits,_ZN9rocsparseL18bsrxmvn_4x4_kernelILj128ELj32E21rocsparse_complex_numIdEliS2_S2_S2_EEvT3_20rocsparse_direction_NS_24const_host_device_scalarIT1_EES3_PKS3_PKT2_SC_S9_PKT4_PKT5_S7_PT6_21rocsparse_index_base_b,comdat
.Lfunc_end38:
	.size	_ZN9rocsparseL18bsrxmvn_4x4_kernelILj128ELj32E21rocsparse_complex_numIdEliS2_S2_S2_EEvT3_20rocsparse_direction_NS_24const_host_device_scalarIT1_EES3_PKS3_PKT2_SC_S9_PKT4_PKT5_S7_PT6_21rocsparse_index_base_b, .Lfunc_end38-_ZN9rocsparseL18bsrxmvn_4x4_kernelILj128ELj32E21rocsparse_complex_numIdEliS2_S2_S2_EEvT3_20rocsparse_direction_NS_24const_host_device_scalarIT1_EES3_PKS3_PKT2_SC_S9_PKT4_PKT5_S7_PT6_21rocsparse_index_base_b
                                        ; -- End function
	.set _ZN9rocsparseL18bsrxmvn_4x4_kernelILj128ELj32E21rocsparse_complex_numIdEliS2_S2_S2_EEvT3_20rocsparse_direction_NS_24const_host_device_scalarIT1_EES3_PKS3_PKT2_SC_S9_PKT4_PKT5_S7_PT6_21rocsparse_index_base_b.num_vgpr, 85
	.set _ZN9rocsparseL18bsrxmvn_4x4_kernelILj128ELj32E21rocsparse_complex_numIdEliS2_S2_S2_EEvT3_20rocsparse_direction_NS_24const_host_device_scalarIT1_EES3_PKS3_PKT2_SC_S9_PKT4_PKT5_S7_PT6_21rocsparse_index_base_b.num_agpr, 0
	.set _ZN9rocsparseL18bsrxmvn_4x4_kernelILj128ELj32E21rocsparse_complex_numIdEliS2_S2_S2_EEvT3_20rocsparse_direction_NS_24const_host_device_scalarIT1_EES3_PKS3_PKT2_SC_S9_PKT4_PKT5_S7_PT6_21rocsparse_index_base_b.numbered_sgpr, 20
	.set _ZN9rocsparseL18bsrxmvn_4x4_kernelILj128ELj32E21rocsparse_complex_numIdEliS2_S2_S2_EEvT3_20rocsparse_direction_NS_24const_host_device_scalarIT1_EES3_PKS3_PKT2_SC_S9_PKT4_PKT5_S7_PT6_21rocsparse_index_base_b.num_named_barrier, 0
	.set _ZN9rocsparseL18bsrxmvn_4x4_kernelILj128ELj32E21rocsparse_complex_numIdEliS2_S2_S2_EEvT3_20rocsparse_direction_NS_24const_host_device_scalarIT1_EES3_PKS3_PKT2_SC_S9_PKT4_PKT5_S7_PT6_21rocsparse_index_base_b.private_seg_size, 0
	.set _ZN9rocsparseL18bsrxmvn_4x4_kernelILj128ELj32E21rocsparse_complex_numIdEliS2_S2_S2_EEvT3_20rocsparse_direction_NS_24const_host_device_scalarIT1_EES3_PKS3_PKT2_SC_S9_PKT4_PKT5_S7_PT6_21rocsparse_index_base_b.uses_vcc, 1
	.set _ZN9rocsparseL18bsrxmvn_4x4_kernelILj128ELj32E21rocsparse_complex_numIdEliS2_S2_S2_EEvT3_20rocsparse_direction_NS_24const_host_device_scalarIT1_EES3_PKS3_PKT2_SC_S9_PKT4_PKT5_S7_PT6_21rocsparse_index_base_b.uses_flat_scratch, 0
	.set _ZN9rocsparseL18bsrxmvn_4x4_kernelILj128ELj32E21rocsparse_complex_numIdEliS2_S2_S2_EEvT3_20rocsparse_direction_NS_24const_host_device_scalarIT1_EES3_PKS3_PKT2_SC_S9_PKT4_PKT5_S7_PT6_21rocsparse_index_base_b.has_dyn_sized_stack, 0
	.set _ZN9rocsparseL18bsrxmvn_4x4_kernelILj128ELj32E21rocsparse_complex_numIdEliS2_S2_S2_EEvT3_20rocsparse_direction_NS_24const_host_device_scalarIT1_EES3_PKS3_PKT2_SC_S9_PKT4_PKT5_S7_PT6_21rocsparse_index_base_b.has_recursion, 0
	.set _ZN9rocsparseL18bsrxmvn_4x4_kernelILj128ELj32E21rocsparse_complex_numIdEliS2_S2_S2_EEvT3_20rocsparse_direction_NS_24const_host_device_scalarIT1_EES3_PKS3_PKT2_SC_S9_PKT4_PKT5_S7_PT6_21rocsparse_index_base_b.has_indirect_call, 0
	.section	.AMDGPU.csdata,"",@progbits
; Kernel info:
; codeLenInByte = 10484
; TotalNumSgprs: 24
; NumVgprs: 85
; ScratchSize: 0
; MemoryBound: 1
; FloatMode: 240
; IeeeMode: 1
; LDSByteSize: 0 bytes/workgroup (compile time only)
; SGPRBlocks: 2
; VGPRBlocks: 21
; NumSGPRsForWavesPerEU: 24
; NumVGPRsForWavesPerEU: 85
; Occupancy: 2
; WaveLimiterHint : 1
; COMPUTE_PGM_RSRC2:SCRATCH_EN: 0
; COMPUTE_PGM_RSRC2:USER_SGPR: 6
; COMPUTE_PGM_RSRC2:TRAP_HANDLER: 0
; COMPUTE_PGM_RSRC2:TGID_X_EN: 1
; COMPUTE_PGM_RSRC2:TGID_Y_EN: 0
; COMPUTE_PGM_RSRC2:TGID_Z_EN: 0
; COMPUTE_PGM_RSRC2:TIDIG_COMP_CNT: 0
	.section	.text._ZN9rocsparseL18bsrxmvn_4x4_kernelILj128ELj64E21rocsparse_complex_numIdEliS2_S2_S2_EEvT3_20rocsparse_direction_NS_24const_host_device_scalarIT1_EES3_PKS3_PKT2_SC_S9_PKT4_PKT5_S7_PT6_21rocsparse_index_base_b,"axG",@progbits,_ZN9rocsparseL18bsrxmvn_4x4_kernelILj128ELj64E21rocsparse_complex_numIdEliS2_S2_S2_EEvT3_20rocsparse_direction_NS_24const_host_device_scalarIT1_EES3_PKS3_PKT2_SC_S9_PKT4_PKT5_S7_PT6_21rocsparse_index_base_b,comdat
	.globl	_ZN9rocsparseL18bsrxmvn_4x4_kernelILj128ELj64E21rocsparse_complex_numIdEliS2_S2_S2_EEvT3_20rocsparse_direction_NS_24const_host_device_scalarIT1_EES3_PKS3_PKT2_SC_S9_PKT4_PKT5_S7_PT6_21rocsparse_index_base_b ; -- Begin function _ZN9rocsparseL18bsrxmvn_4x4_kernelILj128ELj64E21rocsparse_complex_numIdEliS2_S2_S2_EEvT3_20rocsparse_direction_NS_24const_host_device_scalarIT1_EES3_PKS3_PKT2_SC_S9_PKT4_PKT5_S7_PT6_21rocsparse_index_base_b
	.p2align	8
	.type	_ZN9rocsparseL18bsrxmvn_4x4_kernelILj128ELj64E21rocsparse_complex_numIdEliS2_S2_S2_EEvT3_20rocsparse_direction_NS_24const_host_device_scalarIT1_EES3_PKS3_PKT2_SC_S9_PKT4_PKT5_S7_PT6_21rocsparse_index_base_b,@function
_ZN9rocsparseL18bsrxmvn_4x4_kernelILj128ELj64E21rocsparse_complex_numIdEliS2_S2_S2_EEvT3_20rocsparse_direction_NS_24const_host_device_scalarIT1_EES3_PKS3_PKT2_SC_S9_PKT4_PKT5_S7_PT6_21rocsparse_index_base_b: ; @_ZN9rocsparseL18bsrxmvn_4x4_kernelILj128ELj64E21rocsparse_complex_numIdEliS2_S2_S2_EEvT3_20rocsparse_direction_NS_24const_host_device_scalarIT1_EES3_PKS3_PKT2_SC_S9_PKT4_PKT5_S7_PT6_21rocsparse_index_base_b
; %bb.0:
	s_load_dwordx2 s[0:1], s[4:5], 0x8
	s_load_dwordx2 s[16:17], s[4:5], 0x68
	s_add_u32 s7, s4, 8
	s_addc_u32 s8, s5, 0
	s_add_u32 s9, s4, 0x50
	s_addc_u32 s10, s5, 0
	s_waitcnt lgkmcnt(0)
	s_bitcmp1_b32 s17, 0
	s_cselect_b32 s1, s8, s1
	s_cselect_b32 s0, s7, s0
	v_mov_b32_e32 v1, s0
	v_mov_b32_e32 v2, s1
	flat_load_dwordx4 v[5:8], v[1:2]
	s_load_dwordx2 s[2:3], s[4:5], 0x50
	s_waitcnt lgkmcnt(0)
	s_cselect_b32 s0, s10, s3
	s_cselect_b32 s1, s9, s2
	v_mov_b32_e32 v1, s1
	v_mov_b32_e32 v2, s0
	flat_load_dwordx4 v[1:4], v[1:2]
	s_waitcnt vmcnt(0)
	v_cmp_eq_f64_e32 vcc, 0, v[5:6]
	v_cmp_eq_f64_e64 s[0:1], 0, v[7:8]
	s_and_b64 s[8:9], vcc, s[0:1]
	s_mov_b64 s[0:1], -1
	s_and_saveexec_b64 s[2:3], s[8:9]
	s_cbranch_execz .LBB39_2
; %bb.1:
	s_waitcnt lgkmcnt(0)
	v_cmp_neq_f64_e32 vcc, 1.0, v[1:2]
	v_cmp_neq_f64_e64 s[0:1], 0, v[3:4]
	s_or_b64 s[0:1], vcc, s[0:1]
	s_orn2_b64 s[0:1], s[0:1], exec
.LBB39_2:
	s_or_b64 exec, exec, s[2:3]
	s_and_saveexec_b64 s[2:3], s[0:1]
	s_cbranch_execz .LBB39_8
; %bb.3:
	s_load_dwordx2 s[8:9], s[4:5], 0x20
	s_load_dwordx2 s[0:1], s[4:5], 0x0
	v_lshrrev_b32_e32 v9, 6, v0
	v_lshl_or_b32 v21, s6, 1, v9
	s_mov_b64 s[2:3], 0
	s_waitcnt lgkmcnt(0)
	s_cmp_lg_u64 s[8:9], 0
	s_cbranch_scc0 .LBB39_9
; %bb.4:
	s_load_dword s6, s[4:5], 0x18
                                        ; implicit-def: $vgpr9
	s_waitcnt lgkmcnt(0)
	v_cmp_gt_i32_e32 vcc, s6, v21
	s_and_saveexec_b64 s[6:7], vcc
	s_xor_b64 s[6:7], exec, s[6:7]
	s_cbranch_execz .LBB39_6
; %bb.5:
	v_ashrrev_i32_e32 v22, 31, v21
	v_lshlrev_b64 v[9:10], 2, v[21:22]
	v_mov_b32_e32 v11, s9
	v_add_co_u32_e32 v9, vcc, s8, v9
	v_addc_co_u32_e32 v10, vcc, v11, v10, vcc
	global_load_dword v9, v[9:10], off
	s_mov_b64 s[2:3], exec
	s_waitcnt vmcnt(0)
	v_subrev_u32_e32 v9, s16, v9
.LBB39_6:
	s_or_b64 exec, exec, s[6:7]
	s_branch .LBB39_10
.LBB39_7:
	v_cmp_gt_i32_e32 vcc, s0, v21
	s_andn2_b64 s[2:3], s[2:3], exec
	s_and_b64 s[6:7], vcc, exec
	s_or_b64 s[2:3], s[2:3], s[6:7]
	s_and_b64 exec, exec, s[2:3]
	s_cbranch_execnz .LBB39_11
.LBB39_8:
	s_endpgm
.LBB39_9:
                                        ; implicit-def: $vgpr9
	s_cbranch_execnz .LBB39_7
.LBB39_10:
	v_mov_b32_e32 v21, v9
	s_and_b64 exec, exec, s[2:3]
	s_cbranch_execz .LBB39_8
.LBB39_11:
	s_load_dwordx8 s[8:15], s[4:5], 0x28
	v_ashrrev_i32_e32 v22, 31, v21
	v_lshlrev_b64 v[9:10], 3, v[21:22]
	v_and_b32_e32 v0, 63, v0
	s_waitcnt lgkmcnt(0)
	v_mov_b32_e32 v12, s9
	v_add_co_u32_e32 v11, vcc, s8, v9
	v_addc_co_u32_e32 v12, vcc, v12, v10, vcc
	global_load_dwordx2 v[15:16], v[11:12], off
	v_add_co_u32_e32 v11, vcc, 8, v11
	v_addc_co_u32_e32 v12, vcc, 0, v12, vcc
	v_mov_b32_e32 v13, s11
	v_add_co_u32_e32 v9, vcc, s10, v9
	s_cmp_eq_u64 s[10:11], 0
	v_addc_co_u32_e32 v10, vcc, v13, v10, vcc
	s_cselect_b64 vcc, -1, 0
	v_cndmask_b32_e32 v10, v10, v12, vcc
	v_cndmask_b32_e32 v9, v9, v11, vcc
	global_load_dwordx2 v[11:12], v[9:10], off
	s_load_dwordx2 s[8:9], s[4:5], 0x48
	v_mov_b32_e32 v17, s15
	s_cmp_eq_u32 s1, 1
	s_waitcnt vmcnt(1)
	v_subrev_co_u32_e32 v9, vcc, s16, v15
	v_subbrev_co_u32_e32 v10, vcc, 0, v16, vcc
	v_add_co_u32_e32 v9, vcc, v9, v0
	v_addc_co_u32_e32 v10, vcc, 0, v10, vcc
	v_lshlrev_b64 v[13:14], 8, v[9:10]
	s_waitcnt vmcnt(0)
	v_subrev_co_u32_e32 v11, vcc, s16, v11
	v_subbrev_co_u32_e32 v12, vcc, 0, v12, vcc
	v_cmp_lt_i64_e64 s[0:1], v[9:10], v[11:12]
	v_add_co_u32_e32 v13, vcc, s14, v13
	v_addc_co_u32_e32 v14, vcc, v17, v14, vcc
	s_cbranch_scc1 .LBB39_23
; %bb.12:
	v_mov_b32_e32 v36, 0
	v_mov_b32_e32 v38, 0
	v_mov_b32_e32 v28, 0
	v_mov_b32_e32 v26, 0
	v_mov_b32_e32 v30, 0
	v_mov_b32_e32 v24, 0
	v_mov_b32_e32 v34, 0
	v_mov_b32_e32 v32, 0
	v_mov_b32_e32 v37, 0
	v_mov_b32_e32 v39, 0
	v_mov_b32_e32 v29, 0
	v_mov_b32_e32 v27, 0
	v_mov_b32_e32 v31, 0
	v_mov_b32_e32 v25, 0
	v_mov_b32_e32 v35, 0
	v_mov_b32_e32 v33, 0
	s_and_saveexec_b64 s[10:11], s[0:1]
	s_cbranch_execz .LBB39_22
; %bb.13:
	v_or_b32_e32 v17, 64, v0
	v_subrev_co_u32_e32 v17, vcc, s16, v17
	v_subb_co_u32_e64 v18, s[2:3], 0, 0, vcc
	v_add_co_u32_e32 v17, vcc, v17, v15
	v_addc_co_u32_e32 v18, vcc, v18, v16, vcc
	v_cmp_gt_i64_e32 vcc, v[17:18], v[11:12]
	v_not_b32_e32 v20, v15
	v_cndmask_b32_e32 v18, v12, v18, vcc
	v_cndmask_b32_e32 v17, v11, v17, vcc
	v_sub_co_u32_e32 v22, vcc, s16, v0
	v_not_b32_e32 v19, v16
	v_subb_co_u32_e64 v23, s[2:3], 0, 0, vcc
	v_add_co_u32_e32 v20, vcc, v22, v20
	v_addc_co_u32_e32 v19, vcc, v23, v19, vcc
	v_add_co_u32_e32 v22, vcc, v20, v17
	v_addc_co_u32_e32 v23, vcc, v19, v18, vcc
	v_and_b32_e32 v17, 0xc0, v22
	v_mov_b32_e32 v18, 0
	s_mov_b64 s[2:3], 0xc0
	v_cmp_ne_u64_e32 vcc, s[2:3], v[17:18]
	v_mov_b32_e32 v32, 0
	v_mov_b32_e32 v34, 0
	;; [unrolled: 1-line block ×20, first 2 shown]
	s_and_saveexec_b64 s[14:15], vcc
	s_cbranch_execz .LBB39_17
; %bb.14:
	v_lshrrev_b32_e32 v17, 6, v22
	v_add_u32_e32 v17, 1, v17
	v_and_b32_e32 v19, 3, v17
	v_lshlrev_b64 v[17:18], 2, v[9:10]
	v_mov_b32_e32 v20, s13
	v_add_co_u32_e32 v40, vcc, s12, v17
	v_addc_co_u32_e32 v41, vcc, v20, v18, vcc
	v_sub_co_u32_e32 v42, vcc, 0, v19
	v_mov_b32_e32 v36, 0
	v_mov_b32_e32 v18, v10
	;; [unrolled: 1-line block ×10, first 2 shown]
	s_mov_b64 s[18:19], 0
	v_subb_co_u32_e64 v43, s[2:3], 0, 0, vcc
	v_mov_b32_e32 v37, 0
	s_movk_i32 s17, 0x4000
	s_waitcnt lgkmcnt(0)
	v_mov_b32_e32 v44, s9
	v_mov_b32_e32 v17, v9
	;; [unrolled: 1-line block ×10, first 2 shown]
.LBB39_15:                              ; =>This Inner Loop Header: Depth=1
	global_load_dword v65, v[40:41], off
	global_load_dwordx4 v[45:48], v[19:20], off
	global_load_dwordx4 v[49:52], v[19:20], off offset:64
	global_load_dwordx4 v[53:56], v[19:20], off offset:128
	;; [unrolled: 1-line block ×4, first 2 shown]
	v_add_co_u32_e64 v42, s[6:7], 1, v42
	s_waitcnt vmcnt(5)
	v_subrev_u32_e32 v65, s16, v65
	v_lshlrev_b32_e32 v65, 2, v65
	v_ashrrev_i32_e32 v66, 31, v65
	v_lshlrev_b64 v[65:66], 4, v[65:66]
	v_add_co_u32_e32 v69, vcc, s8, v65
	v_addc_co_u32_e32 v70, vcc, v44, v66, vcc
	global_load_dwordx4 v[65:68], v[69:70], off
	s_waitcnt vmcnt(0)
	v_fma_f64 v[24:25], v[55:56], v[65:66], v[24:25]
	v_fma_f64 v[38:39], v[45:46], v[65:66], v[38:39]
	;; [unrolled: 1-line block ×9, first 2 shown]
	v_fma_f64 v[71:72], -v[47:48], v[67:68], v[38:39]
	v_fma_f64 v[73:74], v[45:46], v[67:68], v[36:37]
	global_load_dwordx4 v[36:39], v[19:20], off offset:80
	v_fma_f64 v[75:76], -v[51:52], v[67:68], v[34:35]
	v_fma_f64 v[77:78], v[49:50], v[67:68], v[32:33]
	global_load_dwordx4 v[32:35], v[19:20], off offset:144
	v_fma_f64 v[55:56], -v[55:56], v[67:68], v[30:31]
	global_load_dwordx4 v[45:48], v[19:20], off offset:208
	v_fma_f64 v[59:60], -v[59:60], v[67:68], v[24:25]
	v_fma_f64 v[57:58], v[57:58], v[67:68], v[26:27]
	global_load_dwordx4 v[24:27], v[19:20], off offset:32
	global_load_dwordx4 v[28:31], v[69:70], off offset:16
	s_waitcnt vmcnt(0)
	v_fma_f64 v[49:50], v[61:62], v[28:29], v[71:72]
	v_fma_f64 v[51:52], v[63:64], v[28:29], v[73:74]
	;; [unrolled: 1-line block ×8, first 2 shown]
	v_fma_f64 v[63:64], -v[63:64], v[30:31], v[49:50]
	v_fma_f64 v[61:62], v[61:62], v[30:31], v[51:52]
	global_load_dwordx4 v[49:52], v[19:20], off offset:96
	v_fma_f64 v[65:66], -v[38:39], v[30:31], v[65:66]
	v_fma_f64 v[67:68], v[36:37], v[30:31], v[67:68]
	global_load_dwordx4 v[36:39], v[19:20], off offset:160
	;; [unrolled: 3-line block ×4, first 2 shown]
	global_load_dwordx4 v[45:48], v[69:70], off offset:32
	s_waitcnt vmcnt(0)
	v_fma_f64 v[57:58], v[24:25], v[45:46], v[63:64]
	v_fma_f64 v[59:60], v[26:27], v[45:46], v[61:62]
	;; [unrolled: 1-line block ×4, first 2 shown]
	v_fma_f64 v[61:62], -v[26:27], v[47:48], v[57:58]
	v_fma_f64 v[63:64], v[24:25], v[47:48], v[59:60]
	v_fma_f64 v[57:58], v[49:50], v[45:46], v[65:66]
	v_fma_f64 v[59:60], v[51:52], v[45:46], v[67:68]
	global_load_dwordx4 v[24:27], v[19:20], off offset:112
	v_fma_f64 v[38:39], -v[38:39], v[47:48], v[55:56]
	v_fma_f64 v[36:37], v[36:37], v[47:48], v[53:54]
	v_fma_f64 v[65:66], -v[51:52], v[47:48], v[57:58]
	v_fma_f64 v[67:68], v[49:50], v[47:48], v[59:60]
	global_load_dwordx4 v[49:52], v[19:20], off offset:176
	global_load_dwordx4 v[53:56], v[19:20], off offset:240
	;; [unrolled: 1-line block ×3, first 2 shown]
	v_fma_f64 v[69:70], v[32:33], v[45:46], v[71:72]
	v_fma_f64 v[45:46], v[34:35], v[45:46], v[73:74]
	v_add_co_u32_e32 v19, vcc, s17, v19
	s_mov_b64 s[2:3], vcc
	v_add_co_u32_e32 v17, vcc, 64, v17
	v_addc_co_u32_e32 v18, vcc, 0, v18, vcc
	v_fma_f64 v[34:35], -v[34:35], v[47:48], v[69:70]
	v_fma_f64 v[32:33], v[32:33], v[47:48], v[45:46]
	v_addc_co_u32_e64 v43, vcc, 0, v43, s[6:7]
	v_cmp_eq_u64_e64 s[6:7], 0, v[42:43]
	v_add_co_u32_e32 v40, vcc, 0x100, v40
	v_addc_co_u32_e64 v20, s[2:3], 0, v20, s[2:3]
	s_or_b64 s[18:19], s[6:7], s[18:19]
	v_addc_co_u32_e32 v41, vcc, 0, v41, vcc
	s_waitcnt vmcnt(0)
	v_fma_f64 v[45:46], v[28:29], v[57:58], v[61:62]
	v_fma_f64 v[47:48], v[30:31], v[57:58], v[63:64]
	;; [unrolled: 1-line block ×8, first 2 shown]
	v_fma_f64 v[38:39], -v[30:31], v[59:60], v[45:46]
	v_fma_f64 v[36:37], v[28:29], v[59:60], v[47:48]
	v_fma_f64 v[34:35], -v[26:27], v[59:60], v[61:62]
	v_fma_f64 v[32:33], v[24:25], v[59:60], v[63:64]
	;; [unrolled: 2-line block ×4, first 2 shown]
	s_andn2_b64 exec, exec, s[18:19]
	s_cbranch_execnz .LBB39_15
; %bb.16:
	s_or_b64 exec, exec, s[18:19]
.LBB39_17:
	s_or_b64 exec, exec, s[14:15]
	s_mov_b64 s[2:3], 0xbf
	v_cmp_lt_u64_e32 vcc, s[2:3], v[22:23]
	s_and_saveexec_b64 s[6:7], vcc
	s_cbranch_execz .LBB39_21
; %bb.18:
	v_lshlrev_b64 v[22:23], 2, v[17:18]
	v_mov_b32_e32 v40, s13
	v_add_co_u32_e32 v22, vcc, s12, v22
	v_addc_co_u32_e32 v23, vcc, v40, v23, vcc
	v_add_co_u32_e32 v22, vcc, 0x200, v22
	v_addc_co_u32_e32 v23, vcc, 0, v23, vcc
	s_mov_b64 s[14:15], 0
	s_waitcnt lgkmcnt(0)
	v_mov_b32_e32 v42, s9
	s_movk_i32 s17, 0x4000
	s_mov_b32 s18, 0x8000
	s_mov_b32 s19, 0xc000
.LBB39_19:                              ; =>This Inner Loop Header: Depth=1
	global_load_dword v40, v[22:23], off offset:-512
	global_load_dwordx4 v[43:46], v[19:20], off offset:48
	global_load_dwordx4 v[47:50], v[19:20], off offset:32
	;; [unrolled: 1-line block ×3, first 2 shown]
	global_load_dwordx4 v[55:58], v[19:20], off
	s_waitcnt vmcnt(4)
	v_subrev_u32_e32 v40, s16, v40
	v_lshlrev_b32_e32 v40, 2, v40
	v_ashrrev_i32_e32 v41, 31, v40
	v_lshlrev_b64 v[40:41], 4, v[40:41]
	v_add_co_u32_e32 v40, vcc, s8, v40
	v_addc_co_u32_e32 v41, vcc, v42, v41, vcc
	global_load_dwordx4 v[59:62], v[40:41], off offset:48
	global_load_dwordx4 v[63:66], v[40:41], off offset:32
	;; [unrolled: 1-line block ×3, first 2 shown]
	global_load_dwordx4 v[71:74], v[40:41], off
	s_waitcnt vmcnt(0)
	v_fma_f64 v[38:39], v[55:56], v[71:72], v[38:39]
	v_fma_f64 v[36:37], v[57:58], v[71:72], v[36:37]
	v_fma_f64 v[38:39], -v[57:58], v[73:74], v[38:39]
	v_fma_f64 v[36:37], v[55:56], v[73:74], v[36:37]
	v_fma_f64 v[38:39], v[51:52], v[67:68], v[38:39]
	v_fma_f64 v[36:37], v[53:54], v[67:68], v[36:37]
	v_fma_f64 v[38:39], -v[53:54], v[69:70], v[38:39]
	v_fma_f64 v[36:37], v[51:52], v[69:70], v[36:37]
	v_fma_f64 v[38:39], v[47:48], v[63:64], v[38:39]
	v_fma_f64 v[36:37], v[49:50], v[63:64], v[36:37]
	v_fma_f64 v[38:39], -v[49:50], v[65:66], v[38:39]
	v_fma_f64 v[36:37], v[47:48], v[65:66], v[36:37]
	v_fma_f64 v[38:39], v[43:44], v[59:60], v[38:39]
	v_fma_f64 v[36:37], v[45:46], v[59:60], v[36:37]
	v_fma_f64 v[75:76], -v[45:46], v[61:62], v[38:39]
	v_fma_f64 v[77:78], v[43:44], v[61:62], v[36:37]
	global_load_dwordx4 v[36:39], v[19:20], off offset:112
	global_load_dwordx4 v[43:46], v[19:20], off offset:96
	global_load_dwordx4 v[47:50], v[19:20], off offset:80
	global_load_dwordx4 v[51:54], v[19:20], off offset:64
	s_waitcnt vmcnt(0)
	v_fma_f64 v[34:35], v[51:52], v[71:72], v[34:35]
	v_fma_f64 v[32:33], v[53:54], v[71:72], v[32:33]
	v_fma_f64 v[34:35], -v[53:54], v[73:74], v[34:35]
	v_fma_f64 v[32:33], v[51:52], v[73:74], v[32:33]
	v_fma_f64 v[34:35], v[47:48], v[67:68], v[34:35]
	v_fma_f64 v[32:33], v[49:50], v[67:68], v[32:33]
	v_fma_f64 v[34:35], -v[49:50], v[69:70], v[34:35]
	v_fma_f64 v[32:33], v[47:48], v[69:70], v[32:33]
	v_fma_f64 v[34:35], v[43:44], v[63:64], v[34:35]
	v_fma_f64 v[32:33], v[45:46], v[63:64], v[32:33]
	v_fma_f64 v[34:35], -v[45:46], v[65:66], v[34:35]
	v_fma_f64 v[32:33], v[43:44], v[65:66], v[32:33]
	v_fma_f64 v[34:35], v[36:37], v[59:60], v[34:35]
	v_fma_f64 v[32:33], v[38:39], v[59:60], v[32:33]
	v_fma_f64 v[79:80], -v[38:39], v[61:62], v[34:35]
	v_fma_f64 v[81:82], v[36:37], v[61:62], v[32:33]
	global_load_dwordx4 v[32:35], v[19:20], off offset:176
	global_load_dwordx4 v[36:39], v[19:20], off offset:160
	global_load_dwordx4 v[43:46], v[19:20], off offset:144
	global_load_dwordx4 v[47:50], v[19:20], off offset:128
	;; [unrolled: 21-line block ×3, first 2 shown]
	s_waitcnt vmcnt(0)
	v_fma_f64 v[24:25], v[43:44], v[71:72], v[28:29]
	v_fma_f64 v[26:27], v[45:46], v[71:72], v[26:27]
	v_fma_f64 v[24:25], -v[45:46], v[73:74], v[24:25]
	v_fma_f64 v[26:27], v[43:44], v[73:74], v[26:27]
	v_fma_f64 v[24:25], v[38:39], v[67:68], v[24:25]
	v_fma_f64 v[26:27], v[40:41], v[67:68], v[26:27]
	v_fma_f64 v[24:25], -v[40:41], v[69:70], v[24:25]
	v_fma_f64 v[26:27], v[38:39], v[69:70], v[26:27]
	v_fma_f64 v[24:25], v[34:35], v[63:64], v[24:25]
	v_fma_f64 v[26:27], v[36:37], v[63:64], v[26:27]
	v_fma_f64 v[24:25], -v[36:37], v[65:66], v[24:25]
	v_fma_f64 v[26:27], v[34:35], v[65:66], v[26:27]
	v_fma_f64 v[24:25], v[30:31], v[59:60], v[24:25]
	v_fma_f64 v[40:41], -v[32:33], v[61:62], v[24:25]
	v_fma_f64 v[24:25], v[32:33], v[59:60], v[26:27]
	v_fma_f64 v[59:60], v[30:31], v[61:62], v[24:25]
	global_load_dword v24, v[22:23], off offset:-256
	v_add_co_u32_e32 v61, vcc, s17, v19
	v_addc_co_u32_e32 v62, vcc, 0, v20, vcc
	s_waitcnt vmcnt(0)
	v_subrev_u32_e32 v24, s16, v24
	v_lshlrev_b32_e32 v43, 2, v24
	v_ashrrev_i32_e32 v44, 31, v43
	v_lshlrev_b64 v[43:44], 4, v[43:44]
	global_load_dwordx4 v[24:27], v[61:62], off
	global_load_dwordx4 v[28:31], v[61:62], off offset:48
	global_load_dwordx4 v[32:35], v[61:62], off offset:32
	;; [unrolled: 1-line block ×3, first 2 shown]
	v_add_co_u32_e32 v63, vcc, s8, v43
	v_addc_co_u32_e32 v64, vcc, v42, v44, vcc
	global_load_dwordx4 v[43:46], v[63:64], off offset:48
	global_load_dwordx4 v[47:50], v[63:64], off offset:32
	;; [unrolled: 1-line block ×3, first 2 shown]
	global_load_dwordx4 v[55:58], v[63:64], off
	s_waitcnt vmcnt(0)
	v_fma_f64 v[63:64], v[24:25], v[55:56], v[75:76]
	v_fma_f64 v[63:64], -v[26:27], v[57:58], v[63:64]
	v_fma_f64 v[26:27], v[26:27], v[55:56], v[77:78]
	v_add_co_u32_e32 v77, vcc, s18, v19
	v_addc_co_u32_e32 v78, vcc, 0, v20, vcc
	v_fma_f64 v[24:25], v[24:25], v[57:58], v[26:27]
	v_fma_f64 v[26:27], v[36:37], v[51:52], v[63:64]
	v_fma_f64 v[24:25], v[38:39], v[51:52], v[24:25]
	v_fma_f64 v[26:27], -v[38:39], v[53:54], v[26:27]
	v_fma_f64 v[24:25], v[36:37], v[53:54], v[24:25]
	v_fma_f64 v[26:27], v[32:33], v[47:48], v[26:27]
	v_fma_f64 v[24:25], v[34:35], v[47:48], v[24:25]
	v_fma_f64 v[26:27], -v[34:35], v[49:50], v[26:27]
	;; [unrolled: 4-line block ×3, first 2 shown]
	v_fma_f64 v[65:66], v[28:29], v[45:46], v[24:25]
	global_load_dwordx4 v[24:27], v[61:62], off offset:112
	global_load_dwordx4 v[28:31], v[61:62], off offset:96
	global_load_dwordx4 v[32:35], v[61:62], off offset:80
	global_load_dwordx4 v[36:39], v[61:62], off offset:64
	s_waitcnt vmcnt(0)
	v_fma_f64 v[67:68], v[36:37], v[55:56], v[79:80]
	v_fma_f64 v[67:68], -v[38:39], v[57:58], v[67:68]
	v_fma_f64 v[38:39], v[38:39], v[55:56], v[81:82]
	v_fma_f64 v[36:37], v[36:37], v[57:58], v[38:39]
	v_fma_f64 v[38:39], v[32:33], v[51:52], v[67:68]
	v_fma_f64 v[38:39], -v[34:35], v[53:54], v[38:39]
	v_fma_f64 v[34:35], v[34:35], v[51:52], v[36:37]
	v_fma_f64 v[32:33], v[32:33], v[53:54], v[34:35]
	v_fma_f64 v[34:35], v[28:29], v[47:48], v[38:39]
	v_fma_f64 v[34:35], -v[30:31], v[49:50], v[34:35]
	v_fma_f64 v[30:31], v[30:31], v[47:48], v[32:33]
	v_fma_f64 v[28:29], v[28:29], v[49:50], v[30:31]
	v_fma_f64 v[30:31], v[24:25], v[43:44], v[34:35]
	v_fma_f64 v[67:68], -v[26:27], v[45:46], v[30:31]
	v_fma_f64 v[26:27], v[26:27], v[43:44], v[28:29]
	v_fma_f64 v[69:70], v[24:25], v[45:46], v[26:27]
	global_load_dwordx4 v[24:27], v[61:62], off offset:176
	global_load_dwordx4 v[28:31], v[61:62], off offset:160
	global_load_dwordx4 v[32:35], v[61:62], off offset:144
	global_load_dwordx4 v[36:39], v[61:62], off offset:128
	s_waitcnt vmcnt(0)
	v_fma_f64 v[71:72], v[36:37], v[55:56], v[83:84]
	v_fma_f64 v[71:72], -v[38:39], v[57:58], v[71:72]
	v_fma_f64 v[38:39], v[38:39], v[55:56], v[85:86]
	v_fma_f64 v[36:37], v[36:37], v[57:58], v[38:39]
	v_fma_f64 v[38:39], v[32:33], v[51:52], v[71:72]
	v_fma_f64 v[38:39], -v[34:35], v[53:54], v[38:39]
	v_fma_f64 v[34:35], v[34:35], v[51:52], v[36:37]
	v_fma_f64 v[32:33], v[32:33], v[53:54], v[34:35]
	v_fma_f64 v[34:35], v[28:29], v[47:48], v[38:39]
	v_fma_f64 v[34:35], -v[30:31], v[49:50], v[34:35]
	v_fma_f64 v[30:31], v[30:31], v[47:48], v[32:33]
	v_fma_f64 v[28:29], v[28:29], v[49:50], v[30:31]
	v_fma_f64 v[30:31], v[24:25], v[43:44], v[34:35]
	v_fma_f64 v[71:72], -v[26:27], v[45:46], v[30:31]
	v_fma_f64 v[26:27], v[26:27], v[43:44], v[28:29]
	v_fma_f64 v[73:74], v[24:25], v[45:46], v[26:27]
	global_load_dwordx4 v[24:27], v[61:62], off offset:240
	global_load_dwordx4 v[28:31], v[61:62], off offset:224
	global_load_dwordx4 v[32:35], v[61:62], off offset:208
	global_load_dwordx4 v[36:39], v[61:62], off offset:192
	s_waitcnt vmcnt(0)
	v_fma_f64 v[40:41], v[36:37], v[55:56], v[40:41]
	v_fma_f64 v[40:41], -v[38:39], v[57:58], v[40:41]
	v_fma_f64 v[38:39], v[38:39], v[55:56], v[59:60]
	v_fma_f64 v[36:37], v[36:37], v[57:58], v[38:39]
	v_fma_f64 v[38:39], v[32:33], v[51:52], v[40:41]
	v_fma_f64 v[38:39], -v[34:35], v[53:54], v[38:39]
	v_fma_f64 v[34:35], v[34:35], v[51:52], v[36:37]
	v_fma_f64 v[32:33], v[32:33], v[53:54], v[34:35]
	v_fma_f64 v[34:35], v[28:29], v[47:48], v[38:39]
	v_fma_f64 v[34:35], -v[30:31], v[49:50], v[34:35]
	v_fma_f64 v[30:31], v[30:31], v[47:48], v[32:33]
	v_fma_f64 v[28:29], v[28:29], v[49:50], v[30:31]
	v_fma_f64 v[30:31], v[24:25], v[43:44], v[34:35]
	v_fma_f64 v[40:41], -v[26:27], v[45:46], v[30:31]
	v_fma_f64 v[26:27], v[26:27], v[43:44], v[28:29]
	v_fma_f64 v[75:76], v[24:25], v[45:46], v[26:27]
	global_load_dword v24, v[22:23], off
	s_waitcnt vmcnt(0)
	v_subrev_u32_e32 v24, s16, v24
	v_lshlrev_b32_e32 v43, 2, v24
	v_ashrrev_i32_e32 v44, 31, v43
	v_lshlrev_b64 v[43:44], 4, v[43:44]
	global_load_dwordx4 v[24:27], v[77:78], off
	global_load_dwordx4 v[28:31], v[77:78], off offset:48
	global_load_dwordx4 v[32:35], v[77:78], off offset:32
	;; [unrolled: 1-line block ×3, first 2 shown]
	v_add_co_u32_e32 v59, vcc, s8, v43
	v_addc_co_u32_e32 v60, vcc, v42, v44, vcc
	global_load_dwordx4 v[43:46], v[59:60], off offset:48
	global_load_dwordx4 v[47:50], v[59:60], off offset:32
	;; [unrolled: 1-line block ×3, first 2 shown]
	global_load_dwordx4 v[55:58], v[59:60], off
	s_waitcnt vmcnt(0)
	v_fma_f64 v[59:60], v[24:25], v[55:56], v[63:64]
	v_fma_f64 v[59:60], -v[26:27], v[57:58], v[59:60]
	v_fma_f64 v[26:27], v[26:27], v[55:56], v[65:66]
	v_fma_f64 v[24:25], v[24:25], v[57:58], v[26:27]
	;; [unrolled: 1-line block ×4, first 2 shown]
	v_fma_f64 v[26:27], -v[38:39], v[53:54], v[26:27]
	v_fma_f64 v[24:25], v[36:37], v[53:54], v[24:25]
	v_fma_f64 v[26:27], v[32:33], v[47:48], v[26:27]
	;; [unrolled: 1-line block ×3, first 2 shown]
	v_fma_f64 v[26:27], -v[34:35], v[49:50], v[26:27]
	v_fma_f64 v[24:25], v[32:33], v[49:50], v[24:25]
	v_fma_f64 v[26:27], v[28:29], v[43:44], v[26:27]
	;; [unrolled: 1-line block ×3, first 2 shown]
	v_fma_f64 v[36:37], -v[30:31], v[45:46], v[26:27]
	v_fma_f64 v[38:39], v[28:29], v[45:46], v[24:25]
	global_load_dwordx4 v[24:27], v[77:78], off offset:112
	global_load_dwordx4 v[28:31], v[77:78], off offset:96
	global_load_dwordx4 v[32:35], v[77:78], off offset:80
	global_load_dwordx4 v[59:62], v[77:78], off offset:64
	s_waitcnt vmcnt(0)
	v_fma_f64 v[63:64], v[59:60], v[55:56], v[67:68]
	v_fma_f64 v[63:64], -v[61:62], v[57:58], v[63:64]
	v_fma_f64 v[61:62], v[61:62], v[55:56], v[69:70]
	v_fma_f64 v[59:60], v[59:60], v[57:58], v[61:62]
	v_fma_f64 v[61:62], v[32:33], v[51:52], v[63:64]
	v_fma_f64 v[61:62], -v[34:35], v[53:54], v[61:62]
	v_fma_f64 v[34:35], v[34:35], v[51:52], v[59:60]
	v_fma_f64 v[32:33], v[32:33], v[53:54], v[34:35]
	v_fma_f64 v[34:35], v[28:29], v[47:48], v[61:62]
	v_fma_f64 v[34:35], -v[30:31], v[49:50], v[34:35]
	v_fma_f64 v[30:31], v[30:31], v[47:48], v[32:33]
	v_fma_f64 v[28:29], v[28:29], v[49:50], v[30:31]
	v_fma_f64 v[30:31], v[24:25], v[43:44], v[34:35]
	v_fma_f64 v[32:33], -v[26:27], v[45:46], v[30:31]
	v_fma_f64 v[26:27], v[26:27], v[43:44], v[28:29]
	v_fma_f64 v[34:35], v[24:25], v[45:46], v[26:27]
	global_load_dwordx4 v[26:29], v[77:78], off offset:176
	global_load_dwordx4 v[59:62], v[77:78], off offset:160
	;; [unrolled: 1-line block ×4, first 2 shown]
	s_waitcnt vmcnt(0)
	v_fma_f64 v[24:25], v[67:68], v[55:56], v[71:72]
	v_fma_f64 v[30:31], v[69:70], v[55:56], v[73:74]
	v_fma_f64 v[24:25], -v[69:70], v[57:58], v[24:25]
	v_fma_f64 v[30:31], v[67:68], v[57:58], v[30:31]
	v_fma_f64 v[24:25], v[63:64], v[51:52], v[24:25]
	v_fma_f64 v[30:31], v[65:66], v[51:52], v[30:31]
	v_fma_f64 v[24:25], -v[65:66], v[53:54], v[24:25]
	v_fma_f64 v[30:31], v[63:64], v[53:54], v[30:31]
	;; [unrolled: 4-line block ×3, first 2 shown]
	v_fma_f64 v[24:25], v[26:27], v[43:44], v[24:25]
	v_fma_f64 v[24:25], -v[28:29], v[45:46], v[24:25]
	v_fma_f64 v[28:29], v[28:29], v[43:44], v[30:31]
	v_fma_f64 v[30:31], v[26:27], v[45:46], v[28:29]
	global_load_dwordx4 v[59:62], v[77:78], off offset:240
	global_load_dwordx4 v[26:29], v[77:78], off offset:224
	;; [unrolled: 1-line block ×4, first 2 shown]
	s_waitcnt vmcnt(0)
	v_fma_f64 v[40:41], v[67:68], v[55:56], v[40:41]
	v_fma_f64 v[55:56], v[69:70], v[55:56], v[75:76]
	v_fma_f64 v[40:41], -v[69:70], v[57:58], v[40:41]
	v_fma_f64 v[55:56], v[67:68], v[57:58], v[55:56]
	v_fma_f64 v[40:41], v[63:64], v[51:52], v[40:41]
	;; [unrolled: 1-line block ×3, first 2 shown]
	v_fma_f64 v[40:41], -v[65:66], v[53:54], v[40:41]
	v_fma_f64 v[51:52], v[63:64], v[53:54], v[51:52]
	v_fma_f64 v[40:41], v[26:27], v[47:48], v[40:41]
	v_fma_f64 v[40:41], -v[28:29], v[49:50], v[40:41]
	v_fma_f64 v[28:29], v[28:29], v[47:48], v[51:52]
	v_fma_f64 v[26:27], v[26:27], v[49:50], v[28:29]
	;; [unrolled: 1-line block ×3, first 2 shown]
	global_load_dword v40, v[22:23], off offset:256
	v_fma_f64 v[26:27], v[61:62], v[43:44], v[26:27]
	v_fma_f64 v[28:29], -v[61:62], v[45:46], v[28:29]
	v_fma_f64 v[26:27], v[59:60], v[45:46], v[26:27]
	s_waitcnt vmcnt(0)
	v_subrev_u32_e32 v40, s16, v40
	v_lshlrev_b32_e32 v59, 2, v40
	v_ashrrev_i32_e32 v60, 31, v59
	v_add_co_u32_e32 v40, vcc, s19, v19
	v_lshlrev_b64 v[59:60], 4, v[59:60]
	v_addc_co_u32_e32 v41, vcc, 0, v20, vcc
	v_add_co_u32_e32 v75, vcc, s8, v59
	v_addc_co_u32_e32 v76, vcc, v42, v60, vcc
	global_load_dwordx4 v[43:46], v[40:41], off
	global_load_dwordx4 v[47:50], v[40:41], off offset:48
	global_load_dwordx4 v[51:54], v[40:41], off offset:32
	;; [unrolled: 1-line block ×6, first 2 shown]
	global_load_dwordx4 v[71:74], v[75:76], off
	v_add_co_u32_e32 v17, vcc, 0x100, v17
	v_addc_co_u32_e32 v18, vcc, 0, v18, vcc
	v_add_co_u32_e32 v22, vcc, 0x400, v22
	v_addc_co_u32_e32 v23, vcc, 0, v23, vcc
	v_cmp_ge_i64_e64 s[2:3], v[17:18], v[11:12]
	v_add_co_u32_e32 v19, vcc, 0x10000, v19
	v_addc_co_u32_e32 v20, vcc, 0, v20, vcc
	s_or_b64 s[14:15], s[2:3], s[14:15]
	s_waitcnt vmcnt(0)
	v_fma_f64 v[36:37], v[43:44], v[71:72], v[36:37]
	v_fma_f64 v[38:39], v[45:46], v[71:72], v[38:39]
	v_fma_f64 v[36:37], -v[45:46], v[73:74], v[36:37]
	v_fma_f64 v[38:39], v[43:44], v[73:74], v[38:39]
	v_fma_f64 v[36:37], v[55:56], v[67:68], v[36:37]
	v_fma_f64 v[38:39], v[57:58], v[67:68], v[38:39]
	v_fma_f64 v[36:37], -v[57:58], v[69:70], v[36:37]
	v_fma_f64 v[38:39], v[55:56], v[69:70], v[38:39]
	v_fma_f64 v[36:37], v[51:52], v[63:64], v[36:37]
	v_fma_f64 v[38:39], v[53:54], v[63:64], v[38:39]
	v_fma_f64 v[36:37], -v[53:54], v[65:66], v[36:37]
	v_fma_f64 v[43:44], v[51:52], v[65:66], v[38:39]
	v_fma_f64 v[36:37], v[47:48], v[59:60], v[36:37]
	v_fma_f64 v[38:39], -v[49:50], v[61:62], v[36:37]
	v_fma_f64 v[36:37], v[49:50], v[59:60], v[43:44]
	v_fma_f64 v[36:37], v[47:48], v[61:62], v[36:37]
	global_load_dwordx4 v[43:46], v[40:41], off offset:112
	global_load_dwordx4 v[47:50], v[40:41], off offset:96
	global_load_dwordx4 v[51:54], v[40:41], off offset:80
	global_load_dwordx4 v[55:58], v[40:41], off offset:64
	s_waitcnt vmcnt(0)
	v_fma_f64 v[32:33], v[55:56], v[71:72], v[32:33]
	v_fma_f64 v[34:35], v[57:58], v[71:72], v[34:35]
	v_fma_f64 v[32:33], -v[57:58], v[73:74], v[32:33]
	v_fma_f64 v[34:35], v[55:56], v[73:74], v[34:35]
	v_fma_f64 v[32:33], v[51:52], v[67:68], v[32:33]
	v_fma_f64 v[34:35], v[53:54], v[67:68], v[34:35]
	v_fma_f64 v[32:33], -v[53:54], v[69:70], v[32:33]
	v_fma_f64 v[34:35], v[51:52], v[69:70], v[34:35]
	v_fma_f64 v[32:33], v[47:48], v[63:64], v[32:33]
	v_fma_f64 v[34:35], v[49:50], v[63:64], v[34:35]
	v_fma_f64 v[32:33], -v[49:50], v[65:66], v[32:33]
	v_fma_f64 v[47:48], v[47:48], v[65:66], v[34:35]
	v_fma_f64 v[32:33], v[43:44], v[59:60], v[32:33]
	v_fma_f64 v[34:35], -v[45:46], v[61:62], v[32:33]
	v_fma_f64 v[32:33], v[45:46], v[59:60], v[47:48]
	v_fma_f64 v[32:33], v[43:44], v[61:62], v[32:33]
	global_load_dwordx4 v[43:46], v[40:41], off offset:176
	global_load_dwordx4 v[47:50], v[40:41], off offset:160
	global_load_dwordx4 v[51:54], v[40:41], off offset:144
	global_load_dwordx4 v[55:58], v[40:41], off offset:128
	s_waitcnt vmcnt(0)
	v_fma_f64 v[24:25], v[55:56], v[71:72], v[24:25]
	v_fma_f64 v[30:31], v[57:58], v[71:72], v[30:31]
	v_fma_f64 v[24:25], -v[57:58], v[73:74], v[24:25]
	v_fma_f64 v[30:31], v[55:56], v[73:74], v[30:31]
	v_fma_f64 v[24:25], v[51:52], v[67:68], v[24:25]
	v_fma_f64 v[30:31], v[53:54], v[67:68], v[30:31]
	v_fma_f64 v[24:25], -v[53:54], v[69:70], v[24:25]
	v_fma_f64 v[30:31], v[51:52], v[69:70], v[30:31]
	v_fma_f64 v[24:25], v[47:48], v[63:64], v[24:25]
	v_fma_f64 v[30:31], v[49:50], v[63:64], v[30:31]
	v_fma_f64 v[24:25], -v[49:50], v[65:66], v[24:25]
	v_fma_f64 v[47:48], v[47:48], v[65:66], v[30:31]
	v_fma_f64 v[24:25], v[43:44], v[59:60], v[24:25]
	v_fma_f64 v[30:31], -v[45:46], v[61:62], v[24:25]
	v_fma_f64 v[24:25], v[45:46], v[59:60], v[47:48]
	v_fma_f64 v[24:25], v[43:44], v[61:62], v[24:25]
	global_load_dwordx4 v[43:46], v[40:41], off offset:240
	global_load_dwordx4 v[47:50], v[40:41], off offset:224
	global_load_dwordx4 v[51:54], v[40:41], off offset:208
	global_load_dwordx4 v[55:58], v[40:41], off offset:192
	s_waitcnt vmcnt(0)
	v_fma_f64 v[28:29], v[55:56], v[71:72], v[28:29]
	v_fma_f64 v[26:27], v[57:58], v[71:72], v[26:27]
	v_fma_f64 v[28:29], -v[57:58], v[73:74], v[28:29]
	v_fma_f64 v[26:27], v[55:56], v[73:74], v[26:27]
	v_fma_f64 v[28:29], v[51:52], v[67:68], v[28:29]
	v_fma_f64 v[26:27], v[53:54], v[67:68], v[26:27]
	v_fma_f64 v[28:29], -v[53:54], v[69:70], v[28:29]
	v_fma_f64 v[26:27], v[51:52], v[69:70], v[26:27]
	v_fma_f64 v[28:29], v[47:48], v[63:64], v[28:29]
	v_fma_f64 v[26:27], v[49:50], v[63:64], v[26:27]
	v_fma_f64 v[28:29], -v[49:50], v[65:66], v[28:29]
	v_fma_f64 v[26:27], v[47:48], v[65:66], v[26:27]
	v_fma_f64 v[28:29], v[43:44], v[59:60], v[28:29]
	v_fma_f64 v[26:27], v[45:46], v[59:60], v[26:27]
	v_fma_f64 v[28:29], -v[45:46], v[61:62], v[28:29]
	v_fma_f64 v[26:27], v[43:44], v[61:62], v[26:27]
	s_andn2_b64 exec, exec, s[14:15]
	s_cbranch_execnz .LBB39_19
; %bb.20:
	s_or_b64 exec, exec, s[14:15]
.LBB39_21:
	s_or_b64 exec, exec, s[6:7]
.LBB39_22:
	s_or_b64 exec, exec, s[10:11]
	s_cbranch_execz .LBB39_24
	s_branch .LBB39_35
.LBB39_23:
                                        ; implicit-def: $vgpr36_vgpr37
                                        ; implicit-def: $vgpr38_vgpr39
                                        ; implicit-def: $vgpr28_vgpr29
                                        ; implicit-def: $vgpr26_vgpr27
                                        ; implicit-def: $vgpr30_vgpr31
                                        ; implicit-def: $vgpr24_vgpr25
                                        ; implicit-def: $vgpr34_vgpr35
                                        ; implicit-def: $vgpr32_vgpr33
.LBB39_24:
	v_mov_b32_e32 v36, 0
	v_mov_b32_e32 v38, 0
	;; [unrolled: 1-line block ×16, first 2 shown]
	s_and_saveexec_b64 s[2:3], s[0:1]
	s_cbranch_execz .LBB39_34
; %bb.25:
	v_or_b32_e32 v17, 64, v0
	v_subrev_co_u32_e32 v17, vcc, s16, v17
	v_subb_co_u32_e64 v18, s[0:1], 0, 0, vcc
	v_add_co_u32_e32 v17, vcc, v17, v15
	v_addc_co_u32_e32 v18, vcc, v18, v16, vcc
	v_cmp_gt_i64_e32 vcc, v[17:18], v[11:12]
	v_not_b32_e32 v15, v15
	v_cndmask_b32_e32 v18, v12, v18, vcc
	v_cndmask_b32_e32 v17, v11, v17, vcc
	v_sub_co_u32_e32 v19, vcc, s16, v0
	v_not_b32_e32 v16, v16
	v_subb_co_u32_e64 v20, s[0:1], 0, 0, vcc
	v_add_co_u32_e32 v15, vcc, v19, v15
	v_addc_co_u32_e32 v16, vcc, v20, v16, vcc
	v_add_co_u32_e32 v15, vcc, v15, v17
	v_addc_co_u32_e32 v16, vcc, v16, v18, vcc
	v_and_b32_e32 v17, 0xc0, v15
	v_mov_b32_e32 v18, 0
	s_mov_b64 s[0:1], 0xc0
	v_cmp_ne_u64_e32 vcc, s[0:1], v[17:18]
	v_mov_b32_e32 v32, 0
	v_mov_b32_e32 v34, 0
	v_mov_b32_e32 v24, 0
	v_mov_b32_e32 v30, 0
	v_mov_b32_e32 v26, 0
	v_mov_b32_e32 v28, 0
	v_mov_b32_e32 v38, 0
	v_mov_b32_e32 v36, 0
	v_mov_b32_e32 v33, 0
	v_mov_b32_e32 v35, 0
	v_mov_b32_e32 v25, 0
	v_mov_b32_e32 v31, 0
	v_mov_b32_e32 v27, 0
	v_mov_b32_e32 v29, 0
	v_mov_b32_e32 v39, 0
	v_mov_b32_e32 v37, 0
	s_and_saveexec_b64 s[0:1], vcc
	s_cbranch_execz .LBB39_29
; %bb.26:
	v_lshrrev_b32_e32 v17, 6, v15
	v_add_u32_e32 v17, 1, v17
	v_and_b32_e32 v19, 3, v17
	v_lshlrev_b64 v[17:18], 2, v[9:10]
	v_mov_b32_e32 v20, s13
	v_add_co_u32_e32 v17, vcc, s12, v17
	v_addc_co_u32_e32 v18, vcc, v20, v18, vcc
	v_sub_co_u32_e32 v19, vcc, 0, v19
	v_subb_co_u32_e64 v20, s[10:11], 0, 0, vcc
	v_mov_b32_e32 v36, 0
	v_mov_b32_e32 v38, 0
	;; [unrolled: 1-line block ×8, first 2 shown]
	s_mov_b64 s[6:7], 0
	v_mov_b32_e32 v37, 0
	s_movk_i32 s10, 0x4000
	v_mov_b32_e32 v39, 0
	v_mov_b32_e32 v29, 0
	;; [unrolled: 1-line block ×7, first 2 shown]
	s_waitcnt lgkmcnt(0)
	v_mov_b32_e32 v22, s9
.LBB39_27:                              ; =>This Inner Loop Header: Depth=1
	global_load_dword v23, v[17:18], off
	global_load_dwordx4 v[40:43], v[13:14], off offset:48
	global_load_dwordx4 v[44:47], v[13:14], off offset:32
	;; [unrolled: 1-line block ×3, first 2 shown]
	global_load_dwordx4 v[52:55], v[13:14], off
	s_waitcnt vmcnt(4)
	v_subrev_u32_e32 v23, s16, v23
	v_lshlrev_b32_e32 v56, 2, v23
	v_ashrrev_i32_e32 v57, 31, v56
	v_lshlrev_b64 v[56:57], 4, v[56:57]
	v_add_co_u32_e32 v72, vcc, s8, v56
	v_addc_co_u32_e32 v73, vcc, v22, v57, vcc
	global_load_dwordx4 v[56:59], v[72:73], off offset:48
	global_load_dwordx4 v[60:63], v[72:73], off offset:32
	;; [unrolled: 1-line block ×3, first 2 shown]
	global_load_dwordx4 v[68:71], v[72:73], off
	s_waitcnt vmcnt(0)
	v_fma_f64 v[23:24], v[46:47], v[68:69], v[24:25]
	v_fma_f64 v[38:39], v[52:53], v[68:69], v[38:39]
	v_fma_f64 v[34:35], v[48:49], v[68:69], v[34:35]
	v_fma_f64 v[30:31], v[44:45], v[68:69], v[30:31]
	v_fma_f64 v[36:37], v[54:55], v[68:69], v[36:37]
	v_fma_f64 v[32:33], v[50:51], v[68:69], v[32:33]
	v_fma_f64 v[44:45], v[44:45], v[70:71], v[23:24]
	v_fma_f64 v[23:24], v[40:41], v[68:69], v[28:29]
	v_fma_f64 v[72:73], -v[54:55], v[70:71], v[38:39]
	v_fma_f64 v[54:55], -v[50:51], v[70:71], v[34:35]
	v_fma_f64 v[50:51], -v[46:47], v[70:71], v[30:31]
	v_fma_f64 v[52:53], v[52:53], v[70:71], v[36:37]
	v_fma_f64 v[48:49], v[48:49], v[70:71], v[32:33]
	v_fma_f64 v[46:47], -v[42:43], v[70:71], v[23:24]
	v_fma_f64 v[23:24], v[42:43], v[68:69], v[26:27]
	v_fma_f64 v[39:40], v[40:41], v[70:71], v[23:24]
	global_load_dwordx4 v[23:26], v[13:14], off offset:112
	global_load_dwordx4 v[27:30], v[13:14], off offset:96
	;; [unrolled: 1-line block ×4, first 2 shown]
	s_waitcnt vmcnt(0)
	v_fma_f64 v[41:42], v[35:36], v[64:65], v[72:73]
	v_fma_f64 v[41:42], -v[37:38], v[66:67], v[41:42]
	v_fma_f64 v[37:38], v[37:38], v[64:65], v[52:53]
	v_fma_f64 v[52:53], v[35:36], v[66:67], v[37:38]
	v_fma_f64 v[35:36], v[31:32], v[64:65], v[54:55]
	v_fma_f64 v[54:55], -v[33:34], v[66:67], v[35:36]
	v_fma_f64 v[33:34], v[33:34], v[64:65], v[48:49]
	v_fma_f64 v[48:49], v[31:32], v[66:67], v[33:34]
	;; [unrolled: 4-line block ×4, first 2 shown]
	global_load_dwordx4 v[23:26], v[13:14], off offset:176
	global_load_dwordx4 v[27:30], v[13:14], off offset:160
	;; [unrolled: 1-line block ×4, first 2 shown]
	s_waitcnt vmcnt(0)
	v_fma_f64 v[41:42], v[35:36], v[60:61], v[41:42]
	v_fma_f64 v[64:65], -v[37:38], v[62:63], v[41:42]
	v_fma_f64 v[37:38], v[37:38], v[60:61], v[52:53]
	v_fma_f64 v[35:36], v[35:36], v[62:63], v[37:38]
	v_fma_f64 v[37:38], v[31:32], v[60:61], v[54:55]
	v_fma_f64 v[52:53], -v[33:34], v[62:63], v[37:38]
	v_fma_f64 v[33:34], v[33:34], v[60:61], v[48:49]
	v_fma_f64 v[47:48], v[31:32], v[62:63], v[33:34]
	;; [unrolled: 4-line block ×4, first 2 shown]
	global_load_dwordx4 v[40:43], v[13:14], off offset:240
	global_load_dwordx4 v[23:26], v[13:14], off offset:224
	;; [unrolled: 1-line block ×4, first 2 shown]
	v_add_co_u32_e32 v13, vcc, s10, v13
	v_addc_co_u32_e32 v14, vcc, 0, v14, vcc
	v_add_co_u32_e32 v9, vcc, 64, v9
	v_addc_co_u32_e32 v10, vcc, 0, v10, vcc
	;; [unrolled: 2-line block ×4, first 2 shown]
	v_cmp_eq_u64_e32 vcc, 0, v[19:20]
	s_or_b64 s[6:7], vcc, s[6:7]
	s_waitcnt vmcnt(0)
	v_fma_f64 v[37:38], v[31:32], v[56:57], v[64:65]
	v_fma_f64 v[38:39], -v[33:34], v[58:59], v[37:38]
	v_fma_f64 v[33:34], v[33:34], v[56:57], v[35:36]
	v_fma_f64 v[36:37], v[31:32], v[58:59], v[33:34]
	v_fma_f64 v[31:32], v[27:28], v[56:57], v[52:53]
	v_fma_f64 v[34:35], -v[29:30], v[58:59], v[31:32]
	v_fma_f64 v[29:30], v[29:30], v[56:57], v[47:48]
	v_fma_f64 v[32:33], v[27:28], v[58:59], v[29:30]
	;; [unrolled: 4-line block ×4, first 2 shown]
	s_andn2_b64 exec, exec, s[6:7]
	s_cbranch_execnz .LBB39_27
; %bb.28:
	s_or_b64 exec, exec, s[6:7]
.LBB39_29:
	s_or_b64 exec, exec, s[0:1]
	s_mov_b64 s[0:1], 0xbf
	v_cmp_lt_u64_e32 vcc, s[0:1], v[15:16]
	s_and_saveexec_b64 s[6:7], vcc
	s_cbranch_execz .LBB39_33
; %bb.30:
	v_lshlrev_b64 v[15:16], 2, v[9:10]
	v_mov_b32_e32 v17, s13
	v_add_co_u32_e32 v15, vcc, s12, v15
	v_addc_co_u32_e32 v16, vcc, v17, v16, vcc
	v_add_co_u32_e32 v15, vcc, 0x200, v15
	v_addc_co_u32_e32 v16, vcc, 0, v16, vcc
	s_mov_b64 s[10:11], 0
	s_waitcnt lgkmcnt(0)
	v_mov_b32_e32 v40, s9
	s_movk_i32 s9, 0x4000
	s_mov_b32 s12, 0x8000
	s_mov_b32 s13, 0xc000
.LBB39_31:                              ; =>This Inner Loop Header: Depth=1
	global_load_dword v17, v[15:16], off offset:-512
	s_waitcnt vmcnt(0)
	v_subrev_u32_e32 v17, s16, v17
	v_lshlrev_b32_e32 v22, 2, v17
	v_ashrrev_i32_e32 v23, 31, v22
	v_lshlrev_b64 v[22:23], 4, v[22:23]
	global_load_dwordx4 v[17:20], v[13:14], off offset:48
	global_load_dwordx4 v[41:44], v[13:14], off offset:32
	;; [unrolled: 1-line block ×3, first 2 shown]
	global_load_dwordx4 v[49:52], v[13:14], off
	v_add_co_u32_e32 v22, vcc, s8, v22
	v_addc_co_u32_e32 v23, vcc, v40, v23, vcc
	global_load_dwordx4 v[53:56], v[22:23], off offset:48
	global_load_dwordx4 v[57:60], v[22:23], off offset:32
	;; [unrolled: 1-line block ×3, first 2 shown]
	global_load_dwordx4 v[65:68], v[22:23], off
	s_waitcnt vmcnt(0)
	v_fma_f64 v[22:23], v[49:50], v[65:66], v[38:39]
	v_fma_f64 v[38:39], -v[51:52], v[67:68], v[22:23]
	v_fma_f64 v[22:23], v[51:52], v[65:66], v[36:37]
	v_fma_f64 v[36:37], v[49:50], v[67:68], v[22:23]
	v_fma_f64 v[22:23], v[45:46], v[65:66], v[34:35]
	v_fma_f64 v[34:35], -v[47:48], v[67:68], v[22:23]
	v_fma_f64 v[22:23], v[47:48], v[65:66], v[32:33]
	v_fma_f64 v[45:46], v[45:46], v[67:68], v[22:23]
	v_fma_f64 v[22:23], v[41:42], v[65:66], v[30:31]
	v_fma_f64 v[47:48], -v[43:44], v[67:68], v[22:23]
	v_fma_f64 v[22:23], v[43:44], v[65:66], v[24:25]
	v_fma_f64 v[41:42], v[41:42], v[67:68], v[22:23]
	v_fma_f64 v[22:23], v[17:18], v[65:66], v[28:29]
	v_fma_f64 v[43:44], -v[19:20], v[67:68], v[22:23]
	v_fma_f64 v[19:20], v[19:20], v[65:66], v[26:27]
	v_fma_f64 v[49:50], v[17:18], v[67:68], v[19:20]
	global_load_dwordx4 v[17:20], v[13:14], off offset:112
	global_load_dwordx4 v[22:25], v[13:14], off offset:96
	global_load_dwordx4 v[26:29], v[13:14], off offset:80
	global_load_dwordx4 v[30:33], v[13:14], off offset:64
	s_waitcnt vmcnt(0)
	v_fma_f64 v[38:39], v[30:31], v[61:62], v[38:39]
	v_fma_f64 v[38:39], -v[32:33], v[63:64], v[38:39]
	v_fma_f64 v[32:33], v[32:33], v[61:62], v[36:37]
	v_fma_f64 v[36:37], v[30:31], v[63:64], v[32:33]
	v_fma_f64 v[30:31], v[26:27], v[61:62], v[34:35]
	v_fma_f64 v[34:35], -v[28:29], v[63:64], v[30:31]
	v_fma_f64 v[28:29], v[28:29], v[61:62], v[45:46]
	v_fma_f64 v[45:46], v[26:27], v[63:64], v[28:29]
	v_fma_f64 v[26:27], v[22:23], v[61:62], v[47:48]
	v_fma_f64 v[47:48], -v[24:25], v[63:64], v[26:27]
	v_fma_f64 v[24:25], v[24:25], v[61:62], v[41:42]
	v_fma_f64 v[41:42], v[22:23], v[63:64], v[24:25]
	v_fma_f64 v[22:23], v[17:18], v[61:62], v[43:44]
	v_fma_f64 v[43:44], -v[19:20], v[63:64], v[22:23]
	v_fma_f64 v[19:20], v[19:20], v[61:62], v[49:50]
	v_fma_f64 v[49:50], v[17:18], v[63:64], v[19:20]
	global_load_dwordx4 v[17:20], v[13:14], off offset:176
	global_load_dwordx4 v[22:25], v[13:14], off offset:160
	global_load_dwordx4 v[26:29], v[13:14], off offset:144
	global_load_dwordx4 v[30:33], v[13:14], off offset:128
	;; [unrolled: 21-line block ×3, first 2 shown]
	s_waitcnt vmcnt(0)
	v_fma_f64 v[38:39], v[30:31], v[53:54], v[38:39]
	v_fma_f64 v[38:39], -v[32:33], v[55:56], v[38:39]
	v_fma_f64 v[32:33], v[32:33], v[53:54], v[36:37]
	v_fma_f64 v[57:58], v[30:31], v[55:56], v[32:33]
	v_fma_f64 v[30:31], v[26:27], v[53:54], v[34:35]
	v_fma_f64 v[59:60], -v[28:29], v[55:56], v[30:31]
	v_fma_f64 v[28:29], v[28:29], v[53:54], v[45:46]
	v_fma_f64 v[61:62], v[26:27], v[55:56], v[28:29]
	;; [unrolled: 4-line block ×4, first 2 shown]
	global_load_dword v17, v[15:16], off offset:-256
	v_add_co_u32_e32 v55, vcc, s9, v13
	v_addc_co_u32_e32 v56, vcc, 0, v14, vcc
	s_waitcnt vmcnt(0)
	v_subrev_u32_e32 v17, s16, v17
	v_lshlrev_b32_e32 v34, 2, v17
	v_ashrrev_i32_e32 v35, 31, v34
	v_lshlrev_b64 v[34:35], 4, v[34:35]
	global_load_dwordx4 v[17:20], v[55:56], off
	global_load_dwordx4 v[22:25], v[55:56], off offset:48
	global_load_dwordx4 v[26:29], v[55:56], off offset:32
	global_load_dwordx4 v[30:33], v[55:56], off offset:16
	v_add_co_u32_e32 v69, vcc, s8, v34
	v_addc_co_u32_e32 v70, vcc, v40, v35, vcc
	global_load_dwordx4 v[34:37], v[69:70], off offset:48
	global_load_dwordx4 v[41:44], v[69:70], off offset:32
	;; [unrolled: 1-line block ×3, first 2 shown]
	global_load_dwordx4 v[49:52], v[69:70], off
	s_waitcnt vmcnt(0)
	v_fma_f64 v[38:39], v[17:18], v[49:50], v[38:39]
	v_fma_f64 v[38:39], -v[19:20], v[51:52], v[38:39]
	v_fma_f64 v[19:20], v[19:20], v[49:50], v[57:58]
	v_fma_f64 v[57:58], v[17:18], v[51:52], v[19:20]
	v_fma_f64 v[17:18], v[30:31], v[49:50], v[59:60]
	v_fma_f64 v[59:60], -v[32:33], v[51:52], v[17:18]
	v_fma_f64 v[17:18], v[32:33], v[49:50], v[61:62]
	v_fma_f64 v[61:62], v[30:31], v[51:52], v[17:18]
	;; [unrolled: 4-line block ×4, first 2 shown]
	global_load_dwordx4 v[17:20], v[55:56], off offset:112
	global_load_dwordx4 v[22:25], v[55:56], off offset:96
	;; [unrolled: 1-line block ×4, first 2 shown]
	s_waitcnt vmcnt(0)
	v_fma_f64 v[38:39], v[30:31], v[45:46], v[38:39]
	v_fma_f64 v[38:39], -v[32:33], v[47:48], v[38:39]
	v_fma_f64 v[32:33], v[32:33], v[45:46], v[57:58]
	v_fma_f64 v[51:52], v[30:31], v[47:48], v[32:33]
	v_fma_f64 v[30:31], v[26:27], v[45:46], v[59:60]
	v_fma_f64 v[53:54], -v[28:29], v[47:48], v[30:31]
	v_fma_f64 v[28:29], v[28:29], v[45:46], v[61:62]
	v_fma_f64 v[57:58], v[26:27], v[47:48], v[28:29]
	;; [unrolled: 4-line block ×3, first 2 shown]
	v_fma_f64 v[22:23], v[17:18], v[45:46], v[67:68]
	v_add_co_u32_e32 v67, vcc, s12, v13
	v_addc_co_u32_e32 v68, vcc, 0, v14, vcc
	v_fma_f64 v[63:64], -v[19:20], v[47:48], v[22:23]
	v_fma_f64 v[19:20], v[19:20], v[45:46], v[49:50]
	v_fma_f64 v[45:46], v[17:18], v[47:48], v[19:20]
	global_load_dwordx4 v[17:20], v[55:56], off offset:176
	global_load_dwordx4 v[22:25], v[55:56], off offset:160
	global_load_dwordx4 v[26:29], v[55:56], off offset:144
	global_load_dwordx4 v[30:33], v[55:56], off offset:128
	s_waitcnt vmcnt(0)
	v_fma_f64 v[38:39], v[30:31], v[41:42], v[38:39]
	v_fma_f64 v[38:39], -v[32:33], v[43:44], v[38:39]
	v_fma_f64 v[32:33], v[32:33], v[41:42], v[51:52]
	v_fma_f64 v[47:48], v[30:31], v[43:44], v[32:33]
	v_fma_f64 v[30:31], v[26:27], v[41:42], v[53:54]
	v_fma_f64 v[49:50], -v[28:29], v[43:44], v[30:31]
	v_fma_f64 v[28:29], v[28:29], v[41:42], v[57:58]
	v_fma_f64 v[51:52], v[26:27], v[43:44], v[28:29]
	;; [unrolled: 4-line block ×4, first 2 shown]
	global_load_dwordx4 v[17:20], v[55:56], off offset:240
	global_load_dwordx4 v[22:25], v[55:56], off offset:224
	global_load_dwordx4 v[26:29], v[55:56], off offset:208
	global_load_dwordx4 v[30:33], v[55:56], off offset:192
	s_waitcnt vmcnt(0)
	v_fma_f64 v[38:39], v[30:31], v[34:35], v[38:39]
	v_fma_f64 v[38:39], -v[32:33], v[36:37], v[38:39]
	v_fma_f64 v[32:33], v[32:33], v[34:35], v[47:48]
	v_fma_f64 v[55:56], v[30:31], v[36:37], v[32:33]
	v_fma_f64 v[30:31], v[26:27], v[34:35], v[49:50]
	v_fma_f64 v[61:62], -v[28:29], v[36:37], v[30:31]
	v_fma_f64 v[28:29], v[28:29], v[34:35], v[51:52]
	v_fma_f64 v[63:64], v[26:27], v[36:37], v[28:29]
	;; [unrolled: 4-line block ×4, first 2 shown]
	global_load_dword v17, v[15:16], off
	s_waitcnt vmcnt(0)
	v_subrev_u32_e32 v17, s16, v17
	v_lshlrev_b32_e32 v34, 2, v17
	v_ashrrev_i32_e32 v35, 31, v34
	v_lshlrev_b64 v[34:35], 4, v[34:35]
	global_load_dwordx4 v[17:20], v[67:68], off
	global_load_dwordx4 v[22:25], v[67:68], off offset:48
	global_load_dwordx4 v[26:29], v[67:68], off offset:32
	;; [unrolled: 1-line block ×3, first 2 shown]
	v_add_co_u32_e32 v69, vcc, s8, v34
	v_addc_co_u32_e32 v70, vcc, v40, v35, vcc
	global_load_dwordx4 v[34:37], v[69:70], off offset:48
	global_load_dwordx4 v[41:44], v[69:70], off offset:32
	;; [unrolled: 1-line block ×3, first 2 shown]
	global_load_dwordx4 v[49:52], v[69:70], off
	s_waitcnt vmcnt(0)
	v_fma_f64 v[38:39], v[17:18], v[49:50], v[38:39]
	v_fma_f64 v[38:39], -v[19:20], v[51:52], v[38:39]
	v_fma_f64 v[19:20], v[19:20], v[49:50], v[55:56]
	v_fma_f64 v[55:56], v[17:18], v[51:52], v[19:20]
	v_fma_f64 v[17:18], v[30:31], v[49:50], v[61:62]
	v_fma_f64 v[61:62], -v[32:33], v[51:52], v[17:18]
	v_fma_f64 v[17:18], v[32:33], v[49:50], v[63:64]
	v_fma_f64 v[63:64], v[30:31], v[51:52], v[17:18]
	v_fma_f64 v[17:18], v[26:27], v[49:50], v[53:54]
	v_fma_f64 v[53:54], -v[28:29], v[51:52], v[17:18]
	v_fma_f64 v[17:18], v[28:29], v[49:50], v[57:58]
	v_fma_f64 v[57:58], v[26:27], v[51:52], v[17:18]
	v_fma_f64 v[17:18], v[22:23], v[49:50], v[59:60]
	v_fma_f64 v[59:60], -v[24:25], v[51:52], v[17:18]
	v_fma_f64 v[17:18], v[24:25], v[49:50], v[65:66]
	v_fma_f64 v[49:50], v[22:23], v[51:52], v[17:18]
	global_load_dwordx4 v[17:20], v[67:68], off offset:112
	global_load_dwordx4 v[22:25], v[67:68], off offset:96
	global_load_dwordx4 v[26:29], v[67:68], off offset:80
	global_load_dwordx4 v[30:33], v[67:68], off offset:64
	s_waitcnt vmcnt(0)
	v_fma_f64 v[38:39], v[30:31], v[45:46], v[38:39]
	v_fma_f64 v[38:39], -v[32:33], v[47:48], v[38:39]
	v_fma_f64 v[32:33], v[32:33], v[45:46], v[55:56]
	v_fma_f64 v[51:52], v[30:31], v[47:48], v[32:33]
	v_fma_f64 v[30:31], v[26:27], v[45:46], v[61:62]
	v_fma_f64 v[55:56], -v[28:29], v[47:48], v[30:31]
	v_fma_f64 v[28:29], v[28:29], v[45:46], v[63:64]
	v_fma_f64 v[61:62], v[26:27], v[47:48], v[28:29]
	v_fma_f64 v[26:27], v[22:23], v[45:46], v[53:54]
	v_fma_f64 v[53:54], -v[24:25], v[47:48], v[26:27]
	v_fma_f64 v[24:25], v[24:25], v[45:46], v[57:58]
	v_fma_f64 v[57:58], v[22:23], v[47:48], v[24:25]
	v_fma_f64 v[22:23], v[17:18], v[45:46], v[59:60]
	v_fma_f64 v[59:60], -v[19:20], v[47:48], v[22:23]
	v_fma_f64 v[19:20], v[19:20], v[45:46], v[49:50]
	v_fma_f64 v[45:46], v[17:18], v[47:48], v[19:20]
	global_load_dwordx4 v[17:20], v[67:68], off offset:176
	global_load_dwordx4 v[22:25], v[67:68], off offset:160
	global_load_dwordx4 v[26:29], v[67:68], off offset:144
	global_load_dwordx4 v[30:33], v[67:68], off offset:128
	;; [unrolled: 21-line block ×3, first 2 shown]
	s_waitcnt vmcnt(1)
	v_fma_f64 v[22:23], v[24:25], v[34:35], v[49:50]
	s_waitcnt vmcnt(0)
	v_fma_f64 v[17:18], v[45:46], v[34:35], v[38:39]
	v_fma_f64 v[19:20], v[47:48], v[34:35], v[32:33]
	;; [unrolled: 1-line block ×3, first 2 shown]
	v_fma_f64 v[22:23], -v[26:27], v[36:37], v[22:23]
	v_fma_f64 v[26:27], v[26:27], v[34:35], v[51:52]
	v_fma_f64 v[17:18], -v[47:48], v[36:37], v[17:18]
	v_fma_f64 v[19:20], v[45:46], v[36:37], v[19:20]
	v_fma_f64 v[32:33], v[41:42], v[36:37], v[32:33]
	;; [unrolled: 1-line block ×4, first 2 shown]
	v_fma_f64 v[26:27], -v[30:31], v[36:37], v[26:27]
	v_fma_f64 v[30:31], v[30:31], v[34:35], v[55:56]
	v_fma_f64 v[28:29], v[28:29], v[36:37], v[30:31]
	v_fma_f64 v[30:31], v[41:42], v[34:35], v[57:58]
	global_load_dword v34, v[15:16], off offset:256
	v_fma_f64 v[30:31], -v[43:44], v[36:37], v[30:31]
	s_waitcnt vmcnt(0)
	v_subrev_u32_e32 v34, s16, v34
	v_lshlrev_b32_e32 v53, 2, v34
	v_ashrrev_i32_e32 v54, 31, v53
	v_add_co_u32_e32 v34, vcc, s13, v13
	v_lshlrev_b64 v[53:54], 4, v[53:54]
	v_addc_co_u32_e32 v35, vcc, 0, v14, vcc
	v_add_co_u32_e32 v69, vcc, s8, v53
	v_addc_co_u32_e32 v70, vcc, v40, v54, vcc
	global_load_dwordx4 v[36:39], v[34:35], off
	global_load_dwordx4 v[41:44], v[34:35], off offset:48
	global_load_dwordx4 v[45:48], v[34:35], off offset:32
	global_load_dwordx4 v[49:52], v[34:35], off offset:16
	global_load_dwordx4 v[53:56], v[69:70], off offset:48
	global_load_dwordx4 v[57:60], v[69:70], off offset:32
	global_load_dwordx4 v[61:64], v[69:70], off offset:16
	global_load_dwordx4 v[65:68], v[69:70], off
	v_add_co_u32_e32 v9, vcc, 0x100, v9
	v_addc_co_u32_e32 v10, vcc, 0, v10, vcc
	v_add_co_u32_e32 v15, vcc, 0x400, v15
	v_addc_co_u32_e32 v16, vcc, 0, v16, vcc
	v_cmp_ge_i64_e64 s[0:1], v[9:10], v[11:12]
	v_add_co_u32_e32 v13, vcc, 0x10000, v13
	v_addc_co_u32_e32 v14, vcc, 0, v14, vcc
	s_or_b64 s[10:11], s[0:1], s[10:11]
	s_waitcnt vmcnt(0)
	v_fma_f64 v[17:18], v[36:37], v[65:66], v[17:18]
	v_fma_f64 v[69:70], -v[38:39], v[67:68], v[17:18]
	v_fma_f64 v[17:18], v[38:39], v[65:66], v[19:20]
	v_fma_f64 v[36:37], v[36:37], v[67:68], v[17:18]
	v_fma_f64 v[17:18], v[49:50], v[65:66], v[22:23]
	v_fma_f64 v[38:39], -v[51:52], v[67:68], v[17:18]
	v_fma_f64 v[17:18], v[51:52], v[65:66], v[24:25]
	v_fma_f64 v[49:50], v[49:50], v[67:68], v[17:18]
	v_fma_f64 v[17:18], v[45:46], v[65:66], v[26:27]
	v_fma_f64 v[51:52], -v[47:48], v[67:68], v[17:18]
	v_fma_f64 v[17:18], v[47:48], v[65:66], v[28:29]
	v_fma_f64 v[45:46], v[45:46], v[67:68], v[17:18]
	v_fma_f64 v[17:18], v[41:42], v[65:66], v[30:31]
	v_fma_f64 v[47:48], -v[43:44], v[67:68], v[17:18]
	v_fma_f64 v[17:18], v[43:44], v[65:66], v[32:33]
	v_fma_f64 v[41:42], v[41:42], v[67:68], v[17:18]
	global_load_dwordx4 v[17:20], v[34:35], off offset:112
	global_load_dwordx4 v[22:25], v[34:35], off offset:96
	global_load_dwordx4 v[26:29], v[34:35], off offset:80
	global_load_dwordx4 v[30:33], v[34:35], off offset:64
	s_waitcnt vmcnt(0)
	v_fma_f64 v[43:44], v[30:31], v[61:62], v[69:70]
	v_fma_f64 v[43:44], -v[32:33], v[63:64], v[43:44]
	v_fma_f64 v[32:33], v[32:33], v[61:62], v[36:37]
	v_fma_f64 v[36:37], v[30:31], v[63:64], v[32:33]
	v_fma_f64 v[30:31], v[26:27], v[61:62], v[38:39]
	v_fma_f64 v[38:39], -v[28:29], v[63:64], v[30:31]
	v_fma_f64 v[28:29], v[28:29], v[61:62], v[49:50]
	v_fma_f64 v[49:50], v[26:27], v[63:64], v[28:29]
	v_fma_f64 v[26:27], v[22:23], v[61:62], v[51:52]
	v_fma_f64 v[51:52], -v[24:25], v[63:64], v[26:27]
	v_fma_f64 v[24:25], v[24:25], v[61:62], v[45:46]
	v_fma_f64 v[45:46], v[22:23], v[63:64], v[24:25]
	v_fma_f64 v[22:23], v[17:18], v[61:62], v[47:48]
	v_fma_f64 v[47:48], -v[19:20], v[63:64], v[22:23]
	v_fma_f64 v[19:20], v[19:20], v[61:62], v[41:42]
	v_fma_f64 v[41:42], v[17:18], v[63:64], v[19:20]
	global_load_dwordx4 v[17:20], v[34:35], off offset:176
	global_load_dwordx4 v[22:25], v[34:35], off offset:160
	global_load_dwordx4 v[26:29], v[34:35], off offset:144
	global_load_dwordx4 v[30:33], v[34:35], off offset:128
	;; [unrolled: 21-line block ×3, first 2 shown]
	s_waitcnt vmcnt(0)
	v_fma_f64 v[34:35], v[30:31], v[53:54], v[43:44]
	v_fma_f64 v[38:39], -v[32:33], v[55:56], v[34:35]
	v_fma_f64 v[32:33], v[32:33], v[53:54], v[36:37]
	v_fma_f64 v[36:37], v[30:31], v[55:56], v[32:33]
	v_fma_f64 v[30:31], v[26:27], v[53:54], v[61:62]
	v_fma_f64 v[34:35], -v[28:29], v[55:56], v[30:31]
	v_fma_f64 v[28:29], v[28:29], v[53:54], v[49:50]
	v_fma_f64 v[32:33], v[26:27], v[55:56], v[28:29]
	;; [unrolled: 4-line block ×4, first 2 shown]
	s_andn2_b64 exec, exec, s[10:11]
	s_cbranch_execnz .LBB39_31
; %bb.32:
	s_or_b64 exec, exec, s[10:11]
.LBB39_33:
	s_or_b64 exec, exec, s[6:7]
.LBB39_34:
	s_or_b64 exec, exec, s[2:3]
.LBB39_35:
	v_mov_b32_dpp v9, v38 row_shr:1 row_mask:0xf bank_mask:0xf
	v_mov_b32_dpp v10, v39 row_shr:1 row_mask:0xf bank_mask:0xf
	v_add_f64 v[9:10], v[38:39], v[9:10]
	v_mov_b32_dpp v11, v36 row_shr:1 row_mask:0xf bank_mask:0xf
	v_mov_b32_dpp v12, v37 row_shr:1 row_mask:0xf bank_mask:0xf
	v_add_f64 v[11:12], v[36:37], v[11:12]
	v_mov_b32_dpp v15, v32 row_shr:1 row_mask:0xf bank_mask:0xf
	v_mov_b32_dpp v36, v24 row_shr:1 row_mask:0xf bank_mask:0xf
	;; [unrolled: 1-line block ×3, first 2 shown]
	v_add_f64 v[24:25], v[24:25], v[36:37]
	v_mov_b32_dpp v13, v9 row_shr:2 row_mask:0xf bank_mask:0xf
	v_mov_b32_dpp v14, v10 row_shr:2 row_mask:0xf bank_mask:0xf
	v_add_f64 v[9:10], v[9:10], v[13:14]
	v_mov_b32_dpp v13, v11 row_shr:2 row_mask:0xf bank_mask:0xf
	v_mov_b32_dpp v14, v12 row_shr:2 row_mask:0xf bank_mask:0xf
	v_add_f64 v[11:12], v[11:12], v[13:14]
	v_mov_b32_dpp v13, v34 row_shr:1 row_mask:0xf bank_mask:0xf
	v_mov_b32_dpp v14, v35 row_shr:1 row_mask:0xf bank_mask:0xf
	v_add_f64 v[13:14], v[34:35], v[13:14]
	v_mov_b32_dpp v36, v28 row_shr:1 row_mask:0xf bank_mask:0xf
	v_mov_b32_dpp v16, v9 row_shr:4 row_mask:0xf bank_mask:0xe
	v_mov_b32_dpp v17, v10 row_shr:4 row_mask:0xf bank_mask:0xe
	v_add_f64 v[9:10], v[9:10], v[16:17]
	v_mov_b32_dpp v16, v11 row_shr:4 row_mask:0xf bank_mask:0xe
	v_mov_b32_dpp v17, v12 row_shr:4 row_mask:0xf bank_mask:0xe
	v_add_f64 v[11:12], v[11:12], v[16:17]
	v_mov_b32_dpp v16, v33 row_shr:1 row_mask:0xf bank_mask:0xf
	v_add_f64 v[15:16], v[32:33], v[15:16]
	v_mov_b32_dpp v17, v13 row_shr:2 row_mask:0xf bank_mask:0xf
	v_mov_b32_dpp v18, v14 row_shr:2 row_mask:0xf bank_mask:0xf
	;; [unrolled: 1-line block ×4, first 2 shown]
	v_add_f64 v[9:10], v[9:10], v[19:20]
	v_add_f64 v[13:14], v[13:14], v[17:18]
	v_mov_b32_dpp v19, v11 row_shr:8 row_mask:0xf bank_mask:0xc
	v_mov_b32_dpp v17, v15 row_shr:2 row_mask:0xf bank_mask:0xf
	;; [unrolled: 1-line block ×3, first 2 shown]
	v_add_f64 v[15:16], v[15:16], v[17:18]
	v_mov_b32_dpp v20, v12 row_shr:8 row_mask:0xf bank_mask:0xc
	v_add_f64 v[11:12], v[11:12], v[19:20]
	v_mov_b32_dpp v17, v9 row_bcast:15 row_mask:0xa bank_mask:0xf
	v_mov_b32_dpp v18, v10 row_bcast:15 row_mask:0xa bank_mask:0xf
	v_add_f64 v[9:10], v[9:10], v[17:18]
	v_mov_b32_dpp v19, v14 row_shr:4 row_mask:0xf bank_mask:0xe
	v_mov_b32_dpp v18, v13 row_shr:4 row_mask:0xf bank_mask:0xe
	v_add_f64 v[13:14], v[13:14], v[18:19]
	v_mov_b32_dpp v19, v16 row_shr:4 row_mask:0xf bank_mask:0xe
	v_mov_b32_dpp v18, v15 row_shr:4 row_mask:0xf bank_mask:0xe
	;; [unrolled: 3-line block ×3, first 2 shown]
	v_add_f64 v[19:20], v[30:31], v[18:19]
	v_mov_b32_dpp v17, v11 row_bcast:15 row_mask:0xa bank_mask:0xf
	v_mov_b32_dpp v22, v13 row_shr:8 row_mask:0xf bank_mask:0xc
	v_mov_b32_dpp v23, v14 row_shr:8 row_mask:0xf bank_mask:0xc
	v_add_f64 v[13:14], v[13:14], v[22:23]
	v_mov_b32_dpp v22, v15 row_shr:8 row_mask:0xf bank_mask:0xc
	v_mov_b32_dpp v23, v16 row_shr:8 row_mask:0xf bank_mask:0xc
	v_add_f64 v[15:16], v[15:16], v[22:23]
	;; [unrolled: 3-line block ×3, first 2 shown]
	v_mov_b32_dpp v18, v12 row_bcast:15 row_mask:0xa bank_mask:0xf
	v_add_f64 v[11:12], v[11:12], v[17:18]
	v_mov_b32_dpp v17, v13 row_bcast:15 row_mask:0xa bank_mask:0xf
	v_mov_b32_dpp v18, v14 row_bcast:15 row_mask:0xa bank_mask:0xf
	v_add_f64 v[13:14], v[13:14], v[17:18]
	v_mov_b32_dpp v17, v15 row_bcast:15 row_mask:0xa bank_mask:0xf
	v_mov_b32_dpp v18, v16 row_bcast:15 row_mask:0xa bank_mask:0xf
	v_add_f64 v[15:16], v[15:16], v[17:18]
	v_mov_b32_dpp v17, v19 row_shr:4 row_mask:0xf bank_mask:0xe
	v_mov_b32_dpp v18, v20 row_shr:4 row_mask:0xf bank_mask:0xe
	v_add_f64 v[32:33], v[19:20], v[17:18]
	v_mov_b32_dpp v37, v29 row_shr:1 row_mask:0xf bank_mask:0xf
	v_add_f64 v[28:29], v[28:29], v[36:37]
	v_mov_b32_dpp v36, v26 row_shr:1 row_mask:0xf bank_mask:0xf
	v_mov_b32_dpp v37, v27 row_shr:1 row_mask:0xf bank_mask:0xf
	v_add_f64 v[26:27], v[26:27], v[36:37]
	v_mov_b32_dpp v30, v9 row_bcast:31 row_mask:0xc bank_mask:0xf
	v_mov_b32_dpp v31, v10 row_bcast:31 row_mask:0xc bank_mask:0xf
	v_mov_b32_dpp v34, v32 row_shr:8 row_mask:0xf bank_mask:0xc
	v_mov_b32_dpp v35, v33 row_shr:8 row_mask:0xf bank_mask:0xc
	v_add_f64 v[32:33], v[32:33], v[34:35]
	v_mov_b32_dpp v34, v24 row_shr:2 row_mask:0xf bank_mask:0xf
	v_mov_b32_dpp v35, v25 row_shr:2 row_mask:0xf bank_mask:0xf
	v_add_f64 v[24:25], v[24:25], v[34:35]
	;; [unrolled: 3-line block ×4, first 2 shown]
	v_mov_b32_dpp v34, v32 row_bcast:15 row_mask:0xa bank_mask:0xf
	v_mov_b32_dpp v35, v24 row_shr:4 row_mask:0xf bank_mask:0xe
	v_mov_b32_dpp v36, v25 row_shr:4 row_mask:0xf bank_mask:0xe
	v_add_f64 v[24:25], v[24:25], v[35:36]
	v_mov_b32_dpp v35, v28 row_shr:4 row_mask:0xf bank_mask:0xe
	v_mov_b32_dpp v36, v29 row_shr:4 row_mask:0xf bank_mask:0xe
	v_add_f64 v[28:29], v[28:29], v[35:36]
	;; [unrolled: 3-line block ×3, first 2 shown]
	v_mov_b32_dpp v35, v33 row_bcast:15 row_mask:0xa bank_mask:0xf
	v_mov_b32_dpp v36, v24 row_shr:8 row_mask:0xf bank_mask:0xc
	v_mov_b32_dpp v37, v25 row_shr:8 row_mask:0xf bank_mask:0xc
	v_add_f64 v[36:37], v[24:25], v[36:37]
	v_mov_b32_dpp v24, v28 row_shr:8 row_mask:0xf bank_mask:0xc
	v_mov_b32_dpp v25, v29 row_shr:8 row_mask:0xf bank_mask:0xc
	v_add_f64 v[28:29], v[28:29], v[24:25]
	;; [unrolled: 3-line block ×3, first 2 shown]
	v_add_f64 v[24:25], v[32:33], v[34:35]
	v_mov_b32_dpp v26, v36 row_bcast:15 row_mask:0xa bank_mask:0xf
	v_mov_b32_dpp v27, v37 row_bcast:15 row_mask:0xa bank_mask:0xf
	v_add_f64 v[26:27], v[36:37], v[26:27]
	v_mov_b32_dpp v32, v28 row_bcast:15 row_mask:0xa bank_mask:0xf
	v_mov_b32_dpp v33, v29 row_bcast:15 row_mask:0xa bank_mask:0xf
	;; [unrolled: 3-line block ×4, first 2 shown]
	v_mov_b32_dpp v19, v13 row_bcast:31 row_mask:0xc bank_mask:0xf
	v_mov_b32_dpp v20, v14 row_bcast:31 row_mask:0xc bank_mask:0xf
	;; [unrolled: 1-line block ×12, first 2 shown]
	v_cmp_eq_u32_e32 vcc, 63, v0
	s_and_b64 exec, exec, vcc
	s_cbranch_execz .LBB39_8
; %bb.36:
	v_add_f64 v[11:12], v[11:12], v[22:23]
	v_add_f64 v[22:23], v[13:14], v[19:20]
	;; [unrolled: 1-line block ×8, first 2 shown]
	v_mul_f64 v[19:20], v[11:12], -v[7:8]
	v_mul_f64 v[11:12], v[5:6], v[11:12]
	v_mul_f64 v[28:29], v[13:14], -v[7:8]
	v_mul_f64 v[30:31], v[5:6], v[13:14]
	;; [unrolled: 2-line block ×4, first 2 shown]
	v_cmp_eq_f64_e32 vcc, 0, v[1:2]
	v_cmp_eq_f64_e64 s[0:1], 0, v[3:4]
	v_fma_f64 v[17:18], v[5:6], v[9:10], v[19:20]
	v_fma_f64 v[19:20], v[7:8], v[9:10], v[11:12]
	v_fma_f64 v[13:14], v[5:6], v[22:23], v[28:29]
	v_fma_f64 v[15:16], v[7:8], v[22:23], v[30:31]
	v_fma_f64 v[9:10], v[5:6], v[24:25], v[32:33]
	v_fma_f64 v[11:12], v[7:8], v[24:25], v[34:35]
	v_fma_f64 v[5:6], v[5:6], v[26:27], v[36:37]
	v_fma_f64 v[7:8], v[7:8], v[26:27], v[38:39]
	s_load_dwordx2 s[2:3], s[4:5], 0x60
	s_and_b64 s[0:1], vcc, s[0:1]
	v_lshlrev_b32_e32 v21, 2, v21
	s_and_saveexec_b64 s[4:5], s[0:1]
	s_xor_b64 s[0:1], exec, s[4:5]
	s_cbranch_execz .LBB39_38
; %bb.37:
	v_ashrrev_i32_e32 v22, 31, v21
	v_lshlrev_b64 v[0:1], 4, v[21:22]
	s_waitcnt lgkmcnt(0)
	v_mov_b32_e32 v2, s3
	v_add_co_u32_e32 v0, vcc, s2, v0
	v_addc_co_u32_e32 v1, vcc, v2, v1, vcc
	global_store_dwordx4 v[0:1], v[17:20], off
	global_store_dwordx4 v[0:1], v[13:16], off offset:16
	global_store_dwordx4 v[0:1], v[9:12], off offset:32
	;; [unrolled: 1-line block ×3, first 2 shown]
                                        ; implicit-def: $vgpr3_vgpr4
                                        ; implicit-def: $vgpr17_vgpr18
                                        ; implicit-def: $vgpr21
                                        ; implicit-def: $vgpr13_vgpr14
                                        ; implicit-def: $vgpr9_vgpr10
                                        ; implicit-def: $vgpr5_vgpr6
.LBB39_38:
	s_andn2_saveexec_b64 s[0:1], s[0:1]
	s_cbranch_execz .LBB39_8
; %bb.39:
	v_ashrrev_i32_e32 v22, 31, v21
	v_lshlrev_b64 v[21:22], 4, v[21:22]
	s_waitcnt lgkmcnt(0)
	v_mov_b32_e32 v0, s3
	v_add_co_u32_e32 v37, vcc, s2, v21
	v_addc_co_u32_e32 v38, vcc, v0, v22, vcc
	global_load_dwordx4 v[21:24], v[37:38], off
	global_load_dwordx4 v[25:28], v[37:38], off offset:16
	global_load_dwordx4 v[29:32], v[37:38], off offset:32
	;; [unrolled: 1-line block ×3, first 2 shown]
	s_waitcnt vmcnt(3)
	v_fma_f64 v[17:18], v[1:2], v[21:22], v[17:18]
	v_fma_f64 v[19:20], v[3:4], v[21:22], v[19:20]
	s_waitcnt vmcnt(2)
	v_fma_f64 v[13:14], v[1:2], v[25:26], v[13:14]
	v_fma_f64 v[15:16], v[3:4], v[25:26], v[15:16]
	;; [unrolled: 3-line block ×4, first 2 shown]
	v_fma_f64 v[5:6], -v[3:4], v[23:24], v[17:18]
	v_fma_f64 v[7:8], v[1:2], v[23:24], v[19:20]
	v_fma_f64 v[9:10], -v[3:4], v[27:28], v[13:14]
	v_fma_f64 v[11:12], v[1:2], v[27:28], v[15:16]
	v_fma_f64 v[13:14], -v[3:4], v[31:32], v[21:22]
	v_fma_f64 v[15:16], v[1:2], v[31:32], v[25:26]
	v_fma_f64 v[17:18], -v[3:4], v[35:36], v[29:30]
	v_fma_f64 v[19:20], v[1:2], v[35:36], v[33:34]
	global_store_dwordx4 v[37:38], v[5:8], off
	global_store_dwordx4 v[37:38], v[9:12], off offset:16
	global_store_dwordx4 v[37:38], v[13:16], off offset:32
	;; [unrolled: 1-line block ×3, first 2 shown]
	s_endpgm
	.section	.rodata,"a",@progbits
	.p2align	6, 0x0
	.amdhsa_kernel _ZN9rocsparseL18bsrxmvn_4x4_kernelILj128ELj64E21rocsparse_complex_numIdEliS2_S2_S2_EEvT3_20rocsparse_direction_NS_24const_host_device_scalarIT1_EES3_PKS3_PKT2_SC_S9_PKT4_PKT5_S7_PT6_21rocsparse_index_base_b
		.amdhsa_group_segment_fixed_size 0
		.amdhsa_private_segment_fixed_size 0
		.amdhsa_kernarg_size 112
		.amdhsa_user_sgpr_count 6
		.amdhsa_user_sgpr_private_segment_buffer 1
		.amdhsa_user_sgpr_dispatch_ptr 0
		.amdhsa_user_sgpr_queue_ptr 0
		.amdhsa_user_sgpr_kernarg_segment_ptr 1
		.amdhsa_user_sgpr_dispatch_id 0
		.amdhsa_user_sgpr_flat_scratch_init 0
		.amdhsa_user_sgpr_private_segment_size 0
		.amdhsa_uses_dynamic_stack 0
		.amdhsa_system_sgpr_private_segment_wavefront_offset 0
		.amdhsa_system_sgpr_workgroup_id_x 1
		.amdhsa_system_sgpr_workgroup_id_y 0
		.amdhsa_system_sgpr_workgroup_id_z 0
		.amdhsa_system_sgpr_workgroup_info 0
		.amdhsa_system_vgpr_workitem_id 0
		.amdhsa_next_free_vgpr 87
		.amdhsa_next_free_sgpr 20
		.amdhsa_reserve_vcc 1
		.amdhsa_reserve_flat_scratch 0
		.amdhsa_float_round_mode_32 0
		.amdhsa_float_round_mode_16_64 0
		.amdhsa_float_denorm_mode_32 3
		.amdhsa_float_denorm_mode_16_64 3
		.amdhsa_dx10_clamp 1
		.amdhsa_ieee_mode 1
		.amdhsa_fp16_overflow 0
		.amdhsa_exception_fp_ieee_invalid_op 0
		.amdhsa_exception_fp_denorm_src 0
		.amdhsa_exception_fp_ieee_div_zero 0
		.amdhsa_exception_fp_ieee_overflow 0
		.amdhsa_exception_fp_ieee_underflow 0
		.amdhsa_exception_fp_ieee_inexact 0
		.amdhsa_exception_int_div_zero 0
	.end_amdhsa_kernel
	.section	.text._ZN9rocsparseL18bsrxmvn_4x4_kernelILj128ELj64E21rocsparse_complex_numIdEliS2_S2_S2_EEvT3_20rocsparse_direction_NS_24const_host_device_scalarIT1_EES3_PKS3_PKT2_SC_S9_PKT4_PKT5_S7_PT6_21rocsparse_index_base_b,"axG",@progbits,_ZN9rocsparseL18bsrxmvn_4x4_kernelILj128ELj64E21rocsparse_complex_numIdEliS2_S2_S2_EEvT3_20rocsparse_direction_NS_24const_host_device_scalarIT1_EES3_PKS3_PKT2_SC_S9_PKT4_PKT5_S7_PT6_21rocsparse_index_base_b,comdat
.Lfunc_end39:
	.size	_ZN9rocsparseL18bsrxmvn_4x4_kernelILj128ELj64E21rocsparse_complex_numIdEliS2_S2_S2_EEvT3_20rocsparse_direction_NS_24const_host_device_scalarIT1_EES3_PKS3_PKT2_SC_S9_PKT4_PKT5_S7_PT6_21rocsparse_index_base_b, .Lfunc_end39-_ZN9rocsparseL18bsrxmvn_4x4_kernelILj128ELj64E21rocsparse_complex_numIdEliS2_S2_S2_EEvT3_20rocsparse_direction_NS_24const_host_device_scalarIT1_EES3_PKS3_PKT2_SC_S9_PKT4_PKT5_S7_PT6_21rocsparse_index_base_b
                                        ; -- End function
	.set _ZN9rocsparseL18bsrxmvn_4x4_kernelILj128ELj64E21rocsparse_complex_numIdEliS2_S2_S2_EEvT3_20rocsparse_direction_NS_24const_host_device_scalarIT1_EES3_PKS3_PKT2_SC_S9_PKT4_PKT5_S7_PT6_21rocsparse_index_base_b.num_vgpr, 87
	.set _ZN9rocsparseL18bsrxmvn_4x4_kernelILj128ELj64E21rocsparse_complex_numIdEliS2_S2_S2_EEvT3_20rocsparse_direction_NS_24const_host_device_scalarIT1_EES3_PKS3_PKT2_SC_S9_PKT4_PKT5_S7_PT6_21rocsparse_index_base_b.num_agpr, 0
	.set _ZN9rocsparseL18bsrxmvn_4x4_kernelILj128ELj64E21rocsparse_complex_numIdEliS2_S2_S2_EEvT3_20rocsparse_direction_NS_24const_host_device_scalarIT1_EES3_PKS3_PKT2_SC_S9_PKT4_PKT5_S7_PT6_21rocsparse_index_base_b.numbered_sgpr, 20
	.set _ZN9rocsparseL18bsrxmvn_4x4_kernelILj128ELj64E21rocsparse_complex_numIdEliS2_S2_S2_EEvT3_20rocsparse_direction_NS_24const_host_device_scalarIT1_EES3_PKS3_PKT2_SC_S9_PKT4_PKT5_S7_PT6_21rocsparse_index_base_b.num_named_barrier, 0
	.set _ZN9rocsparseL18bsrxmvn_4x4_kernelILj128ELj64E21rocsparse_complex_numIdEliS2_S2_S2_EEvT3_20rocsparse_direction_NS_24const_host_device_scalarIT1_EES3_PKS3_PKT2_SC_S9_PKT4_PKT5_S7_PT6_21rocsparse_index_base_b.private_seg_size, 0
	.set _ZN9rocsparseL18bsrxmvn_4x4_kernelILj128ELj64E21rocsparse_complex_numIdEliS2_S2_S2_EEvT3_20rocsparse_direction_NS_24const_host_device_scalarIT1_EES3_PKS3_PKT2_SC_S9_PKT4_PKT5_S7_PT6_21rocsparse_index_base_b.uses_vcc, 1
	.set _ZN9rocsparseL18bsrxmvn_4x4_kernelILj128ELj64E21rocsparse_complex_numIdEliS2_S2_S2_EEvT3_20rocsparse_direction_NS_24const_host_device_scalarIT1_EES3_PKS3_PKT2_SC_S9_PKT4_PKT5_S7_PT6_21rocsparse_index_base_b.uses_flat_scratch, 0
	.set _ZN9rocsparseL18bsrxmvn_4x4_kernelILj128ELj64E21rocsparse_complex_numIdEliS2_S2_S2_EEvT3_20rocsparse_direction_NS_24const_host_device_scalarIT1_EES3_PKS3_PKT2_SC_S9_PKT4_PKT5_S7_PT6_21rocsparse_index_base_b.has_dyn_sized_stack, 0
	.set _ZN9rocsparseL18bsrxmvn_4x4_kernelILj128ELj64E21rocsparse_complex_numIdEliS2_S2_S2_EEvT3_20rocsparse_direction_NS_24const_host_device_scalarIT1_EES3_PKS3_PKT2_SC_S9_PKT4_PKT5_S7_PT6_21rocsparse_index_base_b.has_recursion, 0
	.set _ZN9rocsparseL18bsrxmvn_4x4_kernelILj128ELj64E21rocsparse_complex_numIdEliS2_S2_S2_EEvT3_20rocsparse_direction_NS_24const_host_device_scalarIT1_EES3_PKS3_PKT2_SC_S9_PKT4_PKT5_S7_PT6_21rocsparse_index_base_b.has_indirect_call, 0
	.section	.AMDGPU.csdata,"",@progbits
; Kernel info:
; codeLenInByte = 10692
; TotalNumSgprs: 24
; NumVgprs: 87
; ScratchSize: 0
; MemoryBound: 1
; FloatMode: 240
; IeeeMode: 1
; LDSByteSize: 0 bytes/workgroup (compile time only)
; SGPRBlocks: 2
; VGPRBlocks: 21
; NumSGPRsForWavesPerEU: 24
; NumVGPRsForWavesPerEU: 87
; Occupancy: 2
; WaveLimiterHint : 1
; COMPUTE_PGM_RSRC2:SCRATCH_EN: 0
; COMPUTE_PGM_RSRC2:USER_SGPR: 6
; COMPUTE_PGM_RSRC2:TRAP_HANDLER: 0
; COMPUTE_PGM_RSRC2:TGID_X_EN: 1
; COMPUTE_PGM_RSRC2:TGID_Y_EN: 0
; COMPUTE_PGM_RSRC2:TGID_Z_EN: 0
; COMPUTE_PGM_RSRC2:TIDIG_COMP_CNT: 0
	.section	.text._ZN9rocsparseL18bsrxmvn_4x4_kernelILj128ELj4EfllfffEEvT3_20rocsparse_direction_NS_24const_host_device_scalarIT1_EES1_PKS1_PKT2_SA_S7_PKT4_PKT5_S5_PT6_21rocsparse_index_base_b,"axG",@progbits,_ZN9rocsparseL18bsrxmvn_4x4_kernelILj128ELj4EfllfffEEvT3_20rocsparse_direction_NS_24const_host_device_scalarIT1_EES1_PKS1_PKT2_SA_S7_PKT4_PKT5_S5_PT6_21rocsparse_index_base_b,comdat
	.globl	_ZN9rocsparseL18bsrxmvn_4x4_kernelILj128ELj4EfllfffEEvT3_20rocsparse_direction_NS_24const_host_device_scalarIT1_EES1_PKS1_PKT2_SA_S7_PKT4_PKT5_S5_PT6_21rocsparse_index_base_b ; -- Begin function _ZN9rocsparseL18bsrxmvn_4x4_kernelILj128ELj4EfllfffEEvT3_20rocsparse_direction_NS_24const_host_device_scalarIT1_EES1_PKS1_PKT2_SA_S7_PKT4_PKT5_S5_PT6_21rocsparse_index_base_b
	.p2align	8
	.type	_ZN9rocsparseL18bsrxmvn_4x4_kernelILj128ELj4EfllfffEEvT3_20rocsparse_direction_NS_24const_host_device_scalarIT1_EES1_PKS1_PKT2_SA_S7_PKT4_PKT5_S5_PT6_21rocsparse_index_base_b,@function
_ZN9rocsparseL18bsrxmvn_4x4_kernelILj128ELj4EfllfffEEvT3_20rocsparse_direction_NS_24const_host_device_scalarIT1_EES1_PKS1_PKT2_SA_S7_PKT4_PKT5_S5_PT6_21rocsparse_index_base_b: ; @_ZN9rocsparseL18bsrxmvn_4x4_kernelILj128ELj4EfllfffEEvT3_20rocsparse_direction_NS_24const_host_device_scalarIT1_EES1_PKS1_PKT2_SA_S7_PKT4_PKT5_S5_PT6_21rocsparse_index_base_b
; %bb.0:
	s_load_dwordx2 s[0:1], s[4:5], 0x60
	s_load_dwordx4 s[16:19], s[4:5], 0x10
	s_load_dwordx2 s[20:21], s[4:5], 0x50
	s_waitcnt lgkmcnt(0)
	s_bitcmp1_b32 s1, 0
	s_cselect_b64 s[8:9], -1, 0
	s_xor_b64 s[2:3], s[8:9], -1
	s_and_b64 vcc, exec, s[8:9]
	s_cbranch_vccnz .LBB40_2
; %bb.1:
	s_load_dword s16, s[16:17], 0x0
.LBB40_2:
	s_andn2_b64 vcc, exec, s[2:3]
	s_cbranch_vccnz .LBB40_4
; %bb.3:
	s_load_dword s20, s[20:21], 0x0
.LBB40_4:
	s_waitcnt lgkmcnt(0)
	v_cmp_neq_f32_e64 s[2:3], s16, 0
	v_cmp_neq_f32_e64 s[8:9], s20, 1.0
	s_or_b64 s[2:3], s[2:3], s[8:9]
	s_andn2_b64 vcc, exec, s[2:3]
	s_cbranch_vccnz .LBB40_10
; %bb.5:
	s_load_dwordx2 s[8:9], s[4:5], 0x20
	v_lshrrev_b32_e32 v1, 2, v0
	v_lshl_or_b32 v6, s6, 5, v1
	v_mov_b32_e32 v7, 0
	s_mov_b64 s[2:3], 0
	s_waitcnt lgkmcnt(0)
	s_cmp_lg_u64 s[8:9], 0
	s_cbranch_scc0 .LBB40_11
; %bb.6:
	v_cmp_gt_i64_e32 vcc, s[18:19], v[6:7]
                                        ; implicit-def: $vgpr4_vgpr5
                                        ; implicit-def: $vgpr1_vgpr2
	s_and_saveexec_b64 s[6:7], vcc
	s_xor_b64 s[6:7], exec, s[6:7]
	s_cbranch_execz .LBB40_8
; %bb.7:
	v_lshlrev_b64 v[1:2], 3, v[6:7]
	v_mov_b32_e32 v3, s9
	v_add_co_u32_e32 v1, vcc, s8, v1
	v_addc_co_u32_e32 v2, vcc, v3, v2, vcc
	global_load_dwordx2 v[1:2], v[1:2], off
	s_mov_b32 s1, 0
	s_mov_b64 s[2:3], exec
	s_waitcnt vmcnt(0)
	v_subrev_co_u32_e32 v4, vcc, s0, v1
	v_subbrev_co_u32_e32 v5, vcc, 0, v2, vcc
	v_mov_b32_e32 v2, s1
	v_mov_b32_e32 v1, s0
.LBB40_8:
	s_or_b64 exec, exec, s[6:7]
.LBB40_9:
	s_and_saveexec_b64 s[0:1], s[2:3]
	s_cbranch_execnz .LBB40_15
.LBB40_10:
	s_endpgm
.LBB40_11:
                                        ; implicit-def: $vgpr4_vgpr5
                                        ; implicit-def: $vgpr1_vgpr2
	s_cbranch_execz .LBB40_9
; %bb.12:
	s_load_dwordx2 s[6:7], s[4:5], 0x0
	s_waitcnt lgkmcnt(0)
	v_cmp_gt_i64_e32 vcc, s[6:7], v[6:7]
	s_and_saveexec_b64 s[6:7], vcc
; %bb.13:
	s_mov_b32 s1, 0
	s_or_b64 s[2:3], s[2:3], exec
; %bb.14:
	s_or_b64 exec, exec, s[6:7]
	v_mov_b32_e32 v2, s1
	v_mov_b32_e32 v4, v6
	v_mov_b32_e32 v1, s0
	v_mov_b32_e32 v5, v7
	s_and_saveexec_b64 s[0:1], s[2:3]
	s_cbranch_execz .LBB40_10
.LBB40_15:
	s_load_dwordx8 s[8:15], s[4:5], 0x28
	v_lshlrev_b64 v[6:7], 3, v[4:5]
	v_and_b32_e32 v0, 3, v0
	s_waitcnt lgkmcnt(0)
	v_mov_b32_e32 v3, s9
	v_add_co_u32_e32 v8, vcc, s8, v6
	v_addc_co_u32_e32 v9, vcc, v3, v7, vcc
	v_add_co_u32_e32 v3, vcc, 8, v8
	global_load_dwordx2 v[14:15], v[8:9], off
	v_addc_co_u32_e32 v8, vcc, 0, v9, vcc
	v_mov_b32_e32 v9, s11
	v_add_co_u32_e32 v6, vcc, s10, v6
	s_cmp_eq_u64 s[10:11], 0
	v_addc_co_u32_e32 v7, vcc, v9, v7, vcc
	s_cselect_b64 vcc, -1, 0
	v_cndmask_b32_e32 v7, v7, v8, vcc
	v_cndmask_b32_e32 v6, v6, v3, vcc
	global_load_dwordx2 v[8:9], v[6:7], off
	s_load_dword s0, s[4:5], 0x8
	s_load_dwordx2 s[6:7], s[4:5], 0x48
	v_mov_b32_e32 v12, s15
	v_mov_b32_e32 v3, 0
	s_waitcnt lgkmcnt(0)
	s_cmp_eq_u32 s0, 1
	s_waitcnt vmcnt(1)
	v_sub_co_u32_e32 v6, vcc, v14, v1
	v_subb_co_u32_e32 v7, vcc, v15, v2, vcc
	v_add_co_u32_e32 v6, vcc, v6, v0
	v_addc_co_u32_e32 v7, vcc, 0, v7, vcc
	v_lshlrev_b64 v[10:11], 6, v[6:7]
	s_waitcnt vmcnt(0)
	v_sub_co_u32_e32 v8, vcc, v8, v1
	v_subb_co_u32_e32 v9, vcc, v9, v2, vcc
	v_cmp_lt_i64_e64 s[0:1], v[6:7], v[8:9]
	v_add_co_u32_e32 v10, vcc, s14, v10
	v_addc_co_u32_e32 v11, vcc, v12, v11, vcc
	s_cbranch_scc1 .LBB40_27
; %bb.16:
	v_mov_b32_e32 v12, 0
	v_mov_b32_e32 v26, 0
	;; [unrolled: 1-line block ×3, first 2 shown]
	s_and_saveexec_b64 s[8:9], s[0:1]
	s_cbranch_execz .LBB40_26
; %bb.17:
	v_or_b32_e32 v3, 4, v0
	v_sub_co_u32_e32 v3, vcc, v3, v1
	v_subb_co_u32_e32 v13, vcc, 0, v2, vcc
	v_add_co_u32_e32 v12, vcc, v3, v14
	v_addc_co_u32_e32 v13, vcc, v13, v15, vcc
	v_cmp_gt_i64_e32 vcc, v[12:13], v[8:9]
	v_not_b32_e32 v16, v14
	v_cndmask_b32_e32 v3, v9, v13, vcc
	v_cndmask_b32_e32 v12, v8, v12, vcc
	v_sub_co_u32_e32 v17, vcc, v1, v0
	v_subbrev_co_u32_e32 v18, vcc, 0, v2, vcc
	v_not_b32_e32 v13, v15
	v_add_co_u32_e32 v16, vcc, v17, v16
	v_addc_co_u32_e32 v13, vcc, v18, v13, vcc
	v_add_co_u32_e32 v20, vcc, v16, v12
	v_addc_co_u32_e32 v21, vcc, v13, v3, vcc
	v_and_b32_e32 v12, 12, v20
	v_mov_b32_e32 v13, 0
	v_cmp_ne_u64_e32 vcc, 12, v[12:13]
	v_mov_b32_e32 v17, v7
	v_mov_b32_e32 v19, v11
	;; [unrolled: 1-line block ×7, first 2 shown]
	s_and_saveexec_b64 s[10:11], vcc
	s_cbranch_execz .LBB40_21
; %bb.18:
	v_lshlrev_b64 v[12:13], 3, v[6:7]
	v_lshrrev_b32_e32 v3, 2, v20
	v_add_u32_e32 v3, 1, v3
	v_mov_b32_e32 v17, s13
	v_add_co_u32_e32 v22, vcc, s12, v12
	v_and_b32_e32 v16, 3, v3
	v_addc_co_u32_e32 v23, vcc, v17, v13, vcc
	v_sub_co_u32_e32 v24, vcc, 0, v16
	v_mov_b32_e32 v19, v11
	v_mov_b32_e32 v17, v7
	;; [unrolled: 1-line block ×3, first 2 shown]
	s_mov_b64 s[14:15], 0
	v_subb_co_u32_e64 v25, s[2:3], 0, 0, vcc
	s_movk_i32 s17, 0x100
	v_mov_b32_e32 v27, s7
	v_mov_b32_e32 v18, v10
	;; [unrolled: 1-line block ×6, first 2 shown]
.LBB40_19:                              ; =>This Inner Loop Header: Depth=1
	global_load_dwordx2 v[44:45], v[22:23], off
	global_load_dwordx4 v[28:31], v[18:19], off
	global_load_dwordx4 v[32:35], v[18:19], off offset:16
	global_load_dwordx4 v[36:39], v[18:19], off offset:32
	;; [unrolled: 1-line block ×3, first 2 shown]
	v_add_co_u32_e64 v16, s[2:3], 4, v16
	v_addc_co_u32_e64 v17, s[2:3], 0, v17, s[2:3]
	v_add_co_u32_e64 v22, s[2:3], 32, v22
	v_addc_co_u32_e64 v23, s[2:3], 0, v23, s[2:3]
	;; [unrolled: 2-line block ×3, first 2 shown]
	v_cmp_eq_u64_e64 s[2:3], 0, v[24:25]
	s_or_b64 s[14:15], s[2:3], s[14:15]
	s_waitcnt vmcnt(4)
	v_sub_co_u32_e32 v44, vcc, v44, v1
	v_subb_co_u32_e32 v45, vcc, v45, v2, vcc
	v_lshlrev_b64 v[44:45], 4, v[44:45]
	v_add_co_u32_e32 v44, vcc, s6, v44
	v_addc_co_u32_e32 v45, vcc, v27, v45, vcc
	global_load_dwordx4 v[44:47], v[44:45], off
	v_add_co_u32_e32 v18, vcc, s17, v18
	v_addc_co_u32_e32 v19, vcc, 0, v19, vcc
	s_waitcnt vmcnt(0)
	v_fmac_f32_e32 v13, v28, v44
	v_fmac_f32_e32 v26, v32, v44
	;; [unrolled: 1-line block ×16, first 2 shown]
	s_andn2_b64 exec, exec, s[14:15]
	s_cbranch_execnz .LBB40_19
; %bb.20:
	s_or_b64 exec, exec, s[14:15]
.LBB40_21:
	s_or_b64 exec, exec, s[10:11]
	v_cmp_lt_u64_e32 vcc, 11, v[20:21]
	s_and_saveexec_b64 s[10:11], vcc
	s_cbranch_execz .LBB40_25
; %bb.22:
	v_lshlrev_b64 v[20:21], 3, v[16:17]
	v_mov_b32_e32 v22, s13
	v_add_co_u32_e32 v20, vcc, s12, v20
	v_addc_co_u32_e32 v21, vcc, v22, v21, vcc
	v_add_co_u32_e32 v20, vcc, 64, v20
	v_addc_co_u32_e32 v21, vcc, 0, v21, vcc
	s_mov_b64 s[14:15], 0
	v_mov_b32_e32 v22, s7
	s_movk_i32 s17, 0x400
.LBB40_23:                              ; =>This Inner Loop Header: Depth=1
	global_load_dwordx2 v[23:24], v[20:21], off offset:-64
	global_load_dwordx4 v[27:30], v[18:19], off offset:48
	global_load_dwordx4 v[31:34], v[18:19], off offset:32
	;; [unrolled: 1-line block ×3, first 2 shown]
	global_load_dwordx4 v[39:42], v[18:19], off
	s_waitcnt vmcnt(4)
	v_sub_co_u32_e32 v23, vcc, v23, v1
	v_subb_co_u32_e32 v24, vcc, v24, v2, vcc
	v_lshlrev_b64 v[23:24], 4, v[23:24]
	v_add_co_u32_e32 v23, vcc, s6, v23
	v_addc_co_u32_e32 v24, vcc, v22, v24, vcc
	global_load_dwordx4 v[43:46], v[23:24], off
	s_waitcnt vmcnt(0)
	v_fmac_f32_e32 v13, v39, v43
	global_load_dwordx2 v[23:24], v[20:21], off offset:-32
	v_fmac_f32_e32 v26, v35, v43
	v_fmac_f32_e32 v12, v31, v43
	;; [unrolled: 1-line block ×13, first 2 shown]
	global_load_dwordx4 v[35:38], v[18:19], off offset:256
	v_fmac_f32_e32 v12, v34, v46
	global_load_dwordx4 v[31:34], v[18:19], off offset:272
	v_fmac_f32_e32 v3, v30, v46
	global_load_dwordx4 v[27:30], v[18:19], off offset:288
	global_load_dwordx4 v[39:42], v[18:19], off offset:304
	s_waitcnt vmcnt(4)
	v_sub_co_u32_e32 v23, vcc, v23, v1
	v_subb_co_u32_e32 v24, vcc, v24, v2, vcc
	v_lshlrev_b64 v[23:24], 4, v[23:24]
	v_add_co_u32_e32 v23, vcc, s6, v23
	v_addc_co_u32_e32 v24, vcc, v22, v24, vcc
	global_load_dwordx4 v[43:46], v[23:24], off
	s_nop 0
	global_load_dwordx2 v[23:24], v[20:21], off
	global_load_dwordx2 v[47:48], v[20:21], off offset:32
	s_waitcnt vmcnt(1)
	v_sub_co_u32_e32 v23, vcc, v23, v1
	v_subb_co_u32_e32 v24, vcc, v24, v2, vcc
	v_lshlrev_b64 v[23:24], 4, v[23:24]
	v_fmac_f32_e32 v13, v35, v43
	v_fmac_f32_e32 v12, v27, v43
	;; [unrolled: 1-line block ×6, first 2 shown]
	v_add_co_u32_e32 v23, vcc, s6, v23
	v_fmac_f32_e32 v13, v37, v45
	v_fmac_f32_e32 v12, v29, v45
	;; [unrolled: 1-line block ×3, first 2 shown]
	v_addc_co_u32_e32 v24, vcc, v22, v24, vcc
	v_fmac_f32_e32 v13, v38, v46
	v_fmac_f32_e32 v12, v30, v46
	global_load_dwordx4 v[27:30], v[18:19], off offset:528
	global_load_dwordx4 v[35:38], v[18:19], off offset:512
	v_fmac_f32_e32 v3, v42, v46
	global_load_dwordx4 v[39:42], v[23:24], off
	v_fmac_f32_e32 v26, v31, v43
	v_fmac_f32_e32 v26, v32, v44
	;; [unrolled: 1-line block ×4, first 2 shown]
	global_load_dwordx4 v[31:34], v[18:19], off offset:544
	s_waitcnt vmcnt(4)
	v_sub_co_u32_e32 v23, vcc, v47, v1
	v_subb_co_u32_e32 v24, vcc, v48, v2, vcc
	v_lshlrev_b64 v[23:24], 4, v[23:24]
	v_add_co_u32_e32 v23, vcc, s6, v23
	v_addc_co_u32_e32 v24, vcc, v22, v24, vcc
	s_waitcnt vmcnt(1)
	v_fmac_f32_e32 v13, v35, v39
	v_fmac_f32_e32 v13, v36, v40
	;; [unrolled: 1-line block ×4, first 2 shown]
	global_load_dwordx4 v[35:38], v[18:19], off offset:560
	v_fmac_f32_e32 v26, v27, v39
	s_waitcnt vmcnt(1)
	v_fmac_f32_e32 v12, v31, v39
	v_fmac_f32_e32 v26, v28, v40
	v_fmac_f32_e32 v12, v32, v40
	v_fmac_f32_e32 v26, v29, v41
	v_fmac_f32_e32 v12, v33, v41
	v_fmac_f32_e32 v26, v30, v42
	global_load_dwordx4 v[27:30], v[18:19], off offset:800
	v_fmac_f32_e32 v12, v34, v42
	global_load_dwordx4 v[31:34], v[18:19], off offset:784
	s_waitcnt vmcnt(2)
	v_fmac_f32_e32 v3, v35, v39
	v_fmac_f32_e32 v3, v36, v40
	;; [unrolled: 1-line block ×4, first 2 shown]
	global_load_dwordx4 v[35:38], v[18:19], off offset:768
	global_load_dwordx4 v[39:42], v[18:19], off offset:816
	global_load_dwordx4 v[43:46], v[23:24], off
	v_add_co_u32_e32 v18, vcc, s17, v18
	s_mov_b64 s[2:3], vcc
	v_add_co_u32_e32 v16, vcc, 16, v16
	v_addc_co_u32_e32 v17, vcc, 0, v17, vcc
	v_addc_co_u32_e64 v19, s[2:3], 0, v19, s[2:3]
	v_cmp_ge_i64_e64 s[2:3], v[16:17], v[8:9]
	v_add_co_u32_e32 v20, vcc, 0x80, v20
	v_addc_co_u32_e32 v21, vcc, 0, v21, vcc
	s_or_b64 s[14:15], s[2:3], s[14:15]
	s_waitcnt vmcnt(0)
	v_fmac_f32_e32 v13, v35, v43
	v_fmac_f32_e32 v26, v31, v43
	;; [unrolled: 1-line block ×16, first 2 shown]
	s_andn2_b64 exec, exec, s[14:15]
	s_cbranch_execnz .LBB40_23
; %bb.24:
	s_or_b64 exec, exec, s[14:15]
.LBB40_25:
	s_or_b64 exec, exec, s[10:11]
.LBB40_26:
	s_or_b64 exec, exec, s[8:9]
	s_cbranch_execz .LBB40_28
	s_branch .LBB40_39
.LBB40_27:
                                        ; implicit-def: $vgpr3
                                        ; implicit-def: $vgpr12
                                        ; implicit-def: $vgpr26
                                        ; implicit-def: $vgpr13
.LBB40_28:
	v_mov_b32_e32 v3, 0
	v_mov_b32_e32 v12, 0
	v_mov_b32_e32 v26, 0
	v_mov_b32_e32 v13, 0
	s_and_saveexec_b64 s[2:3], s[0:1]
	s_cbranch_execz .LBB40_38
; %bb.29:
	v_or_b32_e32 v3, 4, v0
	v_sub_co_u32_e32 v3, vcc, v3, v1
	v_subb_co_u32_e32 v13, vcc, 0, v2, vcc
	v_add_co_u32_e32 v12, vcc, v3, v14
	v_addc_co_u32_e32 v13, vcc, v13, v15, vcc
	v_cmp_gt_i64_e32 vcc, v[12:13], v[8:9]
	v_not_b32_e32 v14, v14
	v_cndmask_b32_e32 v3, v9, v13, vcc
	v_cndmask_b32_e32 v12, v8, v12, vcc
	v_not_b32_e32 v13, v15
	v_sub_co_u32_e32 v15, vcc, v1, v0
	v_subbrev_co_u32_e32 v16, vcc, 0, v2, vcc
	v_add_co_u32_e32 v14, vcc, v15, v14
	v_addc_co_u32_e32 v13, vcc, v16, v13, vcc
	v_add_co_u32_e32 v14, vcc, v14, v12
	v_addc_co_u32_e32 v15, vcc, v13, v3, vcc
	v_and_b32_e32 v12, 12, v14
	v_mov_b32_e32 v13, 0
	v_cmp_ne_u64_e32 vcc, 12, v[12:13]
	v_mov_b32_e32 v26, v13
	v_mov_b32_e32 v12, v13
	;; [unrolled: 1-line block ×3, first 2 shown]
	s_and_saveexec_b64 s[8:9], vcc
	s_cbranch_execz .LBB40_33
; %bb.30:
	v_lshlrev_b64 v[12:13], 3, v[6:7]
	v_lshrrev_b32_e32 v3, 2, v14
	v_add_u32_e32 v3, 1, v3
	v_mov_b32_e32 v17, s13
	v_add_co_u32_e32 v16, vcc, s12, v12
	v_and_b32_e32 v18, 3, v3
	v_addc_co_u32_e32 v17, vcc, v17, v13, vcc
	v_sub_co_u32_e32 v18, vcc, 0, v18
	v_mov_b32_e32 v3, 0
	s_mov_b64 s[10:11], 0
	v_subb_co_u32_e64 v19, s[0:1], 0, 0, vcc
	s_movk_i32 s14, 0x100
	v_mov_b32_e32 v20, s7
	v_mov_b32_e32 v12, 0
	;; [unrolled: 1-line block ×4, first 2 shown]
.LBB40_31:                              ; =>This Inner Loop Header: Depth=1
	global_load_dwordx2 v[35:36], v[16:17], off
	global_load_dwordx4 v[21:24], v[10:11], off offset:32
	global_load_dwordx4 v[27:30], v[10:11], off offset:16
	global_load_dwordx4 v[31:34], v[10:11], off
	v_add_co_u32_e64 v6, s[0:1], 4, v6
	v_addc_co_u32_e64 v7, s[0:1], 0, v7, s[0:1]
	v_add_co_u32_e64 v16, s[0:1], 32, v16
	v_addc_co_u32_e64 v17, s[0:1], 0, v17, s[0:1]
	;; [unrolled: 2-line block ×3, first 2 shown]
	v_cmp_eq_u64_e64 s[0:1], 0, v[18:19]
	s_or_b64 s[10:11], s[0:1], s[10:11]
	s_waitcnt vmcnt(3)
	v_sub_co_u32_e32 v35, vcc, v35, v1
	v_subb_co_u32_e32 v36, vcc, v36, v2, vcc
	v_lshlrev_b64 v[35:36], 4, v[35:36]
	v_add_co_u32_e32 v43, vcc, s6, v35
	v_addc_co_u32_e32 v44, vcc, v20, v36, vcc
	global_load_dwordx4 v[35:38], v[43:44], off
	global_load_dwordx4 v[39:42], v[10:11], off offset:48
	v_add_co_u32_e32 v10, vcc, s14, v10
	v_addc_co_u32_e32 v11, vcc, 0, v11, vcc
	s_waitcnt vmcnt(1)
	v_fmac_f32_e32 v13, v31, v35
	v_fmac_f32_e32 v26, v32, v35
	v_fmac_f32_e32 v12, v33, v35
	v_fmac_f32_e32 v3, v34, v35
	v_fmac_f32_e32 v13, v27, v36
	v_fmac_f32_e32 v26, v28, v36
	v_fmac_f32_e32 v12, v29, v36
	v_fmac_f32_e32 v3, v30, v36
	v_fmac_f32_e32 v13, v21, v37
	v_fmac_f32_e32 v26, v22, v37
	v_fmac_f32_e32 v12, v23, v37
	v_fmac_f32_e32 v3, v24, v37
	s_waitcnt vmcnt(0)
	v_fmac_f32_e32 v13, v39, v38
	v_fmac_f32_e32 v26, v40, v38
	;; [unrolled: 1-line block ×4, first 2 shown]
	s_andn2_b64 exec, exec, s[10:11]
	s_cbranch_execnz .LBB40_31
; %bb.32:
	s_or_b64 exec, exec, s[10:11]
.LBB40_33:
	s_or_b64 exec, exec, s[8:9]
	v_cmp_lt_u64_e32 vcc, 11, v[14:15]
	s_and_saveexec_b64 s[8:9], vcc
	s_cbranch_execz .LBB40_37
; %bb.34:
	v_lshlrev_b64 v[14:15], 3, v[6:7]
	v_mov_b32_e32 v16, s13
	v_add_co_u32_e32 v14, vcc, s12, v14
	v_addc_co_u32_e32 v15, vcc, v16, v15, vcc
	v_add_co_u32_e32 v14, vcc, 64, v14
	v_addc_co_u32_e32 v15, vcc, 0, v15, vcc
	s_mov_b64 s[10:11], 0
	v_mov_b32_e32 v16, s7
	s_movk_i32 s7, 0x400
.LBB40_35:                              ; =>This Inner Loop Header: Depth=1
	global_load_dwordx2 v[51:52], v[14:15], off offset:-64
	global_load_dwordx2 v[53:54], v[14:15], off offset:-32
	global_load_dwordx4 v[17:20], v[10:11], off offset:48
	global_load_dwordx4 v[21:24], v[10:11], off offset:32
	;; [unrolled: 1-line block ×3, first 2 shown]
	global_load_dwordx4 v[31:34], v[10:11], off
	global_load_dwordx2 v[59:60], v[14:15], off
	global_load_dwordx2 v[61:62], v[14:15], off offset:32
	global_load_dwordx4 v[35:38], v[10:11], off offset:256
	global_load_dwordx4 v[39:42], v[10:11], off offset:272
	;; [unrolled: 1-line block ×4, first 2 shown]
	v_add_co_u32_e64 v6, s[0:1], 16, v6
	v_addc_co_u32_e64 v7, s[0:1], 0, v7, s[0:1]
	v_cmp_ge_i64_e64 s[0:1], v[6:7], v[8:9]
	s_or_b64 s[10:11], s[0:1], s[10:11]
	s_waitcnt vmcnt(11)
	v_sub_co_u32_e32 v51, vcc, v51, v1
	v_subb_co_u32_e32 v52, vcc, v52, v2, vcc
	s_waitcnt vmcnt(10)
	v_sub_co_u32_e32 v53, vcc, v53, v1
	v_lshlrev_b64 v[51:52], 4, v[51:52]
	v_subb_co_u32_e32 v54, vcc, v54, v2, vcc
	v_lshlrev_b64 v[53:54], 4, v[53:54]
	v_add_co_u32_e32 v51, vcc, s6, v51
	v_addc_co_u32_e32 v52, vcc, v16, v52, vcc
	v_add_co_u32_e32 v55, vcc, s6, v53
	v_addc_co_u32_e32 v56, vcc, v16, v54, vcc
	global_load_dwordx4 v[51:54], v[51:52], off
	s_nop 0
	global_load_dwordx4 v[55:58], v[55:56], off
	s_waitcnt vmcnt(1)
	v_fmac_f32_e32 v13, v31, v51
	v_fmac_f32_e32 v26, v32, v51
	v_fmac_f32_e32 v12, v33, v51
	v_fmac_f32_e32 v3, v34, v51
	v_sub_co_u32_e32 v51, vcc, v59, v1
	v_fmac_f32_e32 v13, v27, v52
	v_fmac_f32_e32 v26, v28, v52
	;; [unrolled: 1-line block ×4, first 2 shown]
	v_subb_co_u32_e32 v52, vcc, v60, v2, vcc
	v_fmac_f32_e32 v13, v21, v53
	v_fmac_f32_e32 v26, v22, v53
	;; [unrolled: 1-line block ×4, first 2 shown]
	v_sub_co_u32_e32 v53, vcc, v61, v1
	v_lshlrev_b64 v[51:52], 4, v[51:52]
	v_fmac_f32_e32 v13, v17, v54
	v_fmac_f32_e32 v26, v18, v54
	;; [unrolled: 1-line block ×4, first 2 shown]
	v_subb_co_u32_e32 v54, vcc, v62, v2, vcc
	v_lshlrev_b64 v[53:54], 4, v[53:54]
	v_add_co_u32_e32 v63, vcc, s6, v51
	v_addc_co_u32_e32 v64, vcc, v16, v52, vcc
	s_waitcnt vmcnt(0)
	v_fmac_f32_e32 v13, v35, v55
	v_fmac_f32_e32 v26, v36, v55
	;; [unrolled: 1-line block ×4, first 2 shown]
	global_load_dwordx4 v[21:24], v[10:11], off offset:528
	global_load_dwordx4 v[17:20], v[10:11], off offset:512
	v_add_co_u32_e32 v65, vcc, s6, v53
	v_fmac_f32_e32 v13, v39, v56
	v_fmac_f32_e32 v26, v40, v56
	;; [unrolled: 1-line block ×4, first 2 shown]
	global_load_dwordx4 v[31:34], v[10:11], off offset:560
	global_load_dwordx4 v[27:30], v[10:11], off offset:544
	v_addc_co_u32_e32 v66, vcc, v16, v54, vcc
	global_load_dwordx4 v[51:54], v[10:11], off offset:768
	global_load_dwordx4 v[35:38], v[10:11], off offset:784
	;; [unrolled: 1-line block ×3, first 2 shown]
	v_fmac_f32_e32 v13, v43, v57
	v_fmac_f32_e32 v26, v44, v57
	;; [unrolled: 1-line block ×4, first 2 shown]
	global_load_dwordx4 v[43:46], v[63:64], off
	global_load_dwordx4 v[59:62], v[65:66], off
	v_fmac_f32_e32 v13, v47, v58
	v_fmac_f32_e32 v26, v48, v58
	;; [unrolled: 1-line block ×4, first 2 shown]
	global_load_dwordx4 v[47:50], v[10:11], off offset:816
	v_add_co_u32_e32 v10, vcc, s7, v10
	v_addc_co_u32_e32 v11, vcc, 0, v11, vcc
	v_add_co_u32_e32 v14, vcc, 0x80, v14
	v_addc_co_u32_e32 v15, vcc, 0, v15, vcc
	s_waitcnt vmcnt(2)
	v_fmac_f32_e32 v13, v17, v43
	v_fmac_f32_e32 v26, v18, v43
	;; [unrolled: 1-line block ×16, first 2 shown]
	s_waitcnt vmcnt(1)
	v_fmac_f32_e32 v13, v51, v59
	v_fmac_f32_e32 v26, v52, v59
	;; [unrolled: 1-line block ×12, first 2 shown]
	s_waitcnt vmcnt(0)
	v_fmac_f32_e32 v13, v47, v62
	v_fmac_f32_e32 v26, v48, v62
	;; [unrolled: 1-line block ×4, first 2 shown]
	s_andn2_b64 exec, exec, s[10:11]
	s_cbranch_execnz .LBB40_35
; %bb.36:
	s_or_b64 exec, exec, s[10:11]
.LBB40_37:
	s_or_b64 exec, exec, s[8:9]
.LBB40_38:
	s_or_b64 exec, exec, s[2:3]
.LBB40_39:
	v_mov_b32_dpp v1, v13 row_shr:1 row_mask:0xf bank_mask:0xf
	v_mov_b32_dpp v6, v26 row_shr:1 row_mask:0xf bank_mask:0xf
	;; [unrolled: 1-line block ×4, first 2 shown]
	v_add_f32_e32 v1, v13, v1
	v_add_f32_e32 v6, v26, v6
	;; [unrolled: 1-line block ×4, first 2 shown]
	v_mov_b32_dpp v2, v1 row_shr:2 row_mask:0xf bank_mask:0xf
	v_mov_b32_dpp v7, v6 row_shr:2 row_mask:0xf bank_mask:0xf
	v_mov_b32_dpp v9, v8 row_shr:2 row_mask:0xf bank_mask:0xf
	v_mov_b32_dpp v10, v3 row_shr:2 row_mask:0xf bank_mask:0xf
	v_cmp_eq_u32_e32 vcc, 3, v0
	s_and_b64 exec, exec, vcc
	s_cbranch_execz .LBB40_10
; %bb.40:
	s_load_dwordx2 s[0:1], s[4:5], 0x58
	v_add_f32_e32 v0, v1, v2
	v_add_f32_e32 v1, v6, v7
	;; [unrolled: 1-line block ×4, first 2 shown]
	v_cmp_eq_f32_e64 s[2:3], s20, 0
	v_lshlrev_b64 v[4:5], 4, v[4:5]
	s_and_b64 vcc, exec, s[2:3]
	v_mul_f32_e32 v0, s16, v0
	v_mul_f32_e32 v1, s16, v1
	;; [unrolled: 1-line block ×4, first 2 shown]
	s_cbranch_vccz .LBB40_42
; %bb.41:
	s_waitcnt lgkmcnt(0)
	v_mov_b32_e32 v7, s1
	v_add_co_u32_e32 v6, vcc, s0, v4
	v_addc_co_u32_e32 v7, vcc, v7, v5, vcc
	global_store_dwordx4 v[6:7], v[0:3], off
	s_cbranch_execnz .LBB40_10
	s_branch .LBB40_43
.LBB40_42:
.LBB40_43:
	s_waitcnt lgkmcnt(0)
	v_mov_b32_e32 v6, s1
	v_add_co_u32_e32 v8, vcc, s0, v4
	v_addc_co_u32_e32 v9, vcc, v6, v5, vcc
	global_load_dwordx4 v[4:7], v[8:9], off
	s_waitcnt vmcnt(0)
	v_fmac_f32_e32 v0, s20, v4
	v_fmac_f32_e32 v1, s20, v5
	;; [unrolled: 1-line block ×4, first 2 shown]
	global_store_dwordx4 v[8:9], v[0:3], off
	s_endpgm
	.section	.rodata,"a",@progbits
	.p2align	6, 0x0
	.amdhsa_kernel _ZN9rocsparseL18bsrxmvn_4x4_kernelILj128ELj4EfllfffEEvT3_20rocsparse_direction_NS_24const_host_device_scalarIT1_EES1_PKS1_PKT2_SA_S7_PKT4_PKT5_S5_PT6_21rocsparse_index_base_b
		.amdhsa_group_segment_fixed_size 0
		.amdhsa_private_segment_fixed_size 0
		.amdhsa_kernarg_size 104
		.amdhsa_user_sgpr_count 6
		.amdhsa_user_sgpr_private_segment_buffer 1
		.amdhsa_user_sgpr_dispatch_ptr 0
		.amdhsa_user_sgpr_queue_ptr 0
		.amdhsa_user_sgpr_kernarg_segment_ptr 1
		.amdhsa_user_sgpr_dispatch_id 0
		.amdhsa_user_sgpr_flat_scratch_init 0
		.amdhsa_user_sgpr_private_segment_size 0
		.amdhsa_uses_dynamic_stack 0
		.amdhsa_system_sgpr_private_segment_wavefront_offset 0
		.amdhsa_system_sgpr_workgroup_id_x 1
		.amdhsa_system_sgpr_workgroup_id_y 0
		.amdhsa_system_sgpr_workgroup_id_z 0
		.amdhsa_system_sgpr_workgroup_info 0
		.amdhsa_system_vgpr_workitem_id 0
		.amdhsa_next_free_vgpr 67
		.amdhsa_next_free_sgpr 22
		.amdhsa_reserve_vcc 1
		.amdhsa_reserve_flat_scratch 0
		.amdhsa_float_round_mode_32 0
		.amdhsa_float_round_mode_16_64 0
		.amdhsa_float_denorm_mode_32 3
		.amdhsa_float_denorm_mode_16_64 3
		.amdhsa_dx10_clamp 1
		.amdhsa_ieee_mode 1
		.amdhsa_fp16_overflow 0
		.amdhsa_exception_fp_ieee_invalid_op 0
		.amdhsa_exception_fp_denorm_src 0
		.amdhsa_exception_fp_ieee_div_zero 0
		.amdhsa_exception_fp_ieee_overflow 0
		.amdhsa_exception_fp_ieee_underflow 0
		.amdhsa_exception_fp_ieee_inexact 0
		.amdhsa_exception_int_div_zero 0
	.end_amdhsa_kernel
	.section	.text._ZN9rocsparseL18bsrxmvn_4x4_kernelILj128ELj4EfllfffEEvT3_20rocsparse_direction_NS_24const_host_device_scalarIT1_EES1_PKS1_PKT2_SA_S7_PKT4_PKT5_S5_PT6_21rocsparse_index_base_b,"axG",@progbits,_ZN9rocsparseL18bsrxmvn_4x4_kernelILj128ELj4EfllfffEEvT3_20rocsparse_direction_NS_24const_host_device_scalarIT1_EES1_PKS1_PKT2_SA_S7_PKT4_PKT5_S5_PT6_21rocsparse_index_base_b,comdat
.Lfunc_end40:
	.size	_ZN9rocsparseL18bsrxmvn_4x4_kernelILj128ELj4EfllfffEEvT3_20rocsparse_direction_NS_24const_host_device_scalarIT1_EES1_PKS1_PKT2_SA_S7_PKT4_PKT5_S5_PT6_21rocsparse_index_base_b, .Lfunc_end40-_ZN9rocsparseL18bsrxmvn_4x4_kernelILj128ELj4EfllfffEEvT3_20rocsparse_direction_NS_24const_host_device_scalarIT1_EES1_PKS1_PKT2_SA_S7_PKT4_PKT5_S5_PT6_21rocsparse_index_base_b
                                        ; -- End function
	.set _ZN9rocsparseL18bsrxmvn_4x4_kernelILj128ELj4EfllfffEEvT3_20rocsparse_direction_NS_24const_host_device_scalarIT1_EES1_PKS1_PKT2_SA_S7_PKT4_PKT5_S5_PT6_21rocsparse_index_base_b.num_vgpr, 67
	.set _ZN9rocsparseL18bsrxmvn_4x4_kernelILj128ELj4EfllfffEEvT3_20rocsparse_direction_NS_24const_host_device_scalarIT1_EES1_PKS1_PKT2_SA_S7_PKT4_PKT5_S5_PT6_21rocsparse_index_base_b.num_agpr, 0
	.set _ZN9rocsparseL18bsrxmvn_4x4_kernelILj128ELj4EfllfffEEvT3_20rocsparse_direction_NS_24const_host_device_scalarIT1_EES1_PKS1_PKT2_SA_S7_PKT4_PKT5_S5_PT6_21rocsparse_index_base_b.numbered_sgpr, 22
	.set _ZN9rocsparseL18bsrxmvn_4x4_kernelILj128ELj4EfllfffEEvT3_20rocsparse_direction_NS_24const_host_device_scalarIT1_EES1_PKS1_PKT2_SA_S7_PKT4_PKT5_S5_PT6_21rocsparse_index_base_b.num_named_barrier, 0
	.set _ZN9rocsparseL18bsrxmvn_4x4_kernelILj128ELj4EfllfffEEvT3_20rocsparse_direction_NS_24const_host_device_scalarIT1_EES1_PKS1_PKT2_SA_S7_PKT4_PKT5_S5_PT6_21rocsparse_index_base_b.private_seg_size, 0
	.set _ZN9rocsparseL18bsrxmvn_4x4_kernelILj128ELj4EfllfffEEvT3_20rocsparse_direction_NS_24const_host_device_scalarIT1_EES1_PKS1_PKT2_SA_S7_PKT4_PKT5_S5_PT6_21rocsparse_index_base_b.uses_vcc, 1
	.set _ZN9rocsparseL18bsrxmvn_4x4_kernelILj128ELj4EfllfffEEvT3_20rocsparse_direction_NS_24const_host_device_scalarIT1_EES1_PKS1_PKT2_SA_S7_PKT4_PKT5_S5_PT6_21rocsparse_index_base_b.uses_flat_scratch, 0
	.set _ZN9rocsparseL18bsrxmvn_4x4_kernelILj128ELj4EfllfffEEvT3_20rocsparse_direction_NS_24const_host_device_scalarIT1_EES1_PKS1_PKT2_SA_S7_PKT4_PKT5_S5_PT6_21rocsparse_index_base_b.has_dyn_sized_stack, 0
	.set _ZN9rocsparseL18bsrxmvn_4x4_kernelILj128ELj4EfllfffEEvT3_20rocsparse_direction_NS_24const_host_device_scalarIT1_EES1_PKS1_PKT2_SA_S7_PKT4_PKT5_S5_PT6_21rocsparse_index_base_b.has_recursion, 0
	.set _ZN9rocsparseL18bsrxmvn_4x4_kernelILj128ELj4EfllfffEEvT3_20rocsparse_direction_NS_24const_host_device_scalarIT1_EES1_PKS1_PKT2_SA_S7_PKT4_PKT5_S5_PT6_21rocsparse_index_base_b.has_indirect_call, 0
	.section	.AMDGPU.csdata,"",@progbits
; Kernel info:
; codeLenInByte = 2996
; TotalNumSgprs: 26
; NumVgprs: 67
; ScratchSize: 0
; MemoryBound: 0
; FloatMode: 240
; IeeeMode: 1
; LDSByteSize: 0 bytes/workgroup (compile time only)
; SGPRBlocks: 3
; VGPRBlocks: 16
; NumSGPRsForWavesPerEU: 26
; NumVGPRsForWavesPerEU: 67
; Occupancy: 3
; WaveLimiterHint : 1
; COMPUTE_PGM_RSRC2:SCRATCH_EN: 0
; COMPUTE_PGM_RSRC2:USER_SGPR: 6
; COMPUTE_PGM_RSRC2:TRAP_HANDLER: 0
; COMPUTE_PGM_RSRC2:TGID_X_EN: 1
; COMPUTE_PGM_RSRC2:TGID_Y_EN: 0
; COMPUTE_PGM_RSRC2:TGID_Z_EN: 0
; COMPUTE_PGM_RSRC2:TIDIG_COMP_CNT: 0
	.section	.text._ZN9rocsparseL18bsrxmvn_4x4_kernelILj128ELj8EfllfffEEvT3_20rocsparse_direction_NS_24const_host_device_scalarIT1_EES1_PKS1_PKT2_SA_S7_PKT4_PKT5_S5_PT6_21rocsparse_index_base_b,"axG",@progbits,_ZN9rocsparseL18bsrxmvn_4x4_kernelILj128ELj8EfllfffEEvT3_20rocsparse_direction_NS_24const_host_device_scalarIT1_EES1_PKS1_PKT2_SA_S7_PKT4_PKT5_S5_PT6_21rocsparse_index_base_b,comdat
	.globl	_ZN9rocsparseL18bsrxmvn_4x4_kernelILj128ELj8EfllfffEEvT3_20rocsparse_direction_NS_24const_host_device_scalarIT1_EES1_PKS1_PKT2_SA_S7_PKT4_PKT5_S5_PT6_21rocsparse_index_base_b ; -- Begin function _ZN9rocsparseL18bsrxmvn_4x4_kernelILj128ELj8EfllfffEEvT3_20rocsparse_direction_NS_24const_host_device_scalarIT1_EES1_PKS1_PKT2_SA_S7_PKT4_PKT5_S5_PT6_21rocsparse_index_base_b
	.p2align	8
	.type	_ZN9rocsparseL18bsrxmvn_4x4_kernelILj128ELj8EfllfffEEvT3_20rocsparse_direction_NS_24const_host_device_scalarIT1_EES1_PKS1_PKT2_SA_S7_PKT4_PKT5_S5_PT6_21rocsparse_index_base_b,@function
_ZN9rocsparseL18bsrxmvn_4x4_kernelILj128ELj8EfllfffEEvT3_20rocsparse_direction_NS_24const_host_device_scalarIT1_EES1_PKS1_PKT2_SA_S7_PKT4_PKT5_S5_PT6_21rocsparse_index_base_b: ; @_ZN9rocsparseL18bsrxmvn_4x4_kernelILj128ELj8EfllfffEEvT3_20rocsparse_direction_NS_24const_host_device_scalarIT1_EES1_PKS1_PKT2_SA_S7_PKT4_PKT5_S5_PT6_21rocsparse_index_base_b
; %bb.0:
	s_load_dwordx2 s[0:1], s[4:5], 0x60
	s_load_dwordx4 s[16:19], s[4:5], 0x10
	s_load_dwordx2 s[20:21], s[4:5], 0x50
	s_waitcnt lgkmcnt(0)
	s_bitcmp1_b32 s1, 0
	s_cselect_b64 s[8:9], -1, 0
	s_xor_b64 s[2:3], s[8:9], -1
	s_and_b64 vcc, exec, s[8:9]
	s_cbranch_vccnz .LBB41_2
; %bb.1:
	s_load_dword s16, s[16:17], 0x0
.LBB41_2:
	s_andn2_b64 vcc, exec, s[2:3]
	s_cbranch_vccnz .LBB41_4
; %bb.3:
	s_load_dword s20, s[20:21], 0x0
.LBB41_4:
	s_waitcnt lgkmcnt(0)
	v_cmp_neq_f32_e64 s[2:3], s16, 0
	v_cmp_neq_f32_e64 s[8:9], s20, 1.0
	s_or_b64 s[2:3], s[2:3], s[8:9]
	s_andn2_b64 vcc, exec, s[2:3]
	s_cbranch_vccnz .LBB41_10
; %bb.5:
	s_load_dwordx2 s[8:9], s[4:5], 0x20
	v_lshrrev_b32_e32 v1, 3, v0
	v_lshl_or_b32 v6, s6, 4, v1
	v_mov_b32_e32 v7, 0
	s_mov_b64 s[2:3], 0
	s_waitcnt lgkmcnt(0)
	s_cmp_lg_u64 s[8:9], 0
	s_cbranch_scc0 .LBB41_11
; %bb.6:
	v_cmp_gt_i64_e32 vcc, s[18:19], v[6:7]
                                        ; implicit-def: $vgpr4_vgpr5
                                        ; implicit-def: $vgpr1_vgpr2
	s_and_saveexec_b64 s[6:7], vcc
	s_xor_b64 s[6:7], exec, s[6:7]
	s_cbranch_execz .LBB41_8
; %bb.7:
	v_lshlrev_b64 v[1:2], 3, v[6:7]
	v_mov_b32_e32 v3, s9
	v_add_co_u32_e32 v1, vcc, s8, v1
	v_addc_co_u32_e32 v2, vcc, v3, v2, vcc
	global_load_dwordx2 v[1:2], v[1:2], off
	s_mov_b32 s1, 0
	s_mov_b64 s[2:3], exec
	s_waitcnt vmcnt(0)
	v_subrev_co_u32_e32 v4, vcc, s0, v1
	v_subbrev_co_u32_e32 v5, vcc, 0, v2, vcc
	v_mov_b32_e32 v2, s1
	v_mov_b32_e32 v1, s0
.LBB41_8:
	s_or_b64 exec, exec, s[6:7]
.LBB41_9:
	s_and_saveexec_b64 s[0:1], s[2:3]
	s_cbranch_execnz .LBB41_15
.LBB41_10:
	s_endpgm
.LBB41_11:
                                        ; implicit-def: $vgpr4_vgpr5
                                        ; implicit-def: $vgpr1_vgpr2
	s_cbranch_execz .LBB41_9
; %bb.12:
	s_load_dwordx2 s[6:7], s[4:5], 0x0
	s_waitcnt lgkmcnt(0)
	v_cmp_gt_i64_e32 vcc, s[6:7], v[6:7]
	s_and_saveexec_b64 s[6:7], vcc
; %bb.13:
	s_mov_b32 s1, 0
	s_or_b64 s[2:3], s[2:3], exec
; %bb.14:
	s_or_b64 exec, exec, s[6:7]
	v_mov_b32_e32 v2, s1
	v_mov_b32_e32 v4, v6
	;; [unrolled: 1-line block ×4, first 2 shown]
	s_and_saveexec_b64 s[0:1], s[2:3]
	s_cbranch_execz .LBB41_10
.LBB41_15:
	s_load_dwordx8 s[8:15], s[4:5], 0x28
	v_lshlrev_b64 v[6:7], 3, v[4:5]
	v_and_b32_e32 v0, 7, v0
	s_waitcnt lgkmcnt(0)
	v_mov_b32_e32 v3, s9
	v_add_co_u32_e32 v8, vcc, s8, v6
	v_addc_co_u32_e32 v9, vcc, v3, v7, vcc
	v_add_co_u32_e32 v3, vcc, 8, v8
	global_load_dwordx2 v[14:15], v[8:9], off
	v_addc_co_u32_e32 v8, vcc, 0, v9, vcc
	v_mov_b32_e32 v9, s11
	v_add_co_u32_e32 v6, vcc, s10, v6
	s_cmp_eq_u64 s[10:11], 0
	v_addc_co_u32_e32 v7, vcc, v9, v7, vcc
	s_cselect_b64 vcc, -1, 0
	v_cndmask_b32_e32 v7, v7, v8, vcc
	v_cndmask_b32_e32 v6, v6, v3, vcc
	global_load_dwordx2 v[8:9], v[6:7], off
	s_load_dword s0, s[4:5], 0x8
	s_load_dwordx2 s[6:7], s[4:5], 0x48
	v_mov_b32_e32 v12, s15
	v_mov_b32_e32 v3, 0
	s_waitcnt lgkmcnt(0)
	s_cmp_eq_u32 s0, 1
	s_waitcnt vmcnt(1)
	v_sub_co_u32_e32 v6, vcc, v14, v1
	v_subb_co_u32_e32 v7, vcc, v15, v2, vcc
	v_add_co_u32_e32 v6, vcc, v6, v0
	v_addc_co_u32_e32 v7, vcc, 0, v7, vcc
	v_lshlrev_b64 v[10:11], 6, v[6:7]
	s_waitcnt vmcnt(0)
	v_sub_co_u32_e32 v8, vcc, v8, v1
	v_subb_co_u32_e32 v9, vcc, v9, v2, vcc
	v_cmp_lt_i64_e64 s[0:1], v[6:7], v[8:9]
	v_add_co_u32_e32 v10, vcc, s14, v10
	v_addc_co_u32_e32 v11, vcc, v12, v11, vcc
	s_cbranch_scc1 .LBB41_27
; %bb.16:
	v_mov_b32_e32 v12, 0
	v_mov_b32_e32 v26, 0
	;; [unrolled: 1-line block ×3, first 2 shown]
	s_and_saveexec_b64 s[8:9], s[0:1]
	s_cbranch_execz .LBB41_26
; %bb.17:
	v_or_b32_e32 v3, 8, v0
	v_sub_co_u32_e32 v3, vcc, v3, v1
	v_subb_co_u32_e32 v13, vcc, 0, v2, vcc
	v_add_co_u32_e32 v12, vcc, v3, v14
	v_addc_co_u32_e32 v13, vcc, v13, v15, vcc
	v_cmp_gt_i64_e32 vcc, v[12:13], v[8:9]
	v_not_b32_e32 v16, v14
	v_cndmask_b32_e32 v3, v9, v13, vcc
	v_cndmask_b32_e32 v12, v8, v12, vcc
	v_sub_co_u32_e32 v17, vcc, v1, v0
	v_subbrev_co_u32_e32 v18, vcc, 0, v2, vcc
	v_not_b32_e32 v13, v15
	v_add_co_u32_e32 v16, vcc, v17, v16
	v_addc_co_u32_e32 v13, vcc, v18, v13, vcc
	v_add_co_u32_e32 v20, vcc, v16, v12
	v_addc_co_u32_e32 v21, vcc, v13, v3, vcc
	v_and_b32_e32 v12, 24, v20
	v_mov_b32_e32 v13, 0
	v_cmp_ne_u64_e32 vcc, 24, v[12:13]
	v_mov_b32_e32 v17, v7
	v_mov_b32_e32 v19, v11
	;; [unrolled: 1-line block ×7, first 2 shown]
	s_and_saveexec_b64 s[10:11], vcc
	s_cbranch_execz .LBB41_21
; %bb.18:
	v_lshlrev_b64 v[12:13], 3, v[6:7]
	v_lshrrev_b32_e32 v3, 3, v20
	v_add_u32_e32 v3, 1, v3
	v_mov_b32_e32 v17, s13
	v_add_co_u32_e32 v22, vcc, s12, v12
	v_and_b32_e32 v16, 3, v3
	v_addc_co_u32_e32 v23, vcc, v17, v13, vcc
	v_sub_co_u32_e32 v24, vcc, 0, v16
	v_mov_b32_e32 v19, v11
	v_mov_b32_e32 v17, v7
	;; [unrolled: 1-line block ×3, first 2 shown]
	s_mov_b64 s[14:15], 0
	v_subb_co_u32_e64 v25, s[2:3], 0, 0, vcc
	s_movk_i32 s17, 0x200
	v_mov_b32_e32 v27, s7
	v_mov_b32_e32 v18, v10
	;; [unrolled: 1-line block ×6, first 2 shown]
.LBB41_19:                              ; =>This Inner Loop Header: Depth=1
	global_load_dwordx2 v[44:45], v[22:23], off
	global_load_dwordx4 v[28:31], v[18:19], off
	global_load_dwordx4 v[32:35], v[18:19], off offset:16
	global_load_dwordx4 v[36:39], v[18:19], off offset:32
	global_load_dwordx4 v[40:43], v[18:19], off offset:48
	v_add_co_u32_e64 v16, s[2:3], 8, v16
	v_addc_co_u32_e64 v17, s[2:3], 0, v17, s[2:3]
	v_add_co_u32_e64 v22, s[2:3], 64, v22
	v_addc_co_u32_e64 v23, s[2:3], 0, v23, s[2:3]
	;; [unrolled: 2-line block ×3, first 2 shown]
	v_cmp_eq_u64_e64 s[2:3], 0, v[24:25]
	s_or_b64 s[14:15], s[2:3], s[14:15]
	s_waitcnt vmcnt(4)
	v_sub_co_u32_e32 v44, vcc, v44, v1
	v_subb_co_u32_e32 v45, vcc, v45, v2, vcc
	v_lshlrev_b64 v[44:45], 4, v[44:45]
	v_add_co_u32_e32 v44, vcc, s6, v44
	v_addc_co_u32_e32 v45, vcc, v27, v45, vcc
	global_load_dwordx4 v[44:47], v[44:45], off
	v_add_co_u32_e32 v18, vcc, s17, v18
	v_addc_co_u32_e32 v19, vcc, 0, v19, vcc
	s_waitcnt vmcnt(0)
	v_fmac_f32_e32 v13, v28, v44
	v_fmac_f32_e32 v26, v32, v44
	;; [unrolled: 1-line block ×16, first 2 shown]
	s_andn2_b64 exec, exec, s[14:15]
	s_cbranch_execnz .LBB41_19
; %bb.20:
	s_or_b64 exec, exec, s[14:15]
.LBB41_21:
	s_or_b64 exec, exec, s[10:11]
	v_cmp_lt_u64_e32 vcc, 23, v[20:21]
	s_and_saveexec_b64 s[10:11], vcc
	s_cbranch_execz .LBB41_25
; %bb.22:
	v_lshlrev_b64 v[20:21], 3, v[16:17]
	v_mov_b32_e32 v22, s13
	v_add_co_u32_e32 v20, vcc, s12, v20
	v_addc_co_u32_e32 v21, vcc, v22, v21, vcc
	v_add_co_u32_e32 v20, vcc, 0x80, v20
	v_addc_co_u32_e32 v21, vcc, 0, v21, vcc
	s_mov_b64 s[14:15], 0
	v_mov_b32_e32 v22, s7
	s_movk_i32 s17, 0x800
.LBB41_23:                              ; =>This Inner Loop Header: Depth=1
	global_load_dwordx2 v[23:24], v[20:21], off offset:-128
	global_load_dwordx4 v[27:30], v[18:19], off offset:48
	global_load_dwordx4 v[31:34], v[18:19], off offset:32
	;; [unrolled: 1-line block ×3, first 2 shown]
	global_load_dwordx4 v[39:42], v[18:19], off
	s_waitcnt vmcnt(4)
	v_sub_co_u32_e32 v23, vcc, v23, v1
	v_subb_co_u32_e32 v24, vcc, v24, v2, vcc
	v_lshlrev_b64 v[23:24], 4, v[23:24]
	v_add_co_u32_e32 v23, vcc, s6, v23
	v_addc_co_u32_e32 v24, vcc, v22, v24, vcc
	global_load_dwordx4 v[43:46], v[23:24], off
	s_waitcnt vmcnt(0)
	v_fmac_f32_e32 v13, v39, v43
	global_load_dwordx2 v[23:24], v[20:21], off offset:-64
	v_fmac_f32_e32 v26, v35, v43
	v_fmac_f32_e32 v12, v31, v43
	;; [unrolled: 1-line block ×13, first 2 shown]
	global_load_dwordx4 v[35:38], v[18:19], off offset:512
	v_fmac_f32_e32 v12, v34, v46
	global_load_dwordx4 v[31:34], v[18:19], off offset:528
	v_fmac_f32_e32 v3, v30, v46
	global_load_dwordx4 v[27:30], v[18:19], off offset:544
	global_load_dwordx4 v[39:42], v[18:19], off offset:560
	s_waitcnt vmcnt(4)
	v_sub_co_u32_e32 v23, vcc, v23, v1
	v_subb_co_u32_e32 v24, vcc, v24, v2, vcc
	v_lshlrev_b64 v[23:24], 4, v[23:24]
	v_add_co_u32_e32 v23, vcc, s6, v23
	v_addc_co_u32_e32 v24, vcc, v22, v24, vcc
	global_load_dwordx4 v[43:46], v[23:24], off
	s_nop 0
	global_load_dwordx2 v[23:24], v[20:21], off
	global_load_dwordx2 v[47:48], v[20:21], off offset:64
	s_waitcnt vmcnt(1)
	v_sub_co_u32_e32 v23, vcc, v23, v1
	v_subb_co_u32_e32 v24, vcc, v24, v2, vcc
	v_lshlrev_b64 v[23:24], 4, v[23:24]
	v_fmac_f32_e32 v13, v35, v43
	v_fmac_f32_e32 v12, v27, v43
	;; [unrolled: 1-line block ×6, first 2 shown]
	v_add_co_u32_e32 v23, vcc, s6, v23
	v_fmac_f32_e32 v13, v37, v45
	v_fmac_f32_e32 v12, v29, v45
	;; [unrolled: 1-line block ×3, first 2 shown]
	v_addc_co_u32_e32 v24, vcc, v22, v24, vcc
	v_fmac_f32_e32 v13, v38, v46
	v_fmac_f32_e32 v12, v30, v46
	global_load_dwordx4 v[27:30], v[18:19], off offset:1040
	global_load_dwordx4 v[35:38], v[18:19], off offset:1024
	v_fmac_f32_e32 v3, v42, v46
	global_load_dwordx4 v[39:42], v[23:24], off
	v_fmac_f32_e32 v26, v31, v43
	v_fmac_f32_e32 v26, v32, v44
	;; [unrolled: 1-line block ×4, first 2 shown]
	global_load_dwordx4 v[31:34], v[18:19], off offset:1056
	s_waitcnt vmcnt(4)
	v_sub_co_u32_e32 v23, vcc, v47, v1
	v_subb_co_u32_e32 v24, vcc, v48, v2, vcc
	v_lshlrev_b64 v[23:24], 4, v[23:24]
	v_add_co_u32_e32 v23, vcc, s6, v23
	v_addc_co_u32_e32 v24, vcc, v22, v24, vcc
	s_waitcnt vmcnt(1)
	v_fmac_f32_e32 v13, v35, v39
	v_fmac_f32_e32 v13, v36, v40
	;; [unrolled: 1-line block ×4, first 2 shown]
	global_load_dwordx4 v[35:38], v[18:19], off offset:1072
	v_fmac_f32_e32 v26, v27, v39
	s_waitcnt vmcnt(1)
	v_fmac_f32_e32 v12, v31, v39
	v_fmac_f32_e32 v26, v28, v40
	;; [unrolled: 1-line block ×6, first 2 shown]
	global_load_dwordx4 v[27:30], v[18:19], off offset:1568
	v_fmac_f32_e32 v12, v34, v42
	global_load_dwordx4 v[31:34], v[18:19], off offset:1552
	s_waitcnt vmcnt(2)
	v_fmac_f32_e32 v3, v35, v39
	v_fmac_f32_e32 v3, v36, v40
	;; [unrolled: 1-line block ×4, first 2 shown]
	global_load_dwordx4 v[35:38], v[18:19], off offset:1536
	global_load_dwordx4 v[39:42], v[18:19], off offset:1584
	global_load_dwordx4 v[43:46], v[23:24], off
	v_add_co_u32_e32 v18, vcc, s17, v18
	s_mov_b64 s[2:3], vcc
	v_add_co_u32_e32 v16, vcc, 32, v16
	v_addc_co_u32_e32 v17, vcc, 0, v17, vcc
	v_addc_co_u32_e64 v19, s[2:3], 0, v19, s[2:3]
	v_cmp_ge_i64_e64 s[2:3], v[16:17], v[8:9]
	v_add_co_u32_e32 v20, vcc, 0x100, v20
	v_addc_co_u32_e32 v21, vcc, 0, v21, vcc
	s_or_b64 s[14:15], s[2:3], s[14:15]
	s_waitcnt vmcnt(0)
	v_fmac_f32_e32 v13, v35, v43
	v_fmac_f32_e32 v26, v31, v43
	;; [unrolled: 1-line block ×16, first 2 shown]
	s_andn2_b64 exec, exec, s[14:15]
	s_cbranch_execnz .LBB41_23
; %bb.24:
	s_or_b64 exec, exec, s[14:15]
.LBB41_25:
	s_or_b64 exec, exec, s[10:11]
.LBB41_26:
	s_or_b64 exec, exec, s[8:9]
	s_cbranch_execz .LBB41_28
	s_branch .LBB41_39
.LBB41_27:
                                        ; implicit-def: $vgpr3
                                        ; implicit-def: $vgpr12
                                        ; implicit-def: $vgpr26
                                        ; implicit-def: $vgpr13
.LBB41_28:
	v_mov_b32_e32 v3, 0
	v_mov_b32_e32 v12, 0
	;; [unrolled: 1-line block ×4, first 2 shown]
	s_and_saveexec_b64 s[2:3], s[0:1]
	s_cbranch_execz .LBB41_38
; %bb.29:
	v_or_b32_e32 v3, 8, v0
	v_sub_co_u32_e32 v3, vcc, v3, v1
	v_subb_co_u32_e32 v13, vcc, 0, v2, vcc
	v_add_co_u32_e32 v12, vcc, v3, v14
	v_addc_co_u32_e32 v13, vcc, v13, v15, vcc
	v_cmp_gt_i64_e32 vcc, v[12:13], v[8:9]
	v_not_b32_e32 v14, v14
	v_cndmask_b32_e32 v3, v9, v13, vcc
	v_cndmask_b32_e32 v12, v8, v12, vcc
	v_not_b32_e32 v13, v15
	v_sub_co_u32_e32 v15, vcc, v1, v0
	v_subbrev_co_u32_e32 v16, vcc, 0, v2, vcc
	v_add_co_u32_e32 v14, vcc, v15, v14
	v_addc_co_u32_e32 v13, vcc, v16, v13, vcc
	v_add_co_u32_e32 v14, vcc, v14, v12
	v_addc_co_u32_e32 v15, vcc, v13, v3, vcc
	v_and_b32_e32 v12, 24, v14
	v_mov_b32_e32 v13, 0
	v_cmp_ne_u64_e32 vcc, 24, v[12:13]
	v_mov_b32_e32 v26, v13
	v_mov_b32_e32 v12, v13
	;; [unrolled: 1-line block ×3, first 2 shown]
	s_and_saveexec_b64 s[8:9], vcc
	s_cbranch_execz .LBB41_33
; %bb.30:
	v_lshlrev_b64 v[12:13], 3, v[6:7]
	v_lshrrev_b32_e32 v3, 3, v14
	v_add_u32_e32 v3, 1, v3
	v_mov_b32_e32 v17, s13
	v_add_co_u32_e32 v16, vcc, s12, v12
	v_and_b32_e32 v18, 3, v3
	v_addc_co_u32_e32 v17, vcc, v17, v13, vcc
	v_sub_co_u32_e32 v18, vcc, 0, v18
	v_mov_b32_e32 v3, 0
	s_mov_b64 s[10:11], 0
	v_subb_co_u32_e64 v19, s[0:1], 0, 0, vcc
	s_movk_i32 s14, 0x200
	v_mov_b32_e32 v20, s7
	v_mov_b32_e32 v12, 0
	;; [unrolled: 1-line block ×4, first 2 shown]
.LBB41_31:                              ; =>This Inner Loop Header: Depth=1
	global_load_dwordx2 v[35:36], v[16:17], off
	global_load_dwordx4 v[21:24], v[10:11], off offset:32
	global_load_dwordx4 v[27:30], v[10:11], off offset:16
	global_load_dwordx4 v[31:34], v[10:11], off
	v_add_co_u32_e64 v6, s[0:1], 8, v6
	v_addc_co_u32_e64 v7, s[0:1], 0, v7, s[0:1]
	v_add_co_u32_e64 v16, s[0:1], 64, v16
	v_addc_co_u32_e64 v17, s[0:1], 0, v17, s[0:1]
	;; [unrolled: 2-line block ×3, first 2 shown]
	v_cmp_eq_u64_e64 s[0:1], 0, v[18:19]
	s_or_b64 s[10:11], s[0:1], s[10:11]
	s_waitcnt vmcnt(3)
	v_sub_co_u32_e32 v35, vcc, v35, v1
	v_subb_co_u32_e32 v36, vcc, v36, v2, vcc
	v_lshlrev_b64 v[35:36], 4, v[35:36]
	v_add_co_u32_e32 v43, vcc, s6, v35
	v_addc_co_u32_e32 v44, vcc, v20, v36, vcc
	global_load_dwordx4 v[35:38], v[43:44], off
	global_load_dwordx4 v[39:42], v[10:11], off offset:48
	v_add_co_u32_e32 v10, vcc, s14, v10
	v_addc_co_u32_e32 v11, vcc, 0, v11, vcc
	s_waitcnt vmcnt(1)
	v_fmac_f32_e32 v13, v31, v35
	v_fmac_f32_e32 v26, v32, v35
	;; [unrolled: 1-line block ×12, first 2 shown]
	s_waitcnt vmcnt(0)
	v_fmac_f32_e32 v13, v39, v38
	v_fmac_f32_e32 v26, v40, v38
	;; [unrolled: 1-line block ×4, first 2 shown]
	s_andn2_b64 exec, exec, s[10:11]
	s_cbranch_execnz .LBB41_31
; %bb.32:
	s_or_b64 exec, exec, s[10:11]
.LBB41_33:
	s_or_b64 exec, exec, s[8:9]
	v_cmp_lt_u64_e32 vcc, 23, v[14:15]
	s_and_saveexec_b64 s[8:9], vcc
	s_cbranch_execz .LBB41_37
; %bb.34:
	v_lshlrev_b64 v[14:15], 3, v[6:7]
	v_mov_b32_e32 v16, s13
	v_add_co_u32_e32 v14, vcc, s12, v14
	v_addc_co_u32_e32 v15, vcc, v16, v15, vcc
	v_add_co_u32_e32 v14, vcc, 0x80, v14
	v_addc_co_u32_e32 v15, vcc, 0, v15, vcc
	s_mov_b64 s[10:11], 0
	v_mov_b32_e32 v16, s7
	s_movk_i32 s7, 0x800
.LBB41_35:                              ; =>This Inner Loop Header: Depth=1
	global_load_dwordx2 v[51:52], v[14:15], off offset:-128
	global_load_dwordx2 v[53:54], v[14:15], off offset:-64
	global_load_dwordx4 v[17:20], v[10:11], off offset:48
	global_load_dwordx4 v[21:24], v[10:11], off offset:32
	;; [unrolled: 1-line block ×3, first 2 shown]
	global_load_dwordx4 v[31:34], v[10:11], off
	global_load_dwordx2 v[59:60], v[14:15], off
	global_load_dwordx2 v[61:62], v[14:15], off offset:64
	global_load_dwordx4 v[35:38], v[10:11], off offset:512
	global_load_dwordx4 v[39:42], v[10:11], off offset:528
	;; [unrolled: 1-line block ×4, first 2 shown]
	v_add_co_u32_e64 v6, s[0:1], 32, v6
	v_addc_co_u32_e64 v7, s[0:1], 0, v7, s[0:1]
	v_cmp_ge_i64_e64 s[0:1], v[6:7], v[8:9]
	s_or_b64 s[10:11], s[0:1], s[10:11]
	s_waitcnt vmcnt(11)
	v_sub_co_u32_e32 v51, vcc, v51, v1
	v_subb_co_u32_e32 v52, vcc, v52, v2, vcc
	s_waitcnt vmcnt(10)
	v_sub_co_u32_e32 v53, vcc, v53, v1
	v_lshlrev_b64 v[51:52], 4, v[51:52]
	v_subb_co_u32_e32 v54, vcc, v54, v2, vcc
	v_lshlrev_b64 v[53:54], 4, v[53:54]
	v_add_co_u32_e32 v51, vcc, s6, v51
	v_addc_co_u32_e32 v52, vcc, v16, v52, vcc
	v_add_co_u32_e32 v55, vcc, s6, v53
	v_addc_co_u32_e32 v56, vcc, v16, v54, vcc
	global_load_dwordx4 v[51:54], v[51:52], off
	s_nop 0
	global_load_dwordx4 v[55:58], v[55:56], off
	s_waitcnt vmcnt(1)
	v_fmac_f32_e32 v13, v31, v51
	v_fmac_f32_e32 v26, v32, v51
	;; [unrolled: 1-line block ×4, first 2 shown]
	v_sub_co_u32_e32 v51, vcc, v59, v1
	v_fmac_f32_e32 v13, v27, v52
	v_fmac_f32_e32 v26, v28, v52
	v_fmac_f32_e32 v12, v29, v52
	v_fmac_f32_e32 v3, v30, v52
	v_subb_co_u32_e32 v52, vcc, v60, v2, vcc
	v_fmac_f32_e32 v13, v21, v53
	v_fmac_f32_e32 v26, v22, v53
	;; [unrolled: 1-line block ×4, first 2 shown]
	v_sub_co_u32_e32 v53, vcc, v61, v1
	v_lshlrev_b64 v[51:52], 4, v[51:52]
	v_fmac_f32_e32 v13, v17, v54
	v_fmac_f32_e32 v26, v18, v54
	;; [unrolled: 1-line block ×4, first 2 shown]
	v_subb_co_u32_e32 v54, vcc, v62, v2, vcc
	v_lshlrev_b64 v[53:54], 4, v[53:54]
	v_add_co_u32_e32 v63, vcc, s6, v51
	v_addc_co_u32_e32 v64, vcc, v16, v52, vcc
	s_waitcnt vmcnt(0)
	v_fmac_f32_e32 v13, v35, v55
	v_fmac_f32_e32 v26, v36, v55
	;; [unrolled: 1-line block ×4, first 2 shown]
	global_load_dwordx4 v[21:24], v[10:11], off offset:1040
	global_load_dwordx4 v[17:20], v[10:11], off offset:1024
	v_add_co_u32_e32 v65, vcc, s6, v53
	v_fmac_f32_e32 v13, v39, v56
	v_fmac_f32_e32 v26, v40, v56
	;; [unrolled: 1-line block ×4, first 2 shown]
	global_load_dwordx4 v[31:34], v[10:11], off offset:1072
	global_load_dwordx4 v[27:30], v[10:11], off offset:1056
	v_addc_co_u32_e32 v66, vcc, v16, v54, vcc
	global_load_dwordx4 v[51:54], v[10:11], off offset:1536
	global_load_dwordx4 v[35:38], v[10:11], off offset:1552
	;; [unrolled: 1-line block ×3, first 2 shown]
	v_fmac_f32_e32 v13, v43, v57
	v_fmac_f32_e32 v26, v44, v57
	;; [unrolled: 1-line block ×4, first 2 shown]
	global_load_dwordx4 v[43:46], v[63:64], off
	global_load_dwordx4 v[59:62], v[65:66], off
	v_fmac_f32_e32 v13, v47, v58
	v_fmac_f32_e32 v26, v48, v58
	;; [unrolled: 1-line block ×4, first 2 shown]
	global_load_dwordx4 v[47:50], v[10:11], off offset:1584
	v_add_co_u32_e32 v10, vcc, s7, v10
	v_addc_co_u32_e32 v11, vcc, 0, v11, vcc
	v_add_co_u32_e32 v14, vcc, 0x100, v14
	v_addc_co_u32_e32 v15, vcc, 0, v15, vcc
	s_waitcnt vmcnt(2)
	v_fmac_f32_e32 v13, v17, v43
	v_fmac_f32_e32 v26, v18, v43
	;; [unrolled: 1-line block ×16, first 2 shown]
	s_waitcnt vmcnt(1)
	v_fmac_f32_e32 v13, v51, v59
	v_fmac_f32_e32 v26, v52, v59
	;; [unrolled: 1-line block ×12, first 2 shown]
	s_waitcnt vmcnt(0)
	v_fmac_f32_e32 v13, v47, v62
	v_fmac_f32_e32 v26, v48, v62
	;; [unrolled: 1-line block ×4, first 2 shown]
	s_andn2_b64 exec, exec, s[10:11]
	s_cbranch_execnz .LBB41_35
; %bb.36:
	s_or_b64 exec, exec, s[10:11]
.LBB41_37:
	s_or_b64 exec, exec, s[8:9]
.LBB41_38:
	s_or_b64 exec, exec, s[2:3]
.LBB41_39:
	v_mov_b32_dpp v1, v13 row_shr:1 row_mask:0xf bank_mask:0xf
	v_mov_b32_dpp v6, v26 row_shr:1 row_mask:0xf bank_mask:0xf
	v_mov_b32_dpp v8, v12 row_shr:1 row_mask:0xf bank_mask:0xf
	v_mov_b32_dpp v10, v3 row_shr:1 row_mask:0xf bank_mask:0xf
	v_add_f32_e32 v1, v13, v1
	v_add_f32_e32 v6, v26, v6
	;; [unrolled: 1-line block ×4, first 2 shown]
	v_mov_b32_dpp v2, v1 row_shr:2 row_mask:0xf bank_mask:0xf
	v_mov_b32_dpp v7, v6 row_shr:2 row_mask:0xf bank_mask:0xf
	;; [unrolled: 1-line block ×4, first 2 shown]
	v_add_f32_e32 v1, v1, v2
	v_add_f32_e32 v6, v6, v7
	;; [unrolled: 1-line block ×4, first 2 shown]
	v_mov_b32_dpp v2, v1 row_shr:4 row_mask:0xf bank_mask:0xe
	v_mov_b32_dpp v7, v6 row_shr:4 row_mask:0xf bank_mask:0xe
	;; [unrolled: 1-line block ×4, first 2 shown]
	v_cmp_eq_u32_e32 vcc, 7, v0
	s_and_b64 exec, exec, vcc
	s_cbranch_execz .LBB41_10
; %bb.40:
	s_load_dwordx2 s[0:1], s[4:5], 0x58
	v_add_f32_e32 v0, v1, v2
	v_add_f32_e32 v1, v6, v7
	;; [unrolled: 1-line block ×4, first 2 shown]
	v_cmp_eq_f32_e64 s[2:3], s20, 0
	v_lshlrev_b64 v[4:5], 4, v[4:5]
	s_and_b64 vcc, exec, s[2:3]
	v_mul_f32_e32 v0, s16, v0
	v_mul_f32_e32 v1, s16, v1
	;; [unrolled: 1-line block ×4, first 2 shown]
	s_cbranch_vccz .LBB41_42
; %bb.41:
	s_waitcnt lgkmcnt(0)
	v_mov_b32_e32 v7, s1
	v_add_co_u32_e32 v6, vcc, s0, v4
	v_addc_co_u32_e32 v7, vcc, v7, v5, vcc
	global_store_dwordx4 v[6:7], v[0:3], off
	s_cbranch_execnz .LBB41_10
	s_branch .LBB41_43
.LBB41_42:
.LBB41_43:
	s_waitcnt lgkmcnt(0)
	v_mov_b32_e32 v6, s1
	v_add_co_u32_e32 v8, vcc, s0, v4
	v_addc_co_u32_e32 v9, vcc, v6, v5, vcc
	global_load_dwordx4 v[4:7], v[8:9], off
	s_waitcnt vmcnt(0)
	v_fmac_f32_e32 v0, s20, v4
	v_fmac_f32_e32 v1, s20, v5
	;; [unrolled: 1-line block ×4, first 2 shown]
	global_store_dwordx4 v[8:9], v[0:3], off
	s_endpgm
	.section	.rodata,"a",@progbits
	.p2align	6, 0x0
	.amdhsa_kernel _ZN9rocsparseL18bsrxmvn_4x4_kernelILj128ELj8EfllfffEEvT3_20rocsparse_direction_NS_24const_host_device_scalarIT1_EES1_PKS1_PKT2_SA_S7_PKT4_PKT5_S5_PT6_21rocsparse_index_base_b
		.amdhsa_group_segment_fixed_size 0
		.amdhsa_private_segment_fixed_size 0
		.amdhsa_kernarg_size 104
		.amdhsa_user_sgpr_count 6
		.amdhsa_user_sgpr_private_segment_buffer 1
		.amdhsa_user_sgpr_dispatch_ptr 0
		.amdhsa_user_sgpr_queue_ptr 0
		.amdhsa_user_sgpr_kernarg_segment_ptr 1
		.amdhsa_user_sgpr_dispatch_id 0
		.amdhsa_user_sgpr_flat_scratch_init 0
		.amdhsa_user_sgpr_private_segment_size 0
		.amdhsa_uses_dynamic_stack 0
		.amdhsa_system_sgpr_private_segment_wavefront_offset 0
		.amdhsa_system_sgpr_workgroup_id_x 1
		.amdhsa_system_sgpr_workgroup_id_y 0
		.amdhsa_system_sgpr_workgroup_id_z 0
		.amdhsa_system_sgpr_workgroup_info 0
		.amdhsa_system_vgpr_workitem_id 0
		.amdhsa_next_free_vgpr 67
		.amdhsa_next_free_sgpr 22
		.amdhsa_reserve_vcc 1
		.amdhsa_reserve_flat_scratch 0
		.amdhsa_float_round_mode_32 0
		.amdhsa_float_round_mode_16_64 0
		.amdhsa_float_denorm_mode_32 3
		.amdhsa_float_denorm_mode_16_64 3
		.amdhsa_dx10_clamp 1
		.amdhsa_ieee_mode 1
		.amdhsa_fp16_overflow 0
		.amdhsa_exception_fp_ieee_invalid_op 0
		.amdhsa_exception_fp_denorm_src 0
		.amdhsa_exception_fp_ieee_div_zero 0
		.amdhsa_exception_fp_ieee_overflow 0
		.amdhsa_exception_fp_ieee_underflow 0
		.amdhsa_exception_fp_ieee_inexact 0
		.amdhsa_exception_int_div_zero 0
	.end_amdhsa_kernel
	.section	.text._ZN9rocsparseL18bsrxmvn_4x4_kernelILj128ELj8EfllfffEEvT3_20rocsparse_direction_NS_24const_host_device_scalarIT1_EES1_PKS1_PKT2_SA_S7_PKT4_PKT5_S5_PT6_21rocsparse_index_base_b,"axG",@progbits,_ZN9rocsparseL18bsrxmvn_4x4_kernelILj128ELj8EfllfffEEvT3_20rocsparse_direction_NS_24const_host_device_scalarIT1_EES1_PKS1_PKT2_SA_S7_PKT4_PKT5_S5_PT6_21rocsparse_index_base_b,comdat
.Lfunc_end41:
	.size	_ZN9rocsparseL18bsrxmvn_4x4_kernelILj128ELj8EfllfffEEvT3_20rocsparse_direction_NS_24const_host_device_scalarIT1_EES1_PKS1_PKT2_SA_S7_PKT4_PKT5_S5_PT6_21rocsparse_index_base_b, .Lfunc_end41-_ZN9rocsparseL18bsrxmvn_4x4_kernelILj128ELj8EfllfffEEvT3_20rocsparse_direction_NS_24const_host_device_scalarIT1_EES1_PKS1_PKT2_SA_S7_PKT4_PKT5_S5_PT6_21rocsparse_index_base_b
                                        ; -- End function
	.set _ZN9rocsparseL18bsrxmvn_4x4_kernelILj128ELj8EfllfffEEvT3_20rocsparse_direction_NS_24const_host_device_scalarIT1_EES1_PKS1_PKT2_SA_S7_PKT4_PKT5_S5_PT6_21rocsparse_index_base_b.num_vgpr, 67
	.set _ZN9rocsparseL18bsrxmvn_4x4_kernelILj128ELj8EfllfffEEvT3_20rocsparse_direction_NS_24const_host_device_scalarIT1_EES1_PKS1_PKT2_SA_S7_PKT4_PKT5_S5_PT6_21rocsparse_index_base_b.num_agpr, 0
	.set _ZN9rocsparseL18bsrxmvn_4x4_kernelILj128ELj8EfllfffEEvT3_20rocsparse_direction_NS_24const_host_device_scalarIT1_EES1_PKS1_PKT2_SA_S7_PKT4_PKT5_S5_PT6_21rocsparse_index_base_b.numbered_sgpr, 22
	.set _ZN9rocsparseL18bsrxmvn_4x4_kernelILj128ELj8EfllfffEEvT3_20rocsparse_direction_NS_24const_host_device_scalarIT1_EES1_PKS1_PKT2_SA_S7_PKT4_PKT5_S5_PT6_21rocsparse_index_base_b.num_named_barrier, 0
	.set _ZN9rocsparseL18bsrxmvn_4x4_kernelILj128ELj8EfllfffEEvT3_20rocsparse_direction_NS_24const_host_device_scalarIT1_EES1_PKS1_PKT2_SA_S7_PKT4_PKT5_S5_PT6_21rocsparse_index_base_b.private_seg_size, 0
	.set _ZN9rocsparseL18bsrxmvn_4x4_kernelILj128ELj8EfllfffEEvT3_20rocsparse_direction_NS_24const_host_device_scalarIT1_EES1_PKS1_PKT2_SA_S7_PKT4_PKT5_S5_PT6_21rocsparse_index_base_b.uses_vcc, 1
	.set _ZN9rocsparseL18bsrxmvn_4x4_kernelILj128ELj8EfllfffEEvT3_20rocsparse_direction_NS_24const_host_device_scalarIT1_EES1_PKS1_PKT2_SA_S7_PKT4_PKT5_S5_PT6_21rocsparse_index_base_b.uses_flat_scratch, 0
	.set _ZN9rocsparseL18bsrxmvn_4x4_kernelILj128ELj8EfllfffEEvT3_20rocsparse_direction_NS_24const_host_device_scalarIT1_EES1_PKS1_PKT2_SA_S7_PKT4_PKT5_S5_PT6_21rocsparse_index_base_b.has_dyn_sized_stack, 0
	.set _ZN9rocsparseL18bsrxmvn_4x4_kernelILj128ELj8EfllfffEEvT3_20rocsparse_direction_NS_24const_host_device_scalarIT1_EES1_PKS1_PKT2_SA_S7_PKT4_PKT5_S5_PT6_21rocsparse_index_base_b.has_recursion, 0
	.set _ZN9rocsparseL18bsrxmvn_4x4_kernelILj128ELj8EfllfffEEvT3_20rocsparse_direction_NS_24const_host_device_scalarIT1_EES1_PKS1_PKT2_SA_S7_PKT4_PKT5_S5_PT6_21rocsparse_index_base_b.has_indirect_call, 0
	.section	.AMDGPU.csdata,"",@progbits
; Kernel info:
; codeLenInByte = 3052
; TotalNumSgprs: 26
; NumVgprs: 67
; ScratchSize: 0
; MemoryBound: 0
; FloatMode: 240
; IeeeMode: 1
; LDSByteSize: 0 bytes/workgroup (compile time only)
; SGPRBlocks: 3
; VGPRBlocks: 16
; NumSGPRsForWavesPerEU: 26
; NumVGPRsForWavesPerEU: 67
; Occupancy: 3
; WaveLimiterHint : 1
; COMPUTE_PGM_RSRC2:SCRATCH_EN: 0
; COMPUTE_PGM_RSRC2:USER_SGPR: 6
; COMPUTE_PGM_RSRC2:TRAP_HANDLER: 0
; COMPUTE_PGM_RSRC2:TGID_X_EN: 1
; COMPUTE_PGM_RSRC2:TGID_Y_EN: 0
; COMPUTE_PGM_RSRC2:TGID_Z_EN: 0
; COMPUTE_PGM_RSRC2:TIDIG_COMP_CNT: 0
	.section	.text._ZN9rocsparseL18bsrxmvn_4x4_kernelILj128ELj16EfllfffEEvT3_20rocsparse_direction_NS_24const_host_device_scalarIT1_EES1_PKS1_PKT2_SA_S7_PKT4_PKT5_S5_PT6_21rocsparse_index_base_b,"axG",@progbits,_ZN9rocsparseL18bsrxmvn_4x4_kernelILj128ELj16EfllfffEEvT3_20rocsparse_direction_NS_24const_host_device_scalarIT1_EES1_PKS1_PKT2_SA_S7_PKT4_PKT5_S5_PT6_21rocsparse_index_base_b,comdat
	.globl	_ZN9rocsparseL18bsrxmvn_4x4_kernelILj128ELj16EfllfffEEvT3_20rocsparse_direction_NS_24const_host_device_scalarIT1_EES1_PKS1_PKT2_SA_S7_PKT4_PKT5_S5_PT6_21rocsparse_index_base_b ; -- Begin function _ZN9rocsparseL18bsrxmvn_4x4_kernelILj128ELj16EfllfffEEvT3_20rocsparse_direction_NS_24const_host_device_scalarIT1_EES1_PKS1_PKT2_SA_S7_PKT4_PKT5_S5_PT6_21rocsparse_index_base_b
	.p2align	8
	.type	_ZN9rocsparseL18bsrxmvn_4x4_kernelILj128ELj16EfllfffEEvT3_20rocsparse_direction_NS_24const_host_device_scalarIT1_EES1_PKS1_PKT2_SA_S7_PKT4_PKT5_S5_PT6_21rocsparse_index_base_b,@function
_ZN9rocsparseL18bsrxmvn_4x4_kernelILj128ELj16EfllfffEEvT3_20rocsparse_direction_NS_24const_host_device_scalarIT1_EES1_PKS1_PKT2_SA_S7_PKT4_PKT5_S5_PT6_21rocsparse_index_base_b: ; @_ZN9rocsparseL18bsrxmvn_4x4_kernelILj128ELj16EfllfffEEvT3_20rocsparse_direction_NS_24const_host_device_scalarIT1_EES1_PKS1_PKT2_SA_S7_PKT4_PKT5_S5_PT6_21rocsparse_index_base_b
; %bb.0:
	s_load_dwordx2 s[0:1], s[4:5], 0x60
	s_load_dwordx4 s[16:19], s[4:5], 0x10
	s_load_dwordx2 s[20:21], s[4:5], 0x50
	s_waitcnt lgkmcnt(0)
	s_bitcmp1_b32 s1, 0
	s_cselect_b64 s[8:9], -1, 0
	s_xor_b64 s[2:3], s[8:9], -1
	s_and_b64 vcc, exec, s[8:9]
	s_cbranch_vccnz .LBB42_2
; %bb.1:
	s_load_dword s16, s[16:17], 0x0
.LBB42_2:
	s_andn2_b64 vcc, exec, s[2:3]
	s_cbranch_vccnz .LBB42_4
; %bb.3:
	s_load_dword s20, s[20:21], 0x0
.LBB42_4:
	s_waitcnt lgkmcnt(0)
	v_cmp_neq_f32_e64 s[2:3], s16, 0
	v_cmp_neq_f32_e64 s[8:9], s20, 1.0
	s_or_b64 s[2:3], s[2:3], s[8:9]
	s_andn2_b64 vcc, exec, s[2:3]
	s_cbranch_vccnz .LBB42_10
; %bb.5:
	s_load_dwordx2 s[8:9], s[4:5], 0x20
	v_lshrrev_b32_e32 v1, 4, v0
	v_lshl_or_b32 v6, s6, 3, v1
	v_mov_b32_e32 v7, 0
	s_mov_b64 s[2:3], 0
	s_waitcnt lgkmcnt(0)
	s_cmp_lg_u64 s[8:9], 0
	s_cbranch_scc0 .LBB42_11
; %bb.6:
	v_cmp_gt_i64_e32 vcc, s[18:19], v[6:7]
                                        ; implicit-def: $vgpr4_vgpr5
                                        ; implicit-def: $vgpr1_vgpr2
	s_and_saveexec_b64 s[6:7], vcc
	s_xor_b64 s[6:7], exec, s[6:7]
	s_cbranch_execz .LBB42_8
; %bb.7:
	v_lshlrev_b64 v[1:2], 3, v[6:7]
	v_mov_b32_e32 v3, s9
	v_add_co_u32_e32 v1, vcc, s8, v1
	v_addc_co_u32_e32 v2, vcc, v3, v2, vcc
	global_load_dwordx2 v[1:2], v[1:2], off
	s_mov_b32 s1, 0
	s_mov_b64 s[2:3], exec
	s_waitcnt vmcnt(0)
	v_subrev_co_u32_e32 v4, vcc, s0, v1
	v_subbrev_co_u32_e32 v5, vcc, 0, v2, vcc
	v_mov_b32_e32 v2, s1
	v_mov_b32_e32 v1, s0
.LBB42_8:
	s_or_b64 exec, exec, s[6:7]
.LBB42_9:
	s_and_saveexec_b64 s[0:1], s[2:3]
	s_cbranch_execnz .LBB42_15
.LBB42_10:
	s_endpgm
.LBB42_11:
                                        ; implicit-def: $vgpr4_vgpr5
                                        ; implicit-def: $vgpr1_vgpr2
	s_cbranch_execz .LBB42_9
; %bb.12:
	s_load_dwordx2 s[6:7], s[4:5], 0x0
	s_waitcnt lgkmcnt(0)
	v_cmp_gt_i64_e32 vcc, s[6:7], v[6:7]
	s_and_saveexec_b64 s[6:7], vcc
; %bb.13:
	s_mov_b32 s1, 0
	s_or_b64 s[2:3], s[2:3], exec
; %bb.14:
	s_or_b64 exec, exec, s[6:7]
	v_mov_b32_e32 v2, s1
	v_mov_b32_e32 v4, v6
	;; [unrolled: 1-line block ×4, first 2 shown]
	s_and_saveexec_b64 s[0:1], s[2:3]
	s_cbranch_execz .LBB42_10
.LBB42_15:
	s_load_dwordx8 s[8:15], s[4:5], 0x28
	v_lshlrev_b64 v[6:7], 3, v[4:5]
	v_and_b32_e32 v0, 15, v0
	s_waitcnt lgkmcnt(0)
	v_mov_b32_e32 v3, s9
	v_add_co_u32_e32 v8, vcc, s8, v6
	v_addc_co_u32_e32 v9, vcc, v3, v7, vcc
	v_add_co_u32_e32 v3, vcc, 8, v8
	global_load_dwordx2 v[14:15], v[8:9], off
	v_addc_co_u32_e32 v8, vcc, 0, v9, vcc
	v_mov_b32_e32 v9, s11
	v_add_co_u32_e32 v6, vcc, s10, v6
	s_cmp_eq_u64 s[10:11], 0
	v_addc_co_u32_e32 v7, vcc, v9, v7, vcc
	s_cselect_b64 vcc, -1, 0
	v_cndmask_b32_e32 v7, v7, v8, vcc
	v_cndmask_b32_e32 v6, v6, v3, vcc
	global_load_dwordx2 v[8:9], v[6:7], off
	s_load_dword s0, s[4:5], 0x8
	s_load_dwordx2 s[6:7], s[4:5], 0x48
	v_mov_b32_e32 v12, s15
	v_mov_b32_e32 v3, 0
	s_waitcnt lgkmcnt(0)
	s_cmp_eq_u32 s0, 1
	s_waitcnt vmcnt(1)
	v_sub_co_u32_e32 v6, vcc, v14, v1
	v_subb_co_u32_e32 v7, vcc, v15, v2, vcc
	v_add_co_u32_e32 v6, vcc, v6, v0
	v_addc_co_u32_e32 v7, vcc, 0, v7, vcc
	v_lshlrev_b64 v[10:11], 6, v[6:7]
	s_waitcnt vmcnt(0)
	v_sub_co_u32_e32 v8, vcc, v8, v1
	v_subb_co_u32_e32 v9, vcc, v9, v2, vcc
	v_cmp_lt_i64_e64 s[0:1], v[6:7], v[8:9]
	v_add_co_u32_e32 v10, vcc, s14, v10
	v_addc_co_u32_e32 v11, vcc, v12, v11, vcc
	s_cbranch_scc1 .LBB42_27
; %bb.16:
	v_mov_b32_e32 v12, 0
	v_mov_b32_e32 v26, 0
	;; [unrolled: 1-line block ×3, first 2 shown]
	s_and_saveexec_b64 s[8:9], s[0:1]
	s_cbranch_execz .LBB42_26
; %bb.17:
	v_or_b32_e32 v3, 16, v0
	v_sub_co_u32_e32 v3, vcc, v3, v1
	v_subb_co_u32_e32 v13, vcc, 0, v2, vcc
	v_add_co_u32_e32 v12, vcc, v3, v14
	v_addc_co_u32_e32 v13, vcc, v13, v15, vcc
	v_cmp_gt_i64_e32 vcc, v[12:13], v[8:9]
	v_not_b32_e32 v16, v14
	v_cndmask_b32_e32 v3, v9, v13, vcc
	v_cndmask_b32_e32 v12, v8, v12, vcc
	v_sub_co_u32_e32 v17, vcc, v1, v0
	v_subbrev_co_u32_e32 v18, vcc, 0, v2, vcc
	v_not_b32_e32 v13, v15
	v_add_co_u32_e32 v16, vcc, v17, v16
	v_addc_co_u32_e32 v13, vcc, v18, v13, vcc
	v_add_co_u32_e32 v20, vcc, v16, v12
	v_addc_co_u32_e32 v21, vcc, v13, v3, vcc
	v_and_b32_e32 v12, 48, v20
	v_mov_b32_e32 v13, 0
	v_cmp_ne_u64_e32 vcc, 48, v[12:13]
	v_mov_b32_e32 v17, v7
	v_mov_b32_e32 v19, v11
	;; [unrolled: 1-line block ×7, first 2 shown]
	s_and_saveexec_b64 s[10:11], vcc
	s_cbranch_execz .LBB42_21
; %bb.18:
	v_lshlrev_b64 v[12:13], 3, v[6:7]
	v_lshrrev_b32_e32 v3, 4, v20
	v_add_u32_e32 v3, 1, v3
	v_mov_b32_e32 v17, s13
	v_add_co_u32_e32 v22, vcc, s12, v12
	v_and_b32_e32 v16, 3, v3
	v_addc_co_u32_e32 v23, vcc, v17, v13, vcc
	v_sub_co_u32_e32 v24, vcc, 0, v16
	v_mov_b32_e32 v19, v11
	v_mov_b32_e32 v17, v7
	;; [unrolled: 1-line block ×3, first 2 shown]
	s_mov_b64 s[14:15], 0
	v_subb_co_u32_e64 v25, s[2:3], 0, 0, vcc
	s_movk_i32 s17, 0x400
	v_mov_b32_e32 v27, s7
	v_mov_b32_e32 v18, v10
	;; [unrolled: 1-line block ×6, first 2 shown]
.LBB42_19:                              ; =>This Inner Loop Header: Depth=1
	global_load_dwordx2 v[44:45], v[22:23], off
	global_load_dwordx4 v[28:31], v[18:19], off
	global_load_dwordx4 v[32:35], v[18:19], off offset:16
	global_load_dwordx4 v[36:39], v[18:19], off offset:32
	;; [unrolled: 1-line block ×3, first 2 shown]
	v_add_co_u32_e64 v16, s[2:3], 16, v16
	v_addc_co_u32_e64 v17, s[2:3], 0, v17, s[2:3]
	v_add_co_u32_e64 v24, s[2:3], 1, v24
	v_addc_co_u32_e64 v25, s[2:3], 0, v25, s[2:3]
	v_cmp_eq_u64_e64 s[2:3], 0, v[24:25]
	s_or_b64 s[14:15], s[2:3], s[14:15]
	s_waitcnt vmcnt(4)
	v_sub_co_u32_e32 v44, vcc, v44, v1
	v_subb_co_u32_e32 v45, vcc, v45, v2, vcc
	v_lshlrev_b64 v[44:45], 4, v[44:45]
	v_add_co_u32_e32 v44, vcc, s6, v44
	v_addc_co_u32_e32 v45, vcc, v27, v45, vcc
	global_load_dwordx4 v[44:47], v[44:45], off
	v_add_co_u32_e32 v18, vcc, s17, v18
	v_addc_co_u32_e32 v19, vcc, 0, v19, vcc
	v_add_co_u32_e32 v22, vcc, 0x80, v22
	v_addc_co_u32_e32 v23, vcc, 0, v23, vcc
	s_waitcnt vmcnt(0)
	v_fmac_f32_e32 v13, v28, v44
	v_fmac_f32_e32 v26, v32, v44
	;; [unrolled: 1-line block ×16, first 2 shown]
	s_andn2_b64 exec, exec, s[14:15]
	s_cbranch_execnz .LBB42_19
; %bb.20:
	s_or_b64 exec, exec, s[14:15]
.LBB42_21:
	s_or_b64 exec, exec, s[10:11]
	v_cmp_lt_u64_e32 vcc, 47, v[20:21]
	s_and_saveexec_b64 s[10:11], vcc
	s_cbranch_execz .LBB42_25
; %bb.22:
	v_lshlrev_b64 v[20:21], 3, v[16:17]
	v_mov_b32_e32 v22, s13
	v_add_co_u32_e32 v20, vcc, s12, v20
	v_addc_co_u32_e32 v21, vcc, v22, v21, vcc
	v_add_co_u32_e32 v20, vcc, 0x100, v20
	v_addc_co_u32_e32 v21, vcc, 0, v21, vcc
	s_mov_b64 s[14:15], 0
	v_mov_b32_e32 v22, s7
	s_movk_i32 s17, 0x1000
.LBB42_23:                              ; =>This Inner Loop Header: Depth=1
	global_load_dwordx2 v[23:24], v[20:21], off offset:-256
	global_load_dwordx4 v[27:30], v[18:19], off offset:48
	global_load_dwordx4 v[31:34], v[18:19], off offset:32
	;; [unrolled: 1-line block ×3, first 2 shown]
	global_load_dwordx4 v[39:42], v[18:19], off
	s_waitcnt vmcnt(4)
	v_sub_co_u32_e32 v23, vcc, v23, v1
	v_subb_co_u32_e32 v24, vcc, v24, v2, vcc
	v_lshlrev_b64 v[23:24], 4, v[23:24]
	v_add_co_u32_e32 v23, vcc, s6, v23
	v_addc_co_u32_e32 v24, vcc, v22, v24, vcc
	global_load_dwordx4 v[43:46], v[23:24], off
	s_waitcnt vmcnt(0)
	v_fmac_f32_e32 v13, v39, v43
	global_load_dwordx2 v[23:24], v[20:21], off offset:-128
	v_fmac_f32_e32 v26, v35, v43
	v_fmac_f32_e32 v12, v31, v43
	;; [unrolled: 1-line block ×13, first 2 shown]
	global_load_dwordx4 v[35:38], v[18:19], off offset:1024
	v_fmac_f32_e32 v12, v34, v46
	global_load_dwordx4 v[31:34], v[18:19], off offset:1040
	v_fmac_f32_e32 v3, v30, v46
	global_load_dwordx4 v[27:30], v[18:19], off offset:1056
	global_load_dwordx4 v[39:42], v[18:19], off offset:1072
	s_waitcnt vmcnt(4)
	v_sub_co_u32_e32 v23, vcc, v23, v1
	v_subb_co_u32_e32 v24, vcc, v24, v2, vcc
	v_lshlrev_b64 v[23:24], 4, v[23:24]
	v_add_co_u32_e32 v23, vcc, s6, v23
	v_addc_co_u32_e32 v24, vcc, v22, v24, vcc
	global_load_dwordx4 v[43:46], v[23:24], off
	s_nop 0
	global_load_dwordx2 v[23:24], v[20:21], off
	global_load_dwordx2 v[47:48], v[20:21], off offset:128
	s_waitcnt vmcnt(1)
	v_sub_co_u32_e32 v23, vcc, v23, v1
	v_subb_co_u32_e32 v24, vcc, v24, v2, vcc
	v_lshlrev_b64 v[23:24], 4, v[23:24]
	v_fmac_f32_e32 v13, v35, v43
	v_fmac_f32_e32 v12, v27, v43
	;; [unrolled: 1-line block ×6, first 2 shown]
	v_add_co_u32_e32 v23, vcc, s6, v23
	v_fmac_f32_e32 v13, v37, v45
	v_fmac_f32_e32 v12, v29, v45
	;; [unrolled: 1-line block ×3, first 2 shown]
	v_addc_co_u32_e32 v24, vcc, v22, v24, vcc
	v_fmac_f32_e32 v13, v38, v46
	v_fmac_f32_e32 v12, v30, v46
	global_load_dwordx4 v[27:30], v[18:19], off offset:2064
	global_load_dwordx4 v[35:38], v[18:19], off offset:2048
	v_fmac_f32_e32 v3, v42, v46
	global_load_dwordx4 v[39:42], v[23:24], off
	v_fmac_f32_e32 v26, v31, v43
	v_fmac_f32_e32 v26, v32, v44
	;; [unrolled: 1-line block ×4, first 2 shown]
	global_load_dwordx4 v[31:34], v[18:19], off offset:2080
	s_waitcnt vmcnt(4)
	v_sub_co_u32_e32 v23, vcc, v47, v1
	v_subb_co_u32_e32 v24, vcc, v48, v2, vcc
	v_lshlrev_b64 v[23:24], 4, v[23:24]
	v_add_co_u32_e32 v23, vcc, s6, v23
	v_addc_co_u32_e32 v24, vcc, v22, v24, vcc
	s_waitcnt vmcnt(1)
	v_fmac_f32_e32 v13, v35, v39
	v_fmac_f32_e32 v13, v36, v40
	;; [unrolled: 1-line block ×4, first 2 shown]
	global_load_dwordx4 v[35:38], v[18:19], off offset:2096
	v_fmac_f32_e32 v26, v27, v39
	s_waitcnt vmcnt(1)
	v_fmac_f32_e32 v12, v31, v39
	v_fmac_f32_e32 v26, v28, v40
	;; [unrolled: 1-line block ×6, first 2 shown]
	global_load_dwordx4 v[27:30], v[18:19], off offset:3104
	v_fmac_f32_e32 v12, v34, v42
	global_load_dwordx4 v[31:34], v[18:19], off offset:3088
	s_waitcnt vmcnt(2)
	v_fmac_f32_e32 v3, v35, v39
	v_fmac_f32_e32 v3, v36, v40
	;; [unrolled: 1-line block ×4, first 2 shown]
	global_load_dwordx4 v[35:38], v[18:19], off offset:3072
	global_load_dwordx4 v[39:42], v[18:19], off offset:3120
	global_load_dwordx4 v[43:46], v[23:24], off
	v_add_co_u32_e32 v18, vcc, s17, v18
	s_mov_b64 s[2:3], vcc
	v_add_co_u32_e32 v16, vcc, 64, v16
	v_addc_co_u32_e32 v17, vcc, 0, v17, vcc
	v_addc_co_u32_e64 v19, s[2:3], 0, v19, s[2:3]
	v_cmp_ge_i64_e64 s[2:3], v[16:17], v[8:9]
	v_add_co_u32_e32 v20, vcc, 0x200, v20
	v_addc_co_u32_e32 v21, vcc, 0, v21, vcc
	s_or_b64 s[14:15], s[2:3], s[14:15]
	s_waitcnt vmcnt(0)
	v_fmac_f32_e32 v13, v35, v43
	v_fmac_f32_e32 v26, v31, v43
	;; [unrolled: 1-line block ×16, first 2 shown]
	s_andn2_b64 exec, exec, s[14:15]
	s_cbranch_execnz .LBB42_23
; %bb.24:
	s_or_b64 exec, exec, s[14:15]
.LBB42_25:
	s_or_b64 exec, exec, s[10:11]
.LBB42_26:
	s_or_b64 exec, exec, s[8:9]
	s_cbranch_execz .LBB42_28
	s_branch .LBB42_39
.LBB42_27:
                                        ; implicit-def: $vgpr3
                                        ; implicit-def: $vgpr12
                                        ; implicit-def: $vgpr26
                                        ; implicit-def: $vgpr13
.LBB42_28:
	v_mov_b32_e32 v3, 0
	v_mov_b32_e32 v12, 0
	;; [unrolled: 1-line block ×4, first 2 shown]
	s_and_saveexec_b64 s[2:3], s[0:1]
	s_cbranch_execz .LBB42_38
; %bb.29:
	v_or_b32_e32 v3, 16, v0
	v_sub_co_u32_e32 v3, vcc, v3, v1
	v_subb_co_u32_e32 v13, vcc, 0, v2, vcc
	v_add_co_u32_e32 v12, vcc, v3, v14
	v_addc_co_u32_e32 v13, vcc, v13, v15, vcc
	v_cmp_gt_i64_e32 vcc, v[12:13], v[8:9]
	v_not_b32_e32 v14, v14
	v_cndmask_b32_e32 v3, v9, v13, vcc
	v_cndmask_b32_e32 v12, v8, v12, vcc
	v_not_b32_e32 v13, v15
	v_sub_co_u32_e32 v15, vcc, v1, v0
	v_subbrev_co_u32_e32 v16, vcc, 0, v2, vcc
	v_add_co_u32_e32 v14, vcc, v15, v14
	v_addc_co_u32_e32 v13, vcc, v16, v13, vcc
	v_add_co_u32_e32 v14, vcc, v14, v12
	v_addc_co_u32_e32 v15, vcc, v13, v3, vcc
	v_and_b32_e32 v12, 48, v14
	v_mov_b32_e32 v13, 0
	v_cmp_ne_u64_e32 vcc, 48, v[12:13]
	v_mov_b32_e32 v26, v13
	v_mov_b32_e32 v12, v13
	;; [unrolled: 1-line block ×3, first 2 shown]
	s_and_saveexec_b64 s[8:9], vcc
	s_cbranch_execz .LBB42_33
; %bb.30:
	v_lshlrev_b64 v[12:13], 3, v[6:7]
	v_lshrrev_b32_e32 v3, 4, v14
	v_add_u32_e32 v3, 1, v3
	v_mov_b32_e32 v17, s13
	v_add_co_u32_e32 v16, vcc, s12, v12
	v_and_b32_e32 v18, 3, v3
	v_addc_co_u32_e32 v17, vcc, v17, v13, vcc
	v_sub_co_u32_e32 v18, vcc, 0, v18
	v_mov_b32_e32 v3, 0
	s_mov_b64 s[10:11], 0
	v_subb_co_u32_e64 v19, s[0:1], 0, 0, vcc
	s_movk_i32 s14, 0x400
	v_mov_b32_e32 v20, s7
	v_mov_b32_e32 v12, 0
	;; [unrolled: 1-line block ×4, first 2 shown]
.LBB42_31:                              ; =>This Inner Loop Header: Depth=1
	global_load_dwordx2 v[35:36], v[16:17], off
	global_load_dwordx4 v[21:24], v[10:11], off offset:32
	global_load_dwordx4 v[27:30], v[10:11], off offset:16
	global_load_dwordx4 v[31:34], v[10:11], off
	v_add_co_u32_e64 v6, s[0:1], 16, v6
	v_addc_co_u32_e64 v7, s[0:1], 0, v7, s[0:1]
	v_add_co_u32_e64 v18, s[0:1], 1, v18
	v_addc_co_u32_e64 v19, s[0:1], 0, v19, s[0:1]
	v_cmp_eq_u64_e64 s[0:1], 0, v[18:19]
	s_or_b64 s[10:11], s[0:1], s[10:11]
	s_waitcnt vmcnt(3)
	v_sub_co_u32_e32 v35, vcc, v35, v1
	v_subb_co_u32_e32 v36, vcc, v36, v2, vcc
	v_lshlrev_b64 v[35:36], 4, v[35:36]
	v_add_co_u32_e32 v43, vcc, s6, v35
	v_addc_co_u32_e32 v44, vcc, v20, v36, vcc
	global_load_dwordx4 v[35:38], v[43:44], off
	global_load_dwordx4 v[39:42], v[10:11], off offset:48
	v_add_co_u32_e32 v10, vcc, s14, v10
	v_addc_co_u32_e32 v11, vcc, 0, v11, vcc
	v_add_co_u32_e32 v16, vcc, 0x80, v16
	v_addc_co_u32_e32 v17, vcc, 0, v17, vcc
	s_waitcnt vmcnt(1)
	v_fmac_f32_e32 v13, v31, v35
	v_fmac_f32_e32 v26, v32, v35
	;; [unrolled: 1-line block ×12, first 2 shown]
	s_waitcnt vmcnt(0)
	v_fmac_f32_e32 v13, v39, v38
	v_fmac_f32_e32 v26, v40, v38
	v_fmac_f32_e32 v12, v41, v38
	v_fmac_f32_e32 v3, v42, v38
	s_andn2_b64 exec, exec, s[10:11]
	s_cbranch_execnz .LBB42_31
; %bb.32:
	s_or_b64 exec, exec, s[10:11]
.LBB42_33:
	s_or_b64 exec, exec, s[8:9]
	v_cmp_lt_u64_e32 vcc, 47, v[14:15]
	s_and_saveexec_b64 s[8:9], vcc
	s_cbranch_execz .LBB42_37
; %bb.34:
	v_lshlrev_b64 v[14:15], 3, v[6:7]
	v_mov_b32_e32 v16, s13
	v_add_co_u32_e32 v14, vcc, s12, v14
	v_addc_co_u32_e32 v15, vcc, v16, v15, vcc
	v_add_co_u32_e32 v14, vcc, 0x100, v14
	v_addc_co_u32_e32 v15, vcc, 0, v15, vcc
	s_mov_b64 s[10:11], 0
	v_mov_b32_e32 v16, s7
	s_movk_i32 s7, 0x1000
.LBB42_35:                              ; =>This Inner Loop Header: Depth=1
	global_load_dwordx2 v[51:52], v[14:15], off offset:-256
	global_load_dwordx2 v[53:54], v[14:15], off offset:-128
	global_load_dwordx4 v[17:20], v[10:11], off offset:48
	global_load_dwordx4 v[21:24], v[10:11], off offset:32
	;; [unrolled: 1-line block ×3, first 2 shown]
	global_load_dwordx4 v[31:34], v[10:11], off
	global_load_dwordx2 v[59:60], v[14:15], off
	global_load_dwordx2 v[61:62], v[14:15], off offset:128
	global_load_dwordx4 v[35:38], v[10:11], off offset:1024
	global_load_dwordx4 v[39:42], v[10:11], off offset:1040
	;; [unrolled: 1-line block ×4, first 2 shown]
	v_add_co_u32_e64 v6, s[0:1], 64, v6
	v_addc_co_u32_e64 v7, s[0:1], 0, v7, s[0:1]
	v_cmp_ge_i64_e64 s[0:1], v[6:7], v[8:9]
	s_or_b64 s[10:11], s[0:1], s[10:11]
	s_waitcnt vmcnt(11)
	v_sub_co_u32_e32 v51, vcc, v51, v1
	v_subb_co_u32_e32 v52, vcc, v52, v2, vcc
	s_waitcnt vmcnt(10)
	v_sub_co_u32_e32 v53, vcc, v53, v1
	v_lshlrev_b64 v[51:52], 4, v[51:52]
	v_subb_co_u32_e32 v54, vcc, v54, v2, vcc
	v_lshlrev_b64 v[53:54], 4, v[53:54]
	v_add_co_u32_e32 v51, vcc, s6, v51
	v_addc_co_u32_e32 v52, vcc, v16, v52, vcc
	v_add_co_u32_e32 v55, vcc, s6, v53
	v_addc_co_u32_e32 v56, vcc, v16, v54, vcc
	global_load_dwordx4 v[51:54], v[51:52], off
	s_nop 0
	global_load_dwordx4 v[55:58], v[55:56], off
	s_waitcnt vmcnt(1)
	v_fmac_f32_e32 v13, v31, v51
	v_fmac_f32_e32 v26, v32, v51
	;; [unrolled: 1-line block ×4, first 2 shown]
	v_sub_co_u32_e32 v51, vcc, v59, v1
	v_fmac_f32_e32 v13, v27, v52
	v_fmac_f32_e32 v26, v28, v52
	;; [unrolled: 1-line block ×4, first 2 shown]
	v_subb_co_u32_e32 v52, vcc, v60, v2, vcc
	v_fmac_f32_e32 v13, v21, v53
	v_fmac_f32_e32 v26, v22, v53
	;; [unrolled: 1-line block ×4, first 2 shown]
	v_sub_co_u32_e32 v53, vcc, v61, v1
	v_lshlrev_b64 v[51:52], 4, v[51:52]
	v_fmac_f32_e32 v13, v17, v54
	v_fmac_f32_e32 v26, v18, v54
	;; [unrolled: 1-line block ×4, first 2 shown]
	v_subb_co_u32_e32 v54, vcc, v62, v2, vcc
	v_lshlrev_b64 v[53:54], 4, v[53:54]
	v_add_co_u32_e32 v63, vcc, s6, v51
	v_addc_co_u32_e32 v64, vcc, v16, v52, vcc
	s_waitcnt vmcnt(0)
	v_fmac_f32_e32 v13, v35, v55
	v_fmac_f32_e32 v26, v36, v55
	;; [unrolled: 1-line block ×4, first 2 shown]
	global_load_dwordx4 v[21:24], v[10:11], off offset:2064
	global_load_dwordx4 v[17:20], v[10:11], off offset:2048
	v_add_co_u32_e32 v65, vcc, s6, v53
	v_fmac_f32_e32 v13, v39, v56
	v_fmac_f32_e32 v26, v40, v56
	;; [unrolled: 1-line block ×4, first 2 shown]
	global_load_dwordx4 v[31:34], v[10:11], off offset:2096
	global_load_dwordx4 v[27:30], v[10:11], off offset:2080
	v_addc_co_u32_e32 v66, vcc, v16, v54, vcc
	global_load_dwordx4 v[51:54], v[10:11], off offset:3072
	global_load_dwordx4 v[35:38], v[10:11], off offset:3088
	;; [unrolled: 1-line block ×3, first 2 shown]
	v_fmac_f32_e32 v13, v43, v57
	v_fmac_f32_e32 v26, v44, v57
	;; [unrolled: 1-line block ×4, first 2 shown]
	global_load_dwordx4 v[43:46], v[63:64], off
	global_load_dwordx4 v[59:62], v[65:66], off
	v_fmac_f32_e32 v13, v47, v58
	v_fmac_f32_e32 v26, v48, v58
	;; [unrolled: 1-line block ×4, first 2 shown]
	global_load_dwordx4 v[47:50], v[10:11], off offset:3120
	v_add_co_u32_e32 v10, vcc, s7, v10
	v_addc_co_u32_e32 v11, vcc, 0, v11, vcc
	v_add_co_u32_e32 v14, vcc, 0x200, v14
	v_addc_co_u32_e32 v15, vcc, 0, v15, vcc
	s_waitcnt vmcnt(2)
	v_fmac_f32_e32 v13, v17, v43
	v_fmac_f32_e32 v26, v18, v43
	;; [unrolled: 1-line block ×16, first 2 shown]
	s_waitcnt vmcnt(1)
	v_fmac_f32_e32 v13, v51, v59
	v_fmac_f32_e32 v26, v52, v59
	;; [unrolled: 1-line block ×12, first 2 shown]
	s_waitcnt vmcnt(0)
	v_fmac_f32_e32 v13, v47, v62
	v_fmac_f32_e32 v26, v48, v62
	;; [unrolled: 1-line block ×4, first 2 shown]
	s_andn2_b64 exec, exec, s[10:11]
	s_cbranch_execnz .LBB42_35
; %bb.36:
	s_or_b64 exec, exec, s[10:11]
.LBB42_37:
	s_or_b64 exec, exec, s[8:9]
.LBB42_38:
	s_or_b64 exec, exec, s[2:3]
.LBB42_39:
	v_mov_b32_dpp v1, v13 row_shr:1 row_mask:0xf bank_mask:0xf
	v_mov_b32_dpp v6, v26 row_shr:1 row_mask:0xf bank_mask:0xf
	v_mov_b32_dpp v8, v12 row_shr:1 row_mask:0xf bank_mask:0xf
	v_mov_b32_dpp v10, v3 row_shr:1 row_mask:0xf bank_mask:0xf
	v_add_f32_e32 v1, v13, v1
	v_add_f32_e32 v6, v26, v6
	v_add_f32_e32 v8, v12, v8
	v_add_f32_e32 v3, v3, v10
	v_mov_b32_dpp v2, v1 row_shr:2 row_mask:0xf bank_mask:0xf
	v_mov_b32_dpp v7, v6 row_shr:2 row_mask:0xf bank_mask:0xf
	v_mov_b32_dpp v9, v8 row_shr:2 row_mask:0xf bank_mask:0xf
	v_mov_b32_dpp v10, v3 row_shr:2 row_mask:0xf bank_mask:0xf
	v_add_f32_e32 v1, v1, v2
	v_add_f32_e32 v6, v6, v7
	v_add_f32_e32 v8, v8, v9
	v_add_f32_e32 v3, v3, v10
	v_mov_b32_dpp v2, v1 row_shr:4 row_mask:0xf bank_mask:0xe
	v_mov_b32_dpp v7, v6 row_shr:4 row_mask:0xf bank_mask:0xe
	v_mov_b32_dpp v9, v8 row_shr:4 row_mask:0xf bank_mask:0xe
	v_mov_b32_dpp v10, v3 row_shr:4 row_mask:0xf bank_mask:0xe
	v_add_f32_e32 v1, v1, v2
	v_add_f32_e32 v6, v6, v7
	v_add_f32_e32 v8, v8, v9
	v_add_f32_e32 v3, v3, v10
	v_mov_b32_dpp v2, v1 row_shr:8 row_mask:0xf bank_mask:0xc
	v_mov_b32_dpp v7, v6 row_shr:8 row_mask:0xf bank_mask:0xc
	;; [unrolled: 1-line block ×4, first 2 shown]
	v_cmp_eq_u32_e32 vcc, 15, v0
	s_and_b64 exec, exec, vcc
	s_cbranch_execz .LBB42_10
; %bb.40:
	s_load_dwordx2 s[0:1], s[4:5], 0x58
	v_add_f32_e32 v0, v1, v2
	v_add_f32_e32 v1, v6, v7
	;; [unrolled: 1-line block ×4, first 2 shown]
	v_cmp_eq_f32_e64 s[2:3], s20, 0
	v_lshlrev_b64 v[4:5], 4, v[4:5]
	s_and_b64 vcc, exec, s[2:3]
	v_mul_f32_e32 v0, s16, v0
	v_mul_f32_e32 v1, s16, v1
	;; [unrolled: 1-line block ×4, first 2 shown]
	s_cbranch_vccz .LBB42_42
; %bb.41:
	s_waitcnt lgkmcnt(0)
	v_mov_b32_e32 v7, s1
	v_add_co_u32_e32 v6, vcc, s0, v4
	v_addc_co_u32_e32 v7, vcc, v7, v5, vcc
	global_store_dwordx4 v[6:7], v[0:3], off
	s_cbranch_execnz .LBB42_10
	s_branch .LBB42_43
.LBB42_42:
.LBB42_43:
	s_waitcnt lgkmcnt(0)
	v_mov_b32_e32 v6, s1
	v_add_co_u32_e32 v8, vcc, s0, v4
	v_addc_co_u32_e32 v9, vcc, v6, v5, vcc
	global_load_dwordx4 v[4:7], v[8:9], off
	s_waitcnt vmcnt(0)
	v_fmac_f32_e32 v0, s20, v4
	v_fmac_f32_e32 v1, s20, v5
	;; [unrolled: 1-line block ×4, first 2 shown]
	global_store_dwordx4 v[8:9], v[0:3], off
	s_endpgm
	.section	.rodata,"a",@progbits
	.p2align	6, 0x0
	.amdhsa_kernel _ZN9rocsparseL18bsrxmvn_4x4_kernelILj128ELj16EfllfffEEvT3_20rocsparse_direction_NS_24const_host_device_scalarIT1_EES1_PKS1_PKT2_SA_S7_PKT4_PKT5_S5_PT6_21rocsparse_index_base_b
		.amdhsa_group_segment_fixed_size 0
		.amdhsa_private_segment_fixed_size 0
		.amdhsa_kernarg_size 104
		.amdhsa_user_sgpr_count 6
		.amdhsa_user_sgpr_private_segment_buffer 1
		.amdhsa_user_sgpr_dispatch_ptr 0
		.amdhsa_user_sgpr_queue_ptr 0
		.amdhsa_user_sgpr_kernarg_segment_ptr 1
		.amdhsa_user_sgpr_dispatch_id 0
		.amdhsa_user_sgpr_flat_scratch_init 0
		.amdhsa_user_sgpr_private_segment_size 0
		.amdhsa_uses_dynamic_stack 0
		.amdhsa_system_sgpr_private_segment_wavefront_offset 0
		.amdhsa_system_sgpr_workgroup_id_x 1
		.amdhsa_system_sgpr_workgroup_id_y 0
		.amdhsa_system_sgpr_workgroup_id_z 0
		.amdhsa_system_sgpr_workgroup_info 0
		.amdhsa_system_vgpr_workitem_id 0
		.amdhsa_next_free_vgpr 67
		.amdhsa_next_free_sgpr 22
		.amdhsa_reserve_vcc 1
		.amdhsa_reserve_flat_scratch 0
		.amdhsa_float_round_mode_32 0
		.amdhsa_float_round_mode_16_64 0
		.amdhsa_float_denorm_mode_32 3
		.amdhsa_float_denorm_mode_16_64 3
		.amdhsa_dx10_clamp 1
		.amdhsa_ieee_mode 1
		.amdhsa_fp16_overflow 0
		.amdhsa_exception_fp_ieee_invalid_op 0
		.amdhsa_exception_fp_denorm_src 0
		.amdhsa_exception_fp_ieee_div_zero 0
		.amdhsa_exception_fp_ieee_overflow 0
		.amdhsa_exception_fp_ieee_underflow 0
		.amdhsa_exception_fp_ieee_inexact 0
		.amdhsa_exception_int_div_zero 0
	.end_amdhsa_kernel
	.section	.text._ZN9rocsparseL18bsrxmvn_4x4_kernelILj128ELj16EfllfffEEvT3_20rocsparse_direction_NS_24const_host_device_scalarIT1_EES1_PKS1_PKT2_SA_S7_PKT4_PKT5_S5_PT6_21rocsparse_index_base_b,"axG",@progbits,_ZN9rocsparseL18bsrxmvn_4x4_kernelILj128ELj16EfllfffEEvT3_20rocsparse_direction_NS_24const_host_device_scalarIT1_EES1_PKS1_PKT2_SA_S7_PKT4_PKT5_S5_PT6_21rocsparse_index_base_b,comdat
.Lfunc_end42:
	.size	_ZN9rocsparseL18bsrxmvn_4x4_kernelILj128ELj16EfllfffEEvT3_20rocsparse_direction_NS_24const_host_device_scalarIT1_EES1_PKS1_PKT2_SA_S7_PKT4_PKT5_S5_PT6_21rocsparse_index_base_b, .Lfunc_end42-_ZN9rocsparseL18bsrxmvn_4x4_kernelILj128ELj16EfllfffEEvT3_20rocsparse_direction_NS_24const_host_device_scalarIT1_EES1_PKS1_PKT2_SA_S7_PKT4_PKT5_S5_PT6_21rocsparse_index_base_b
                                        ; -- End function
	.set _ZN9rocsparseL18bsrxmvn_4x4_kernelILj128ELj16EfllfffEEvT3_20rocsparse_direction_NS_24const_host_device_scalarIT1_EES1_PKS1_PKT2_SA_S7_PKT4_PKT5_S5_PT6_21rocsparse_index_base_b.num_vgpr, 67
	.set _ZN9rocsparseL18bsrxmvn_4x4_kernelILj128ELj16EfllfffEEvT3_20rocsparse_direction_NS_24const_host_device_scalarIT1_EES1_PKS1_PKT2_SA_S7_PKT4_PKT5_S5_PT6_21rocsparse_index_base_b.num_agpr, 0
	.set _ZN9rocsparseL18bsrxmvn_4x4_kernelILj128ELj16EfllfffEEvT3_20rocsparse_direction_NS_24const_host_device_scalarIT1_EES1_PKS1_PKT2_SA_S7_PKT4_PKT5_S5_PT6_21rocsparse_index_base_b.numbered_sgpr, 22
	.set _ZN9rocsparseL18bsrxmvn_4x4_kernelILj128ELj16EfllfffEEvT3_20rocsparse_direction_NS_24const_host_device_scalarIT1_EES1_PKS1_PKT2_SA_S7_PKT4_PKT5_S5_PT6_21rocsparse_index_base_b.num_named_barrier, 0
	.set _ZN9rocsparseL18bsrxmvn_4x4_kernelILj128ELj16EfllfffEEvT3_20rocsparse_direction_NS_24const_host_device_scalarIT1_EES1_PKS1_PKT2_SA_S7_PKT4_PKT5_S5_PT6_21rocsparse_index_base_b.private_seg_size, 0
	.set _ZN9rocsparseL18bsrxmvn_4x4_kernelILj128ELj16EfllfffEEvT3_20rocsparse_direction_NS_24const_host_device_scalarIT1_EES1_PKS1_PKT2_SA_S7_PKT4_PKT5_S5_PT6_21rocsparse_index_base_b.uses_vcc, 1
	.set _ZN9rocsparseL18bsrxmvn_4x4_kernelILj128ELj16EfllfffEEvT3_20rocsparse_direction_NS_24const_host_device_scalarIT1_EES1_PKS1_PKT2_SA_S7_PKT4_PKT5_S5_PT6_21rocsparse_index_base_b.uses_flat_scratch, 0
	.set _ZN9rocsparseL18bsrxmvn_4x4_kernelILj128ELj16EfllfffEEvT3_20rocsparse_direction_NS_24const_host_device_scalarIT1_EES1_PKS1_PKT2_SA_S7_PKT4_PKT5_S5_PT6_21rocsparse_index_base_b.has_dyn_sized_stack, 0
	.set _ZN9rocsparseL18bsrxmvn_4x4_kernelILj128ELj16EfllfffEEvT3_20rocsparse_direction_NS_24const_host_device_scalarIT1_EES1_PKS1_PKT2_SA_S7_PKT4_PKT5_S5_PT6_21rocsparse_index_base_b.has_recursion, 0
	.set _ZN9rocsparseL18bsrxmvn_4x4_kernelILj128ELj16EfllfffEEvT3_20rocsparse_direction_NS_24const_host_device_scalarIT1_EES1_PKS1_PKT2_SA_S7_PKT4_PKT5_S5_PT6_21rocsparse_index_base_b.has_indirect_call, 0
	.section	.AMDGPU.csdata,"",@progbits
; Kernel info:
; codeLenInByte = 3092
; TotalNumSgprs: 26
; NumVgprs: 67
; ScratchSize: 0
; MemoryBound: 0
; FloatMode: 240
; IeeeMode: 1
; LDSByteSize: 0 bytes/workgroup (compile time only)
; SGPRBlocks: 3
; VGPRBlocks: 16
; NumSGPRsForWavesPerEU: 26
; NumVGPRsForWavesPerEU: 67
; Occupancy: 3
; WaveLimiterHint : 1
; COMPUTE_PGM_RSRC2:SCRATCH_EN: 0
; COMPUTE_PGM_RSRC2:USER_SGPR: 6
; COMPUTE_PGM_RSRC2:TRAP_HANDLER: 0
; COMPUTE_PGM_RSRC2:TGID_X_EN: 1
; COMPUTE_PGM_RSRC2:TGID_Y_EN: 0
; COMPUTE_PGM_RSRC2:TGID_Z_EN: 0
; COMPUTE_PGM_RSRC2:TIDIG_COMP_CNT: 0
	.section	.text._ZN9rocsparseL18bsrxmvn_4x4_kernelILj128ELj32EfllfffEEvT3_20rocsparse_direction_NS_24const_host_device_scalarIT1_EES1_PKS1_PKT2_SA_S7_PKT4_PKT5_S5_PT6_21rocsparse_index_base_b,"axG",@progbits,_ZN9rocsparseL18bsrxmvn_4x4_kernelILj128ELj32EfllfffEEvT3_20rocsparse_direction_NS_24const_host_device_scalarIT1_EES1_PKS1_PKT2_SA_S7_PKT4_PKT5_S5_PT6_21rocsparse_index_base_b,comdat
	.globl	_ZN9rocsparseL18bsrxmvn_4x4_kernelILj128ELj32EfllfffEEvT3_20rocsparse_direction_NS_24const_host_device_scalarIT1_EES1_PKS1_PKT2_SA_S7_PKT4_PKT5_S5_PT6_21rocsparse_index_base_b ; -- Begin function _ZN9rocsparseL18bsrxmvn_4x4_kernelILj128ELj32EfllfffEEvT3_20rocsparse_direction_NS_24const_host_device_scalarIT1_EES1_PKS1_PKT2_SA_S7_PKT4_PKT5_S5_PT6_21rocsparse_index_base_b
	.p2align	8
	.type	_ZN9rocsparseL18bsrxmvn_4x4_kernelILj128ELj32EfllfffEEvT3_20rocsparse_direction_NS_24const_host_device_scalarIT1_EES1_PKS1_PKT2_SA_S7_PKT4_PKT5_S5_PT6_21rocsparse_index_base_b,@function
_ZN9rocsparseL18bsrxmvn_4x4_kernelILj128ELj32EfllfffEEvT3_20rocsparse_direction_NS_24const_host_device_scalarIT1_EES1_PKS1_PKT2_SA_S7_PKT4_PKT5_S5_PT6_21rocsparse_index_base_b: ; @_ZN9rocsparseL18bsrxmvn_4x4_kernelILj128ELj32EfllfffEEvT3_20rocsparse_direction_NS_24const_host_device_scalarIT1_EES1_PKS1_PKT2_SA_S7_PKT4_PKT5_S5_PT6_21rocsparse_index_base_b
; %bb.0:
	s_load_dwordx2 s[0:1], s[4:5], 0x60
	s_load_dwordx4 s[16:19], s[4:5], 0x10
	s_load_dwordx2 s[20:21], s[4:5], 0x50
	s_waitcnt lgkmcnt(0)
	s_bitcmp1_b32 s1, 0
	s_cselect_b64 s[8:9], -1, 0
	s_xor_b64 s[2:3], s[8:9], -1
	s_and_b64 vcc, exec, s[8:9]
	s_cbranch_vccnz .LBB43_2
; %bb.1:
	s_load_dword s16, s[16:17], 0x0
.LBB43_2:
	s_andn2_b64 vcc, exec, s[2:3]
	s_cbranch_vccnz .LBB43_4
; %bb.3:
	s_load_dword s20, s[20:21], 0x0
.LBB43_4:
	s_waitcnt lgkmcnt(0)
	v_cmp_neq_f32_e64 s[2:3], s16, 0
	v_cmp_neq_f32_e64 s[8:9], s20, 1.0
	s_or_b64 s[2:3], s[2:3], s[8:9]
	s_andn2_b64 vcc, exec, s[2:3]
	s_cbranch_vccnz .LBB43_10
; %bb.5:
	s_load_dwordx2 s[8:9], s[4:5], 0x20
	v_lshrrev_b32_e32 v1, 5, v0
	v_lshl_or_b32 v6, s6, 2, v1
	v_mov_b32_e32 v7, 0
	s_mov_b64 s[2:3], 0
	s_waitcnt lgkmcnt(0)
	s_cmp_lg_u64 s[8:9], 0
	s_cbranch_scc0 .LBB43_11
; %bb.6:
	v_cmp_gt_i64_e32 vcc, s[18:19], v[6:7]
                                        ; implicit-def: $vgpr4_vgpr5
                                        ; implicit-def: $vgpr1_vgpr2
	s_and_saveexec_b64 s[6:7], vcc
	s_xor_b64 s[6:7], exec, s[6:7]
	s_cbranch_execz .LBB43_8
; %bb.7:
	v_lshlrev_b64 v[1:2], 3, v[6:7]
	v_mov_b32_e32 v3, s9
	v_add_co_u32_e32 v1, vcc, s8, v1
	v_addc_co_u32_e32 v2, vcc, v3, v2, vcc
	global_load_dwordx2 v[1:2], v[1:2], off
	s_mov_b32 s1, 0
	s_mov_b64 s[2:3], exec
	s_waitcnt vmcnt(0)
	v_subrev_co_u32_e32 v4, vcc, s0, v1
	v_subbrev_co_u32_e32 v5, vcc, 0, v2, vcc
	v_mov_b32_e32 v2, s1
	v_mov_b32_e32 v1, s0
.LBB43_8:
	s_or_b64 exec, exec, s[6:7]
.LBB43_9:
	s_and_saveexec_b64 s[0:1], s[2:3]
	s_cbranch_execnz .LBB43_15
.LBB43_10:
	s_endpgm
.LBB43_11:
                                        ; implicit-def: $vgpr4_vgpr5
                                        ; implicit-def: $vgpr1_vgpr2
	s_cbranch_execz .LBB43_9
; %bb.12:
	s_load_dwordx2 s[6:7], s[4:5], 0x0
	s_waitcnt lgkmcnt(0)
	v_cmp_gt_i64_e32 vcc, s[6:7], v[6:7]
	s_and_saveexec_b64 s[6:7], vcc
; %bb.13:
	s_mov_b32 s1, 0
	s_or_b64 s[2:3], s[2:3], exec
; %bb.14:
	s_or_b64 exec, exec, s[6:7]
	v_mov_b32_e32 v2, s1
	v_mov_b32_e32 v4, v6
	;; [unrolled: 1-line block ×4, first 2 shown]
	s_and_saveexec_b64 s[0:1], s[2:3]
	s_cbranch_execz .LBB43_10
.LBB43_15:
	s_load_dwordx8 s[8:15], s[4:5], 0x28
	v_lshlrev_b64 v[6:7], 3, v[4:5]
	v_and_b32_e32 v0, 31, v0
	s_waitcnt lgkmcnt(0)
	v_mov_b32_e32 v3, s9
	v_add_co_u32_e32 v8, vcc, s8, v6
	v_addc_co_u32_e32 v9, vcc, v3, v7, vcc
	v_add_co_u32_e32 v3, vcc, 8, v8
	global_load_dwordx2 v[14:15], v[8:9], off
	v_addc_co_u32_e32 v8, vcc, 0, v9, vcc
	v_mov_b32_e32 v9, s11
	v_add_co_u32_e32 v6, vcc, s10, v6
	s_cmp_eq_u64 s[10:11], 0
	v_addc_co_u32_e32 v7, vcc, v9, v7, vcc
	s_cselect_b64 vcc, -1, 0
	v_cndmask_b32_e32 v7, v7, v8, vcc
	v_cndmask_b32_e32 v6, v6, v3, vcc
	global_load_dwordx2 v[8:9], v[6:7], off
	s_load_dword s0, s[4:5], 0x8
	s_load_dwordx2 s[8:9], s[4:5], 0x48
	v_mov_b32_e32 v12, s15
	v_mov_b32_e32 v3, 0
	s_waitcnt lgkmcnt(0)
	s_cmp_eq_u32 s0, 1
	s_waitcnt vmcnt(1)
	v_sub_co_u32_e32 v6, vcc, v14, v1
	v_subb_co_u32_e32 v7, vcc, v15, v2, vcc
	v_add_co_u32_e32 v6, vcc, v6, v0
	v_addc_co_u32_e32 v7, vcc, 0, v7, vcc
	v_lshlrev_b64 v[10:11], 6, v[6:7]
	s_waitcnt vmcnt(0)
	v_sub_co_u32_e32 v8, vcc, v8, v1
	v_subb_co_u32_e32 v9, vcc, v9, v2, vcc
	v_cmp_lt_i64_e64 s[0:1], v[6:7], v[8:9]
	v_add_co_u32_e32 v10, vcc, s14, v10
	v_addc_co_u32_e32 v11, vcc, v12, v11, vcc
	s_cbranch_scc1 .LBB43_27
; %bb.16:
	v_mov_b32_e32 v12, 0
	v_mov_b32_e32 v26, 0
	;; [unrolled: 1-line block ×3, first 2 shown]
	s_and_saveexec_b64 s[10:11], s[0:1]
	s_cbranch_execz .LBB43_26
; %bb.17:
	v_or_b32_e32 v3, 32, v0
	v_sub_co_u32_e32 v3, vcc, v3, v1
	v_subb_co_u32_e32 v13, vcc, 0, v2, vcc
	v_add_co_u32_e32 v12, vcc, v3, v14
	v_addc_co_u32_e32 v13, vcc, v13, v15, vcc
	v_cmp_gt_i64_e32 vcc, v[12:13], v[8:9]
	v_not_b32_e32 v16, v14
	v_cndmask_b32_e32 v3, v9, v13, vcc
	v_cndmask_b32_e32 v12, v8, v12, vcc
	v_sub_co_u32_e32 v17, vcc, v1, v0
	v_subbrev_co_u32_e32 v18, vcc, 0, v2, vcc
	v_not_b32_e32 v13, v15
	v_add_co_u32_e32 v16, vcc, v17, v16
	v_addc_co_u32_e32 v13, vcc, v18, v13, vcc
	v_add_co_u32_e32 v20, vcc, v16, v12
	v_addc_co_u32_e32 v21, vcc, v13, v3, vcc
	v_and_b32_e32 v12, 0x60, v20
	v_mov_b32_e32 v13, 0
	s_mov_b64 s[2:3], 0x60
	v_cmp_ne_u64_e32 vcc, s[2:3], v[12:13]
	v_mov_b32_e32 v17, v7
	v_mov_b32_e32 v19, v11
	;; [unrolled: 1-line block ×7, first 2 shown]
	s_and_saveexec_b64 s[6:7], vcc
	s_cbranch_execz .LBB43_21
; %bb.18:
	v_lshlrev_b64 v[12:13], 3, v[6:7]
	v_lshrrev_b32_e32 v3, 5, v20
	v_add_u32_e32 v3, 1, v3
	v_mov_b32_e32 v17, s13
	v_add_co_u32_e32 v22, vcc, s12, v12
	v_and_b32_e32 v16, 3, v3
	v_addc_co_u32_e32 v23, vcc, v17, v13, vcc
	v_sub_co_u32_e32 v24, vcc, 0, v16
	v_mov_b32_e32 v19, v11
	v_mov_b32_e32 v17, v7
	;; [unrolled: 1-line block ×3, first 2 shown]
	s_mov_b64 s[14:15], 0
	v_subb_co_u32_e64 v25, s[2:3], 0, 0, vcc
	s_movk_i32 s17, 0x800
	v_mov_b32_e32 v27, s9
	v_mov_b32_e32 v18, v10
	;; [unrolled: 1-line block ×6, first 2 shown]
.LBB43_19:                              ; =>This Inner Loop Header: Depth=1
	global_load_dwordx2 v[44:45], v[22:23], off
	global_load_dwordx4 v[28:31], v[18:19], off
	global_load_dwordx4 v[32:35], v[18:19], off offset:16
	global_load_dwordx4 v[36:39], v[18:19], off offset:32
	global_load_dwordx4 v[40:43], v[18:19], off offset:48
	v_add_co_u32_e64 v16, s[2:3], 32, v16
	v_addc_co_u32_e64 v17, s[2:3], 0, v17, s[2:3]
	v_add_co_u32_e64 v24, s[2:3], 1, v24
	v_addc_co_u32_e64 v25, s[2:3], 0, v25, s[2:3]
	v_cmp_eq_u64_e64 s[2:3], 0, v[24:25]
	s_or_b64 s[14:15], s[2:3], s[14:15]
	s_waitcnt vmcnt(4)
	v_sub_co_u32_e32 v44, vcc, v44, v1
	v_subb_co_u32_e32 v45, vcc, v45, v2, vcc
	v_lshlrev_b64 v[44:45], 4, v[44:45]
	v_add_co_u32_e32 v44, vcc, s8, v44
	v_addc_co_u32_e32 v45, vcc, v27, v45, vcc
	global_load_dwordx4 v[44:47], v[44:45], off
	v_add_co_u32_e32 v18, vcc, s17, v18
	v_addc_co_u32_e32 v19, vcc, 0, v19, vcc
	v_add_co_u32_e32 v22, vcc, 0x100, v22
	v_addc_co_u32_e32 v23, vcc, 0, v23, vcc
	s_waitcnt vmcnt(0)
	v_fmac_f32_e32 v13, v28, v44
	v_fmac_f32_e32 v26, v32, v44
	;; [unrolled: 1-line block ×16, first 2 shown]
	s_andn2_b64 exec, exec, s[14:15]
	s_cbranch_execnz .LBB43_19
; %bb.20:
	s_or_b64 exec, exec, s[14:15]
.LBB43_21:
	s_or_b64 exec, exec, s[6:7]
	s_mov_b64 s[2:3], 0x5f
	v_cmp_lt_u64_e32 vcc, s[2:3], v[20:21]
	s_and_saveexec_b64 s[14:15], vcc
	s_cbranch_execz .LBB43_25
; %bb.22:
	v_lshlrev_b64 v[20:21], 3, v[16:17]
	v_mov_b32_e32 v22, s13
	v_add_co_u32_e32 v20, vcc, s12, v20
	v_addc_co_u32_e32 v21, vcc, v22, v21, vcc
	v_add_co_u32_e32 v20, vcc, 0x200, v20
	v_addc_co_u32_e32 v21, vcc, 0, v21, vcc
	s_mov_b64 s[18:19], 0
	v_mov_b32_e32 v22, s9
	s_movk_i32 s17, 0x1000
.LBB43_23:                              ; =>This Inner Loop Header: Depth=1
	global_load_dwordx2 v[23:24], v[20:21], off offset:-512
	global_load_dwordx4 v[27:30], v[18:19], off offset:48
	global_load_dwordx4 v[31:34], v[18:19], off offset:32
	;; [unrolled: 1-line block ×3, first 2 shown]
	global_load_dwordx4 v[39:42], v[18:19], off
	s_waitcnt vmcnt(4)
	v_sub_co_u32_e32 v23, vcc, v23, v1
	v_subb_co_u32_e32 v24, vcc, v24, v2, vcc
	v_lshlrev_b64 v[23:24], 4, v[23:24]
	v_add_co_u32_e32 v23, vcc, s8, v23
	v_addc_co_u32_e32 v24, vcc, v22, v24, vcc
	global_load_dwordx4 v[43:46], v[23:24], off
	s_waitcnt vmcnt(0)
	v_fmac_f32_e32 v13, v39, v43
	global_load_dwordx2 v[23:24], v[20:21], off offset:-256
	v_fmac_f32_e32 v26, v35, v43
	v_fmac_f32_e32 v12, v31, v43
	;; [unrolled: 1-line block ×13, first 2 shown]
	global_load_dwordx4 v[35:38], v[18:19], off offset:2048
	v_fmac_f32_e32 v12, v34, v46
	global_load_dwordx4 v[31:34], v[18:19], off offset:2064
	v_fmac_f32_e32 v3, v30, v46
	global_load_dwordx4 v[27:30], v[18:19], off offset:2080
	global_load_dwordx4 v[39:42], v[18:19], off offset:2096
	s_waitcnt vmcnt(4)
	v_sub_co_u32_e32 v23, vcc, v23, v1
	v_subb_co_u32_e32 v24, vcc, v24, v2, vcc
	v_lshlrev_b64 v[23:24], 4, v[23:24]
	v_add_co_u32_e32 v23, vcc, s8, v23
	v_addc_co_u32_e32 v24, vcc, v22, v24, vcc
	global_load_dwordx4 v[43:46], v[23:24], off
	s_nop 0
	global_load_dwordx2 v[23:24], v[20:21], off
	global_load_dwordx2 v[47:48], v[20:21], off offset:256
	v_add_co_u32_e32 v49, vcc, s17, v18
	v_addc_co_u32_e32 v50, vcc, 0, v19, vcc
	s_waitcnt vmcnt(1)
	v_sub_co_u32_e32 v23, vcc, v23, v1
	v_subb_co_u32_e32 v24, vcc, v24, v2, vcc
	v_lshlrev_b64 v[23:24], 4, v[23:24]
	v_fmac_f32_e32 v13, v35, v43
	v_fmac_f32_e32 v26, v31, v43
	;; [unrolled: 1-line block ×8, first 2 shown]
	v_add_co_u32_e32 v23, vcc, s8, v23
	v_fmac_f32_e32 v13, v37, v45
	v_fmac_f32_e32 v26, v33, v45
	;; [unrolled: 1-line block ×4, first 2 shown]
	v_addc_co_u32_e32 v24, vcc, v22, v24, vcc
	v_fmac_f32_e32 v13, v38, v46
	v_fmac_f32_e32 v26, v34, v46
	;; [unrolled: 1-line block ×3, first 2 shown]
	global_load_dwordx4 v[27:30], v[49:50], off
	v_fmac_f32_e32 v3, v42, v46
	global_load_dwordx4 v[31:34], v[49:50], off offset:32
	global_load_dwordx4 v[35:38], v[49:50], off offset:16
	global_load_dwordx4 v[39:42], v[23:24], off
	s_waitcnt vmcnt(4)
	v_sub_co_u32_e32 v23, vcc, v47, v1
	v_subb_co_u32_e32 v24, vcc, v48, v2, vcc
	v_lshlrev_b64 v[23:24], 4, v[23:24]
	v_add_co_u32_e32 v23, vcc, s8, v23
	v_addc_co_u32_e32 v24, vcc, v22, v24, vcc
	v_add_co_u32_e32 v16, vcc, 0x80, v16
	s_mov_b64 s[2:3], vcc
	v_add_co_u32_e32 v20, vcc, 0x400, v20
	s_mov_b64 s[6:7], vcc
	v_addc_co_u32_e64 v17, vcc, 0, v17, s[2:3]
	v_addc_co_u32_e64 v21, s[2:3], 0, v21, s[6:7]
	v_cmp_ge_i64_e64 s[2:3], v[16:17], v[8:9]
	v_add_co_u32_e32 v18, vcc, 0x2000, v18
	v_addc_co_u32_e32 v19, vcc, 0, v19, vcc
	s_or_b64 s[18:19], s[2:3], s[18:19]
	s_waitcnt vmcnt(0)
	v_fmac_f32_e32 v13, v27, v39
	v_fmac_f32_e32 v13, v28, v40
	v_fmac_f32_e32 v13, v29, v41
	v_fmac_f32_e32 v13, v30, v42
	global_load_dwordx4 v[27:30], v[49:50], off offset:48
	v_fmac_f32_e32 v12, v31, v39
	v_fmac_f32_e32 v12, v32, v40
	;; [unrolled: 1-line block ×5, first 2 shown]
	global_load_dwordx4 v[31:34], v[49:50], off offset:2048
	v_fmac_f32_e32 v26, v36, v40
	v_fmac_f32_e32 v26, v37, v41
	;; [unrolled: 1-line block ×3, first 2 shown]
	global_load_dwordx4 v[35:38], v[49:50], off offset:2064
	s_waitcnt vmcnt(2)
	v_fmac_f32_e32 v3, v27, v39
	v_fmac_f32_e32 v3, v28, v40
	;; [unrolled: 1-line block ×4, first 2 shown]
	global_load_dwordx4 v[27:30], v[49:50], off offset:2080
	global_load_dwordx4 v[39:42], v[49:50], off offset:2096
	global_load_dwordx4 v[43:46], v[23:24], off
	s_waitcnt vmcnt(0)
	v_fmac_f32_e32 v13, v31, v43
	v_fmac_f32_e32 v26, v35, v43
	;; [unrolled: 1-line block ×16, first 2 shown]
	s_andn2_b64 exec, exec, s[18:19]
	s_cbranch_execnz .LBB43_23
; %bb.24:
	s_or_b64 exec, exec, s[18:19]
.LBB43_25:
	s_or_b64 exec, exec, s[14:15]
.LBB43_26:
	s_or_b64 exec, exec, s[10:11]
	s_cbranch_execz .LBB43_28
	s_branch .LBB43_39
.LBB43_27:
                                        ; implicit-def: $vgpr3
                                        ; implicit-def: $vgpr12
                                        ; implicit-def: $vgpr26
                                        ; implicit-def: $vgpr13
.LBB43_28:
	v_mov_b32_e32 v3, 0
	v_mov_b32_e32 v12, 0
	;; [unrolled: 1-line block ×4, first 2 shown]
	s_and_saveexec_b64 s[2:3], s[0:1]
	s_cbranch_execz .LBB43_38
; %bb.29:
	v_or_b32_e32 v3, 32, v0
	v_sub_co_u32_e32 v3, vcc, v3, v1
	v_subb_co_u32_e32 v13, vcc, 0, v2, vcc
	v_add_co_u32_e32 v12, vcc, v3, v14
	v_addc_co_u32_e32 v13, vcc, v13, v15, vcc
	v_cmp_gt_i64_e32 vcc, v[12:13], v[8:9]
	v_not_b32_e32 v14, v14
	v_cndmask_b32_e32 v3, v9, v13, vcc
	v_cndmask_b32_e32 v12, v8, v12, vcc
	v_not_b32_e32 v13, v15
	v_sub_co_u32_e32 v15, vcc, v1, v0
	v_subbrev_co_u32_e32 v16, vcc, 0, v2, vcc
	v_add_co_u32_e32 v14, vcc, v15, v14
	v_addc_co_u32_e32 v13, vcc, v16, v13, vcc
	v_add_co_u32_e32 v14, vcc, v14, v12
	v_addc_co_u32_e32 v15, vcc, v13, v3, vcc
	v_and_b32_e32 v12, 0x60, v14
	v_mov_b32_e32 v13, 0
	s_mov_b64 s[0:1], 0x60
	v_cmp_ne_u64_e32 vcc, s[0:1], v[12:13]
	v_mov_b32_e32 v26, v13
	v_mov_b32_e32 v12, v13
	v_mov_b32_e32 v3, v13
	s_and_saveexec_b64 s[6:7], vcc
	s_cbranch_execz .LBB43_33
; %bb.30:
	v_lshlrev_b64 v[12:13], 3, v[6:7]
	v_lshrrev_b32_e32 v3, 5, v14
	v_add_u32_e32 v3, 1, v3
	v_mov_b32_e32 v17, s13
	v_add_co_u32_e32 v16, vcc, s12, v12
	v_and_b32_e32 v18, 3, v3
	v_addc_co_u32_e32 v17, vcc, v17, v13, vcc
	v_sub_co_u32_e32 v18, vcc, 0, v18
	v_mov_b32_e32 v3, 0
	s_mov_b64 s[10:11], 0
	v_subb_co_u32_e64 v19, s[0:1], 0, 0, vcc
	s_movk_i32 s14, 0x800
	v_mov_b32_e32 v20, s9
	v_mov_b32_e32 v12, 0
	v_mov_b32_e32 v26, 0
	v_mov_b32_e32 v13, 0
.LBB43_31:                              ; =>This Inner Loop Header: Depth=1
	global_load_dwordx2 v[35:36], v[16:17], off
	global_load_dwordx4 v[21:24], v[10:11], off offset:32
	global_load_dwordx4 v[27:30], v[10:11], off offset:16
	global_load_dwordx4 v[31:34], v[10:11], off
	v_add_co_u32_e64 v6, s[0:1], 32, v6
	v_addc_co_u32_e64 v7, s[0:1], 0, v7, s[0:1]
	v_add_co_u32_e64 v18, s[0:1], 1, v18
	v_addc_co_u32_e64 v19, s[0:1], 0, v19, s[0:1]
	v_cmp_eq_u64_e64 s[0:1], 0, v[18:19]
	s_or_b64 s[10:11], s[0:1], s[10:11]
	s_waitcnt vmcnt(3)
	v_sub_co_u32_e32 v35, vcc, v35, v1
	v_subb_co_u32_e32 v36, vcc, v36, v2, vcc
	v_lshlrev_b64 v[35:36], 4, v[35:36]
	v_add_co_u32_e32 v43, vcc, s8, v35
	v_addc_co_u32_e32 v44, vcc, v20, v36, vcc
	global_load_dwordx4 v[35:38], v[43:44], off
	global_load_dwordx4 v[39:42], v[10:11], off offset:48
	v_add_co_u32_e32 v10, vcc, s14, v10
	v_addc_co_u32_e32 v11, vcc, 0, v11, vcc
	v_add_co_u32_e32 v16, vcc, 0x100, v16
	v_addc_co_u32_e32 v17, vcc, 0, v17, vcc
	s_waitcnt vmcnt(1)
	v_fmac_f32_e32 v13, v31, v35
	v_fmac_f32_e32 v26, v32, v35
	v_fmac_f32_e32 v12, v33, v35
	v_fmac_f32_e32 v3, v34, v35
	v_fmac_f32_e32 v13, v27, v36
	v_fmac_f32_e32 v26, v28, v36
	v_fmac_f32_e32 v12, v29, v36
	v_fmac_f32_e32 v3, v30, v36
	v_fmac_f32_e32 v13, v21, v37
	v_fmac_f32_e32 v26, v22, v37
	v_fmac_f32_e32 v12, v23, v37
	v_fmac_f32_e32 v3, v24, v37
	s_waitcnt vmcnt(0)
	v_fmac_f32_e32 v13, v39, v38
	v_fmac_f32_e32 v26, v40, v38
	v_fmac_f32_e32 v12, v41, v38
	v_fmac_f32_e32 v3, v42, v38
	s_andn2_b64 exec, exec, s[10:11]
	s_cbranch_execnz .LBB43_31
; %bb.32:
	s_or_b64 exec, exec, s[10:11]
.LBB43_33:
	s_or_b64 exec, exec, s[6:7]
	s_mov_b64 s[0:1], 0x5f
	v_cmp_lt_u64_e32 vcc, s[0:1], v[14:15]
	s_and_saveexec_b64 s[6:7], vcc
	s_cbranch_execz .LBB43_37
; %bb.34:
	v_lshlrev_b64 v[14:15], 3, v[6:7]
	v_mov_b32_e32 v16, s13
	v_add_co_u32_e32 v14, vcc, s12, v14
	v_addc_co_u32_e32 v15, vcc, v16, v15, vcc
	v_add_co_u32_e32 v14, vcc, 0x200, v14
	v_addc_co_u32_e32 v15, vcc, 0, v15, vcc
	s_mov_b64 s[10:11], 0
	v_mov_b32_e32 v16, s9
	s_movk_i32 s9, 0x1000
.LBB43_35:                              ; =>This Inner Loop Header: Depth=1
	global_load_dwordx2 v[51:52], v[14:15], off offset:-512
	global_load_dwordx2 v[53:54], v[14:15], off offset:-256
	global_load_dwordx4 v[17:20], v[10:11], off offset:48
	global_load_dwordx4 v[21:24], v[10:11], off offset:32
	;; [unrolled: 1-line block ×3, first 2 shown]
	global_load_dwordx4 v[31:34], v[10:11], off
	global_load_dwordx2 v[59:60], v[14:15], off
	global_load_dwordx2 v[61:62], v[14:15], off offset:256
	global_load_dwordx4 v[35:38], v[10:11], off offset:2048
	global_load_dwordx4 v[39:42], v[10:11], off offset:2064
	;; [unrolled: 1-line block ×4, first 2 shown]
	s_waitcnt vmcnt(11)
	v_sub_co_u32_e32 v51, vcc, v51, v1
	v_subb_co_u32_e32 v52, vcc, v52, v2, vcc
	s_waitcnt vmcnt(10)
	v_sub_co_u32_e32 v53, vcc, v53, v1
	v_lshlrev_b64 v[51:52], 4, v[51:52]
	v_subb_co_u32_e32 v54, vcc, v54, v2, vcc
	v_lshlrev_b64 v[53:54], 4, v[53:54]
	v_add_co_u32_e32 v51, vcc, s8, v51
	v_addc_co_u32_e32 v52, vcc, v16, v52, vcc
	v_add_co_u32_e32 v55, vcc, s8, v53
	v_addc_co_u32_e32 v56, vcc, v16, v54, vcc
	global_load_dwordx4 v[51:54], v[51:52], off
	s_nop 0
	global_load_dwordx4 v[55:58], v[55:56], off
	v_add_co_u32_e32 v63, vcc, s9, v10
	v_addc_co_u32_e32 v64, vcc, 0, v11, vcc
	s_waitcnt vmcnt(1)
	v_fmac_f32_e32 v13, v31, v51
	v_fmac_f32_e32 v26, v32, v51
	;; [unrolled: 1-line block ×4, first 2 shown]
	v_sub_co_u32_e32 v51, vcc, v59, v1
	v_fmac_f32_e32 v13, v27, v52
	v_fmac_f32_e32 v26, v28, v52
	;; [unrolled: 1-line block ×4, first 2 shown]
	v_subb_co_u32_e32 v52, vcc, v60, v2, vcc
	v_fmac_f32_e32 v13, v21, v53
	v_fmac_f32_e32 v26, v22, v53
	v_fmac_f32_e32 v12, v23, v53
	v_fmac_f32_e32 v3, v24, v53
	v_sub_co_u32_e32 v53, vcc, v61, v1
	v_lshlrev_b64 v[51:52], 4, v[51:52]
	v_fmac_f32_e32 v13, v17, v54
	v_fmac_f32_e32 v26, v18, v54
	;; [unrolled: 1-line block ×4, first 2 shown]
	v_subb_co_u32_e32 v54, vcc, v62, v2, vcc
	v_lshlrev_b64 v[53:54], 4, v[53:54]
	v_add_co_u32_e32 v51, vcc, s8, v51
	v_addc_co_u32_e32 v52, vcc, v16, v52, vcc
	v_add_co_u32_e32 v59, vcc, s8, v53
	global_load_dwordx4 v[27:30], v[63:64], off offset:48
	global_load_dwordx4 v[21:24], v[63:64], off offset:32
	global_load_dwordx4 v[17:20], v[63:64], off
	global_load_dwordx4 v[31:34], v[63:64], off offset:16
	v_addc_co_u32_e32 v60, vcc, v16, v54, vcc
	global_load_dwordx4 v[51:54], v[51:52], off
	s_waitcnt vmcnt(5)
	v_fmac_f32_e32 v13, v35, v55
	v_fmac_f32_e32 v26, v36, v55
	;; [unrolled: 1-line block ×8, first 2 shown]
	global_load_dwordx4 v[35:38], v[63:64], off offset:2048
	global_load_dwordx4 v[39:42], v[63:64], off offset:2064
	v_fmac_f32_e32 v13, v43, v57
	v_fmac_f32_e32 v26, v44, v57
	;; [unrolled: 1-line block ×4, first 2 shown]
	global_load_dwordx4 v[43:46], v[63:64], off offset:2080
	v_fmac_f32_e32 v13, v47, v58
	v_fmac_f32_e32 v26, v48, v58
	;; [unrolled: 1-line block ×4, first 2 shown]
	global_load_dwordx4 v[47:50], v[59:60], off
	global_load_dwordx4 v[55:58], v[63:64], off offset:2096
	v_add_co_u32_e32 v6, vcc, 0x80, v6
	v_addc_co_u32_e32 v7, vcc, 0, v7, vcc
	v_add_co_u32_e32 v14, vcc, 0x400, v14
	v_addc_co_u32_e32 v15, vcc, 0, v15, vcc
	v_cmp_ge_i64_e64 s[0:1], v[6:7], v[8:9]
	v_add_co_u32_e32 v10, vcc, 0x2000, v10
	v_addc_co_u32_e32 v11, vcc, 0, v11, vcc
	s_or_b64 s[10:11], s[0:1], s[10:11]
	s_waitcnt vmcnt(5)
	v_fmac_f32_e32 v13, v17, v51
	v_fmac_f32_e32 v26, v18, v51
	;; [unrolled: 1-line block ×16, first 2 shown]
	s_waitcnt vmcnt(1)
	v_fmac_f32_e32 v13, v35, v47
	v_fmac_f32_e32 v26, v36, v47
	;; [unrolled: 1-line block ×12, first 2 shown]
	s_waitcnt vmcnt(0)
	v_fmac_f32_e32 v13, v55, v50
	v_fmac_f32_e32 v26, v56, v50
	v_fmac_f32_e32 v12, v57, v50
	v_fmac_f32_e32 v3, v58, v50
	s_andn2_b64 exec, exec, s[10:11]
	s_cbranch_execnz .LBB43_35
; %bb.36:
	s_or_b64 exec, exec, s[10:11]
.LBB43_37:
	s_or_b64 exec, exec, s[6:7]
.LBB43_38:
	s_or_b64 exec, exec, s[2:3]
.LBB43_39:
	v_mov_b32_dpp v1, v13 row_shr:1 row_mask:0xf bank_mask:0xf
	v_mov_b32_dpp v6, v26 row_shr:1 row_mask:0xf bank_mask:0xf
	v_mov_b32_dpp v8, v12 row_shr:1 row_mask:0xf bank_mask:0xf
	v_mov_b32_dpp v10, v3 row_shr:1 row_mask:0xf bank_mask:0xf
	v_add_f32_e32 v1, v13, v1
	v_add_f32_e32 v6, v26, v6
	v_add_f32_e32 v8, v12, v8
	v_add_f32_e32 v3, v3, v10
	v_mov_b32_dpp v2, v1 row_shr:2 row_mask:0xf bank_mask:0xf
	v_mov_b32_dpp v7, v6 row_shr:2 row_mask:0xf bank_mask:0xf
	v_mov_b32_dpp v9, v8 row_shr:2 row_mask:0xf bank_mask:0xf
	v_mov_b32_dpp v10, v3 row_shr:2 row_mask:0xf bank_mask:0xf
	v_add_f32_e32 v1, v1, v2
	v_add_f32_e32 v6, v6, v7
	v_add_f32_e32 v8, v8, v9
	v_add_f32_e32 v3, v3, v10
	;; [unrolled: 8-line block ×4, first 2 shown]
	v_mov_b32_dpp v2, v1 row_bcast:15 row_mask:0xa bank_mask:0xf
	v_mov_b32_dpp v7, v6 row_bcast:15 row_mask:0xa bank_mask:0xf
	v_mov_b32_dpp v9, v8 row_bcast:15 row_mask:0xa bank_mask:0xf
	v_mov_b32_dpp v10, v3 row_bcast:15 row_mask:0xa bank_mask:0xf
	v_cmp_eq_u32_e32 vcc, 31, v0
	s_and_b64 exec, exec, vcc
	s_cbranch_execz .LBB43_10
; %bb.40:
	s_load_dwordx2 s[0:1], s[4:5], 0x58
	v_add_f32_e32 v0, v1, v2
	v_add_f32_e32 v1, v6, v7
	;; [unrolled: 1-line block ×4, first 2 shown]
	v_cmp_eq_f32_e64 s[2:3], s20, 0
	v_lshlrev_b64 v[4:5], 4, v[4:5]
	s_and_b64 vcc, exec, s[2:3]
	v_mul_f32_e32 v0, s16, v0
	v_mul_f32_e32 v1, s16, v1
	;; [unrolled: 1-line block ×4, first 2 shown]
	s_cbranch_vccz .LBB43_42
; %bb.41:
	s_waitcnt lgkmcnt(0)
	v_mov_b32_e32 v7, s1
	v_add_co_u32_e32 v6, vcc, s0, v4
	v_addc_co_u32_e32 v7, vcc, v7, v5, vcc
	global_store_dwordx4 v[6:7], v[0:3], off
	s_cbranch_execnz .LBB43_10
	s_branch .LBB43_43
.LBB43_42:
.LBB43_43:
	s_waitcnt lgkmcnt(0)
	v_mov_b32_e32 v6, s1
	v_add_co_u32_e32 v8, vcc, s0, v4
	v_addc_co_u32_e32 v9, vcc, v6, v5, vcc
	global_load_dwordx4 v[4:7], v[8:9], off
	s_waitcnt vmcnt(0)
	v_fmac_f32_e32 v0, s20, v4
	v_fmac_f32_e32 v1, s20, v5
	;; [unrolled: 1-line block ×4, first 2 shown]
	global_store_dwordx4 v[8:9], v[0:3], off
	s_endpgm
	.section	.rodata,"a",@progbits
	.p2align	6, 0x0
	.amdhsa_kernel _ZN9rocsparseL18bsrxmvn_4x4_kernelILj128ELj32EfllfffEEvT3_20rocsparse_direction_NS_24const_host_device_scalarIT1_EES1_PKS1_PKT2_SA_S7_PKT4_PKT5_S5_PT6_21rocsparse_index_base_b
		.amdhsa_group_segment_fixed_size 0
		.amdhsa_private_segment_fixed_size 0
		.amdhsa_kernarg_size 104
		.amdhsa_user_sgpr_count 6
		.amdhsa_user_sgpr_private_segment_buffer 1
		.amdhsa_user_sgpr_dispatch_ptr 0
		.amdhsa_user_sgpr_queue_ptr 0
		.amdhsa_user_sgpr_kernarg_segment_ptr 1
		.amdhsa_user_sgpr_dispatch_id 0
		.amdhsa_user_sgpr_flat_scratch_init 0
		.amdhsa_user_sgpr_private_segment_size 0
		.amdhsa_uses_dynamic_stack 0
		.amdhsa_system_sgpr_private_segment_wavefront_offset 0
		.amdhsa_system_sgpr_workgroup_id_x 1
		.amdhsa_system_sgpr_workgroup_id_y 0
		.amdhsa_system_sgpr_workgroup_id_z 0
		.amdhsa_system_sgpr_workgroup_info 0
		.amdhsa_system_vgpr_workitem_id 0
		.amdhsa_next_free_vgpr 65
		.amdhsa_next_free_sgpr 22
		.amdhsa_reserve_vcc 1
		.amdhsa_reserve_flat_scratch 0
		.amdhsa_float_round_mode_32 0
		.amdhsa_float_round_mode_16_64 0
		.amdhsa_float_denorm_mode_32 3
		.amdhsa_float_denorm_mode_16_64 3
		.amdhsa_dx10_clamp 1
		.amdhsa_ieee_mode 1
		.amdhsa_fp16_overflow 0
		.amdhsa_exception_fp_ieee_invalid_op 0
		.amdhsa_exception_fp_denorm_src 0
		.amdhsa_exception_fp_ieee_div_zero 0
		.amdhsa_exception_fp_ieee_overflow 0
		.amdhsa_exception_fp_ieee_underflow 0
		.amdhsa_exception_fp_ieee_inexact 0
		.amdhsa_exception_int_div_zero 0
	.end_amdhsa_kernel
	.section	.text._ZN9rocsparseL18bsrxmvn_4x4_kernelILj128ELj32EfllfffEEvT3_20rocsparse_direction_NS_24const_host_device_scalarIT1_EES1_PKS1_PKT2_SA_S7_PKT4_PKT5_S5_PT6_21rocsparse_index_base_b,"axG",@progbits,_ZN9rocsparseL18bsrxmvn_4x4_kernelILj128ELj32EfllfffEEvT3_20rocsparse_direction_NS_24const_host_device_scalarIT1_EES1_PKS1_PKT2_SA_S7_PKT4_PKT5_S5_PT6_21rocsparse_index_base_b,comdat
.Lfunc_end43:
	.size	_ZN9rocsparseL18bsrxmvn_4x4_kernelILj128ELj32EfllfffEEvT3_20rocsparse_direction_NS_24const_host_device_scalarIT1_EES1_PKS1_PKT2_SA_S7_PKT4_PKT5_S5_PT6_21rocsparse_index_base_b, .Lfunc_end43-_ZN9rocsparseL18bsrxmvn_4x4_kernelILj128ELj32EfllfffEEvT3_20rocsparse_direction_NS_24const_host_device_scalarIT1_EES1_PKS1_PKT2_SA_S7_PKT4_PKT5_S5_PT6_21rocsparse_index_base_b
                                        ; -- End function
	.set _ZN9rocsparseL18bsrxmvn_4x4_kernelILj128ELj32EfllfffEEvT3_20rocsparse_direction_NS_24const_host_device_scalarIT1_EES1_PKS1_PKT2_SA_S7_PKT4_PKT5_S5_PT6_21rocsparse_index_base_b.num_vgpr, 65
	.set _ZN9rocsparseL18bsrxmvn_4x4_kernelILj128ELj32EfllfffEEvT3_20rocsparse_direction_NS_24const_host_device_scalarIT1_EES1_PKS1_PKT2_SA_S7_PKT4_PKT5_S5_PT6_21rocsparse_index_base_b.num_agpr, 0
	.set _ZN9rocsparseL18bsrxmvn_4x4_kernelILj128ELj32EfllfffEEvT3_20rocsparse_direction_NS_24const_host_device_scalarIT1_EES1_PKS1_PKT2_SA_S7_PKT4_PKT5_S5_PT6_21rocsparse_index_base_b.numbered_sgpr, 22
	.set _ZN9rocsparseL18bsrxmvn_4x4_kernelILj128ELj32EfllfffEEvT3_20rocsparse_direction_NS_24const_host_device_scalarIT1_EES1_PKS1_PKT2_SA_S7_PKT4_PKT5_S5_PT6_21rocsparse_index_base_b.num_named_barrier, 0
	.set _ZN9rocsparseL18bsrxmvn_4x4_kernelILj128ELj32EfllfffEEvT3_20rocsparse_direction_NS_24const_host_device_scalarIT1_EES1_PKS1_PKT2_SA_S7_PKT4_PKT5_S5_PT6_21rocsparse_index_base_b.private_seg_size, 0
	.set _ZN9rocsparseL18bsrxmvn_4x4_kernelILj128ELj32EfllfffEEvT3_20rocsparse_direction_NS_24const_host_device_scalarIT1_EES1_PKS1_PKT2_SA_S7_PKT4_PKT5_S5_PT6_21rocsparse_index_base_b.uses_vcc, 1
	.set _ZN9rocsparseL18bsrxmvn_4x4_kernelILj128ELj32EfllfffEEvT3_20rocsparse_direction_NS_24const_host_device_scalarIT1_EES1_PKS1_PKT2_SA_S7_PKT4_PKT5_S5_PT6_21rocsparse_index_base_b.uses_flat_scratch, 0
	.set _ZN9rocsparseL18bsrxmvn_4x4_kernelILj128ELj32EfllfffEEvT3_20rocsparse_direction_NS_24const_host_device_scalarIT1_EES1_PKS1_PKT2_SA_S7_PKT4_PKT5_S5_PT6_21rocsparse_index_base_b.has_dyn_sized_stack, 0
	.set _ZN9rocsparseL18bsrxmvn_4x4_kernelILj128ELj32EfllfffEEvT3_20rocsparse_direction_NS_24const_host_device_scalarIT1_EES1_PKS1_PKT2_SA_S7_PKT4_PKT5_S5_PT6_21rocsparse_index_base_b.has_recursion, 0
	.set _ZN9rocsparseL18bsrxmvn_4x4_kernelILj128ELj32EfllfffEEvT3_20rocsparse_direction_NS_24const_host_device_scalarIT1_EES1_PKS1_PKT2_SA_S7_PKT4_PKT5_S5_PT6_21rocsparse_index_base_b.has_indirect_call, 0
	.section	.AMDGPU.csdata,"",@progbits
; Kernel info:
; codeLenInByte = 3208
; TotalNumSgprs: 26
; NumVgprs: 65
; ScratchSize: 0
; MemoryBound: 0
; FloatMode: 240
; IeeeMode: 1
; LDSByteSize: 0 bytes/workgroup (compile time only)
; SGPRBlocks: 3
; VGPRBlocks: 16
; NumSGPRsForWavesPerEU: 26
; NumVGPRsForWavesPerEU: 65
; Occupancy: 3
; WaveLimiterHint : 1
; COMPUTE_PGM_RSRC2:SCRATCH_EN: 0
; COMPUTE_PGM_RSRC2:USER_SGPR: 6
; COMPUTE_PGM_RSRC2:TRAP_HANDLER: 0
; COMPUTE_PGM_RSRC2:TGID_X_EN: 1
; COMPUTE_PGM_RSRC2:TGID_Y_EN: 0
; COMPUTE_PGM_RSRC2:TGID_Z_EN: 0
; COMPUTE_PGM_RSRC2:TIDIG_COMP_CNT: 0
	.section	.text._ZN9rocsparseL18bsrxmvn_4x4_kernelILj128ELj64EfllfffEEvT3_20rocsparse_direction_NS_24const_host_device_scalarIT1_EES1_PKS1_PKT2_SA_S7_PKT4_PKT5_S5_PT6_21rocsparse_index_base_b,"axG",@progbits,_ZN9rocsparseL18bsrxmvn_4x4_kernelILj128ELj64EfllfffEEvT3_20rocsparse_direction_NS_24const_host_device_scalarIT1_EES1_PKS1_PKT2_SA_S7_PKT4_PKT5_S5_PT6_21rocsparse_index_base_b,comdat
	.globl	_ZN9rocsparseL18bsrxmvn_4x4_kernelILj128ELj64EfllfffEEvT3_20rocsparse_direction_NS_24const_host_device_scalarIT1_EES1_PKS1_PKT2_SA_S7_PKT4_PKT5_S5_PT6_21rocsparse_index_base_b ; -- Begin function _ZN9rocsparseL18bsrxmvn_4x4_kernelILj128ELj64EfllfffEEvT3_20rocsparse_direction_NS_24const_host_device_scalarIT1_EES1_PKS1_PKT2_SA_S7_PKT4_PKT5_S5_PT6_21rocsparse_index_base_b
	.p2align	8
	.type	_ZN9rocsparseL18bsrxmvn_4x4_kernelILj128ELj64EfllfffEEvT3_20rocsparse_direction_NS_24const_host_device_scalarIT1_EES1_PKS1_PKT2_SA_S7_PKT4_PKT5_S5_PT6_21rocsparse_index_base_b,@function
_ZN9rocsparseL18bsrxmvn_4x4_kernelILj128ELj64EfllfffEEvT3_20rocsparse_direction_NS_24const_host_device_scalarIT1_EES1_PKS1_PKT2_SA_S7_PKT4_PKT5_S5_PT6_21rocsparse_index_base_b: ; @_ZN9rocsparseL18bsrxmvn_4x4_kernelILj128ELj64EfllfffEEvT3_20rocsparse_direction_NS_24const_host_device_scalarIT1_EES1_PKS1_PKT2_SA_S7_PKT4_PKT5_S5_PT6_21rocsparse_index_base_b
; %bb.0:
	s_load_dwordx2 s[0:1], s[4:5], 0x60
	s_load_dwordx4 s[16:19], s[4:5], 0x10
	s_load_dwordx2 s[20:21], s[4:5], 0x50
	s_waitcnt lgkmcnt(0)
	s_bitcmp1_b32 s1, 0
	s_cselect_b64 s[8:9], -1, 0
	s_xor_b64 s[2:3], s[8:9], -1
	s_and_b64 vcc, exec, s[8:9]
	s_cbranch_vccnz .LBB44_2
; %bb.1:
	s_load_dword s16, s[16:17], 0x0
.LBB44_2:
	s_andn2_b64 vcc, exec, s[2:3]
	s_cbranch_vccnz .LBB44_4
; %bb.3:
	s_load_dword s20, s[20:21], 0x0
.LBB44_4:
	s_waitcnt lgkmcnt(0)
	v_cmp_neq_f32_e64 s[2:3], s16, 0
	v_cmp_neq_f32_e64 s[8:9], s20, 1.0
	s_or_b64 s[2:3], s[2:3], s[8:9]
	s_andn2_b64 vcc, exec, s[2:3]
	s_cbranch_vccnz .LBB44_10
; %bb.5:
	s_load_dwordx2 s[8:9], s[4:5], 0x20
	v_lshrrev_b32_e32 v1, 6, v0
	v_lshl_or_b32 v6, s6, 1, v1
	v_mov_b32_e32 v7, 0
	s_mov_b64 s[2:3], 0
	s_waitcnt lgkmcnt(0)
	s_cmp_lg_u64 s[8:9], 0
	s_cbranch_scc0 .LBB44_11
; %bb.6:
	v_cmp_gt_i64_e32 vcc, s[18:19], v[6:7]
                                        ; implicit-def: $vgpr4_vgpr5
                                        ; implicit-def: $vgpr1_vgpr2
	s_and_saveexec_b64 s[6:7], vcc
	s_xor_b64 s[6:7], exec, s[6:7]
	s_cbranch_execz .LBB44_8
; %bb.7:
	v_lshlrev_b64 v[1:2], 3, v[6:7]
	v_mov_b32_e32 v3, s9
	v_add_co_u32_e32 v1, vcc, s8, v1
	v_addc_co_u32_e32 v2, vcc, v3, v2, vcc
	global_load_dwordx2 v[1:2], v[1:2], off
	s_mov_b32 s1, 0
	s_mov_b64 s[2:3], exec
	s_waitcnt vmcnt(0)
	v_subrev_co_u32_e32 v4, vcc, s0, v1
	v_subbrev_co_u32_e32 v5, vcc, 0, v2, vcc
	v_mov_b32_e32 v2, s1
	v_mov_b32_e32 v1, s0
.LBB44_8:
	s_or_b64 exec, exec, s[6:7]
.LBB44_9:
	s_and_saveexec_b64 s[0:1], s[2:3]
	s_cbranch_execnz .LBB44_15
.LBB44_10:
	s_endpgm
.LBB44_11:
                                        ; implicit-def: $vgpr4_vgpr5
                                        ; implicit-def: $vgpr1_vgpr2
	s_cbranch_execz .LBB44_9
; %bb.12:
	s_load_dwordx2 s[6:7], s[4:5], 0x0
	s_waitcnt lgkmcnt(0)
	v_cmp_gt_i64_e32 vcc, s[6:7], v[6:7]
	s_and_saveexec_b64 s[6:7], vcc
; %bb.13:
	s_mov_b32 s1, 0
	s_or_b64 s[2:3], s[2:3], exec
; %bb.14:
	s_or_b64 exec, exec, s[6:7]
	v_mov_b32_e32 v2, s1
	v_mov_b32_e32 v4, v6
	v_mov_b32_e32 v1, s0
	v_mov_b32_e32 v5, v7
	s_and_saveexec_b64 s[0:1], s[2:3]
	s_cbranch_execz .LBB44_10
.LBB44_15:
	s_load_dwordx8 s[8:15], s[4:5], 0x28
	v_lshlrev_b64 v[6:7], 3, v[4:5]
	v_and_b32_e32 v0, 63, v0
	s_waitcnt lgkmcnt(0)
	v_mov_b32_e32 v3, s9
	v_add_co_u32_e32 v8, vcc, s8, v6
	v_addc_co_u32_e32 v9, vcc, v3, v7, vcc
	v_add_co_u32_e32 v3, vcc, 8, v8
	global_load_dwordx2 v[14:15], v[8:9], off
	v_addc_co_u32_e32 v8, vcc, 0, v9, vcc
	v_mov_b32_e32 v9, s11
	v_add_co_u32_e32 v6, vcc, s10, v6
	s_cmp_eq_u64 s[10:11], 0
	v_addc_co_u32_e32 v7, vcc, v9, v7, vcc
	s_cselect_b64 vcc, -1, 0
	v_cndmask_b32_e32 v7, v7, v8, vcc
	v_cndmask_b32_e32 v6, v6, v3, vcc
	global_load_dwordx2 v[8:9], v[6:7], off
	s_load_dword s0, s[4:5], 0x8
	s_load_dwordx2 s[8:9], s[4:5], 0x48
	v_mov_b32_e32 v12, s15
	v_mov_b32_e32 v3, 0
	s_waitcnt lgkmcnt(0)
	s_cmp_eq_u32 s0, 1
	s_waitcnt vmcnt(1)
	v_sub_co_u32_e32 v6, vcc, v14, v1
	v_subb_co_u32_e32 v7, vcc, v15, v2, vcc
	v_add_co_u32_e32 v6, vcc, v6, v0
	v_addc_co_u32_e32 v7, vcc, 0, v7, vcc
	v_lshlrev_b64 v[10:11], 6, v[6:7]
	s_waitcnt vmcnt(0)
	v_sub_co_u32_e32 v8, vcc, v8, v1
	v_subb_co_u32_e32 v9, vcc, v9, v2, vcc
	v_cmp_lt_i64_e64 s[0:1], v[6:7], v[8:9]
	v_add_co_u32_e32 v10, vcc, s14, v10
	v_addc_co_u32_e32 v11, vcc, v12, v11, vcc
	s_cbranch_scc1 .LBB44_27
; %bb.16:
	v_mov_b32_e32 v12, 0
	v_mov_b32_e32 v26, 0
	;; [unrolled: 1-line block ×3, first 2 shown]
	s_and_saveexec_b64 s[10:11], s[0:1]
	s_cbranch_execz .LBB44_26
; %bb.17:
	v_or_b32_e32 v3, 64, v0
	v_sub_co_u32_e32 v3, vcc, v3, v1
	v_subb_co_u32_e32 v13, vcc, 0, v2, vcc
	v_add_co_u32_e32 v12, vcc, v3, v14
	v_addc_co_u32_e32 v13, vcc, v13, v15, vcc
	v_cmp_gt_i64_e32 vcc, v[12:13], v[8:9]
	v_not_b32_e32 v16, v14
	v_cndmask_b32_e32 v3, v9, v13, vcc
	v_cndmask_b32_e32 v12, v8, v12, vcc
	v_sub_co_u32_e32 v17, vcc, v1, v0
	v_subbrev_co_u32_e32 v18, vcc, 0, v2, vcc
	v_not_b32_e32 v13, v15
	v_add_co_u32_e32 v16, vcc, v17, v16
	v_addc_co_u32_e32 v13, vcc, v18, v13, vcc
	v_add_co_u32_e32 v20, vcc, v16, v12
	v_addc_co_u32_e32 v21, vcc, v13, v3, vcc
	v_and_b32_e32 v12, 0xc0, v20
	v_mov_b32_e32 v13, 0
	s_mov_b64 s[2:3], 0xc0
	v_cmp_ne_u64_e32 vcc, s[2:3], v[12:13]
	v_mov_b32_e32 v17, v7
	v_mov_b32_e32 v19, v11
	;; [unrolled: 1-line block ×7, first 2 shown]
	s_and_saveexec_b64 s[6:7], vcc
	s_cbranch_execz .LBB44_21
; %bb.18:
	v_lshlrev_b64 v[12:13], 3, v[6:7]
	v_lshrrev_b32_e32 v3, 6, v20
	v_add_u32_e32 v3, 1, v3
	v_mov_b32_e32 v17, s13
	v_add_co_u32_e32 v22, vcc, s12, v12
	v_and_b32_e32 v16, 3, v3
	v_addc_co_u32_e32 v23, vcc, v17, v13, vcc
	v_sub_co_u32_e32 v24, vcc, 0, v16
	v_mov_b32_e32 v19, v11
	v_mov_b32_e32 v17, v7
	;; [unrolled: 1-line block ×3, first 2 shown]
	s_mov_b64 s[14:15], 0
	v_subb_co_u32_e64 v25, s[2:3], 0, 0, vcc
	s_movk_i32 s17, 0x1000
	v_mov_b32_e32 v27, s9
	v_mov_b32_e32 v18, v10
	;; [unrolled: 1-line block ×6, first 2 shown]
.LBB44_19:                              ; =>This Inner Loop Header: Depth=1
	global_load_dwordx2 v[44:45], v[22:23], off
	global_load_dwordx4 v[28:31], v[18:19], off
	global_load_dwordx4 v[32:35], v[18:19], off offset:16
	global_load_dwordx4 v[36:39], v[18:19], off offset:32
	;; [unrolled: 1-line block ×3, first 2 shown]
	v_add_co_u32_e64 v16, s[2:3], 64, v16
	v_addc_co_u32_e64 v17, s[2:3], 0, v17, s[2:3]
	v_add_co_u32_e64 v24, s[2:3], 1, v24
	v_addc_co_u32_e64 v25, s[2:3], 0, v25, s[2:3]
	v_cmp_eq_u64_e64 s[2:3], 0, v[24:25]
	s_or_b64 s[14:15], s[2:3], s[14:15]
	s_waitcnt vmcnt(4)
	v_sub_co_u32_e32 v44, vcc, v44, v1
	v_subb_co_u32_e32 v45, vcc, v45, v2, vcc
	v_lshlrev_b64 v[44:45], 4, v[44:45]
	v_add_co_u32_e32 v44, vcc, s8, v44
	v_addc_co_u32_e32 v45, vcc, v27, v45, vcc
	global_load_dwordx4 v[44:47], v[44:45], off
	v_add_co_u32_e32 v18, vcc, s17, v18
	v_addc_co_u32_e32 v19, vcc, 0, v19, vcc
	v_add_co_u32_e32 v22, vcc, 0x200, v22
	v_addc_co_u32_e32 v23, vcc, 0, v23, vcc
	s_waitcnt vmcnt(0)
	v_fmac_f32_e32 v13, v28, v44
	v_fmac_f32_e32 v26, v32, v44
	;; [unrolled: 1-line block ×16, first 2 shown]
	s_andn2_b64 exec, exec, s[14:15]
	s_cbranch_execnz .LBB44_19
; %bb.20:
	s_or_b64 exec, exec, s[14:15]
.LBB44_21:
	s_or_b64 exec, exec, s[6:7]
	s_mov_b64 s[2:3], 0xbf
	v_cmp_lt_u64_e32 vcc, s[2:3], v[20:21]
	s_and_saveexec_b64 s[14:15], vcc
	s_cbranch_execz .LBB44_25
; %bb.22:
	v_lshlrev_b64 v[20:21], 3, v[16:17]
	v_mov_b32_e32 v22, s13
	v_add_co_u32_e32 v20, vcc, s12, v20
	v_addc_co_u32_e32 v21, vcc, v22, v21, vcc
	v_add_co_u32_e32 v20, vcc, 0x400, v20
	v_addc_co_u32_e32 v21, vcc, 0, v21, vcc
	s_mov_b64 s[18:19], 0
	v_mov_b32_e32 v22, s9
	s_movk_i32 s17, 0x1000
	s_movk_i32 s21, 0x2000
	;; [unrolled: 1-line block ×3, first 2 shown]
.LBB44_23:                              ; =>This Inner Loop Header: Depth=1
	global_load_dwordx2 v[23:24], v[20:21], off offset:-1024
	global_load_dwordx4 v[27:30], v[18:19], off offset:32
	global_load_dwordx4 v[31:34], v[18:19], off offset:16
	global_load_dwordx4 v[35:38], v[18:19], off
	global_load_dwordx4 v[39:42], v[18:19], off offset:48
	v_add_co_u32_e64 v53, s[2:3], s17, v18
	v_add_co_u32_e64 v55, s[6:7], s22, v18
	s_waitcnt vmcnt(4)
	v_sub_co_u32_e32 v23, vcc, v23, v1
	v_subb_co_u32_e32 v24, vcc, v24, v2, vcc
	v_lshlrev_b64 v[23:24], 4, v[23:24]
	v_add_co_u32_e32 v23, vcc, s8, v23
	v_addc_co_u32_e32 v24, vcc, v22, v24, vcc
	global_load_dwordx4 v[43:46], v[23:24], off
	v_add_co_u32_e32 v47, vcc, s21, v18
	global_load_dwordx2 v[23:24], v[20:21], off offset:-512
	v_addc_co_u32_e32 v48, vcc, 0, v19, vcc
	v_addc_co_u32_e64 v54, vcc, 0, v19, s[2:3]
	v_addc_co_u32_e64 v56, vcc, 0, v19, s[6:7]
	global_load_dwordx2 v[49:50], v[20:21], off
	global_load_dwordx2 v[51:52], v[20:21], off offset:512
	s_waitcnt vmcnt(3)
	v_fmac_f32_e32 v26, v31, v43
	v_fmac_f32_e32 v12, v27, v43
	;; [unrolled: 1-line block ×3, first 2 shown]
	s_waitcnt vmcnt(2)
	v_sub_co_u32_e32 v23, vcc, v23, v1
	v_subb_co_u32_e32 v24, vcc, v24, v2, vcc
	v_lshlrev_b64 v[23:24], 4, v[23:24]
	v_fmac_f32_e32 v12, v28, v44
	v_add_co_u32_e32 v23, vcc, s8, v23
	v_fmac_f32_e32 v26, v33, v45
	v_fmac_f32_e32 v12, v29, v45
	v_addc_co_u32_e32 v24, vcc, v22, v24, vcc
	v_fmac_f32_e32 v26, v34, v46
	v_fmac_f32_e32 v12, v30, v46
	global_load_dwordx4 v[27:30], v[47:48], off offset:-4096
	global_load_dwordx4 v[31:34], v[23:24], off
	v_fmac_f32_e32 v13, v35, v43
	v_fmac_f32_e32 v13, v36, v44
	;; [unrolled: 1-line block ×6, first 2 shown]
	s_waitcnt vmcnt(3)
	v_sub_co_u32_e32 v23, vcc, v49, v1
	v_fmac_f32_e32 v3, v41, v45
	v_subb_co_u32_e32 v24, vcc, v50, v2, vcc
	v_fmac_f32_e32 v3, v42, v46
	v_lshlrev_b64 v[23:24], 4, v[23:24]
	v_add_co_u32_e32 v23, vcc, s8, v23
	v_addc_co_u32_e32 v24, vcc, v22, v24, vcc
	s_waitcnt vmcnt(0)
	v_fmac_f32_e32 v13, v27, v31
	v_fmac_f32_e32 v13, v28, v32
	;; [unrolled: 1-line block ×4, first 2 shown]
	global_load_dwordx4 v[27:30], v[53:54], off offset:16
	s_waitcnt vmcnt(0)
	v_fmac_f32_e32 v26, v27, v31
	v_fmac_f32_e32 v26, v28, v32
	;; [unrolled: 1-line block ×4, first 2 shown]
	global_load_dwordx4 v[27:30], v[53:54], off offset:32
	global_load_dwordx4 v[35:38], v[53:54], off offset:48
	s_waitcnt vmcnt(1)
	v_fmac_f32_e32 v12, v27, v31
	s_waitcnt vmcnt(0)
	v_fmac_f32_e32 v3, v35, v31
	v_fmac_f32_e32 v12, v28, v32
	;; [unrolled: 1-line block ×6, first 2 shown]
	global_load_dwordx4 v[27:30], v[47:48], off
	v_fmac_f32_e32 v3, v38, v34
	global_load_dwordx4 v[35:38], v[23:24], off
	global_load_dwordx4 v[31:34], v[47:48], off offset:16
	v_sub_co_u32_e32 v23, vcc, v51, v1
	v_subb_co_u32_e32 v24, vcc, v52, v2, vcc
	v_lshlrev_b64 v[23:24], 4, v[23:24]
	v_add_co_u32_e32 v23, vcc, s8, v23
	v_addc_co_u32_e32 v24, vcc, v22, v24, vcc
	v_add_co_u32_e32 v16, vcc, 0x100, v16
	s_mov_b64 s[2:3], vcc
	v_add_co_u32_e32 v20, vcc, 0x800, v20
	s_mov_b64 s[6:7], vcc
	v_addc_co_u32_e64 v17, vcc, 0, v17, s[2:3]
	v_addc_co_u32_e64 v21, s[2:3], 0, v21, s[6:7]
	v_cmp_ge_i64_e64 s[2:3], v[16:17], v[8:9]
	v_add_co_u32_e32 v18, vcc, 0x4000, v18
	v_addc_co_u32_e32 v19, vcc, 0, v19, vcc
	s_or_b64 s[18:19], s[2:3], s[18:19]
	s_waitcnt vmcnt(1)
	v_fmac_f32_e32 v13, v27, v35
	v_fmac_f32_e32 v13, v28, v36
	;; [unrolled: 1-line block ×4, first 2 shown]
	global_load_dwordx4 v[27:30], v[47:48], off offset:32
	global_load_dwordx4 v[39:42], v[47:48], off offset:48
	s_waitcnt vmcnt(2)
	v_fmac_f32_e32 v26, v31, v35
	v_fmac_f32_e32 v26, v32, v36
	v_fmac_f32_e32 v26, v33, v37
	v_fmac_f32_e32 v26, v34, v38
	global_load_dwordx4 v[31:34], v[55:56], off
	s_waitcnt vmcnt(2)
	v_fmac_f32_e32 v12, v27, v35
	s_waitcnt vmcnt(1)
	v_fmac_f32_e32 v3, v39, v35
	v_fmac_f32_e32 v12, v28, v36
	;; [unrolled: 1-line block ×6, first 2 shown]
	global_load_dwordx4 v[27:30], v[55:56], off offset:48
	v_fmac_f32_e32 v3, v42, v38
	global_load_dwordx4 v[35:38], v[55:56], off offset:32
	global_load_dwordx4 v[39:42], v[55:56], off offset:16
	global_load_dwordx4 v[43:46], v[23:24], off
	s_waitcnt vmcnt(0)
	v_fmac_f32_e32 v13, v31, v43
	v_fmac_f32_e32 v26, v39, v43
	;; [unrolled: 1-line block ×16, first 2 shown]
	s_andn2_b64 exec, exec, s[18:19]
	s_cbranch_execnz .LBB44_23
; %bb.24:
	s_or_b64 exec, exec, s[18:19]
.LBB44_25:
	s_or_b64 exec, exec, s[14:15]
.LBB44_26:
	s_or_b64 exec, exec, s[10:11]
	s_cbranch_execz .LBB44_28
	s_branch .LBB44_39
.LBB44_27:
                                        ; implicit-def: $vgpr3
                                        ; implicit-def: $vgpr12
                                        ; implicit-def: $vgpr26
                                        ; implicit-def: $vgpr13
.LBB44_28:
	v_mov_b32_e32 v3, 0
	v_mov_b32_e32 v12, 0
	;; [unrolled: 1-line block ×4, first 2 shown]
	s_and_saveexec_b64 s[2:3], s[0:1]
	s_cbranch_execz .LBB44_38
; %bb.29:
	v_or_b32_e32 v3, 64, v0
	v_sub_co_u32_e32 v3, vcc, v3, v1
	v_subb_co_u32_e32 v13, vcc, 0, v2, vcc
	v_add_co_u32_e32 v12, vcc, v3, v14
	v_addc_co_u32_e32 v13, vcc, v13, v15, vcc
	v_cmp_gt_i64_e32 vcc, v[12:13], v[8:9]
	v_not_b32_e32 v14, v14
	v_cndmask_b32_e32 v3, v9, v13, vcc
	v_cndmask_b32_e32 v12, v8, v12, vcc
	v_not_b32_e32 v13, v15
	v_sub_co_u32_e32 v15, vcc, v1, v0
	v_subbrev_co_u32_e32 v16, vcc, 0, v2, vcc
	v_add_co_u32_e32 v14, vcc, v15, v14
	v_addc_co_u32_e32 v13, vcc, v16, v13, vcc
	v_add_co_u32_e32 v14, vcc, v14, v12
	v_addc_co_u32_e32 v15, vcc, v13, v3, vcc
	v_and_b32_e32 v12, 0xc0, v14
	v_mov_b32_e32 v13, 0
	s_mov_b64 s[0:1], 0xc0
	v_cmp_ne_u64_e32 vcc, s[0:1], v[12:13]
	v_mov_b32_e32 v26, v13
	v_mov_b32_e32 v12, v13
	;; [unrolled: 1-line block ×3, first 2 shown]
	s_and_saveexec_b64 s[6:7], vcc
	s_cbranch_execz .LBB44_33
; %bb.30:
	v_lshlrev_b64 v[12:13], 3, v[6:7]
	v_lshrrev_b32_e32 v3, 6, v14
	v_add_u32_e32 v3, 1, v3
	v_mov_b32_e32 v17, s13
	v_add_co_u32_e32 v16, vcc, s12, v12
	v_and_b32_e32 v18, 3, v3
	v_addc_co_u32_e32 v17, vcc, v17, v13, vcc
	v_sub_co_u32_e32 v18, vcc, 0, v18
	v_mov_b32_e32 v3, 0
	s_mov_b64 s[10:11], 0
	v_subb_co_u32_e64 v19, s[0:1], 0, 0, vcc
	s_movk_i32 s14, 0x1000
	v_mov_b32_e32 v20, s9
	v_mov_b32_e32 v12, 0
	;; [unrolled: 1-line block ×4, first 2 shown]
.LBB44_31:                              ; =>This Inner Loop Header: Depth=1
	global_load_dwordx2 v[35:36], v[16:17], off
	global_load_dwordx4 v[21:24], v[10:11], off offset:32
	global_load_dwordx4 v[27:30], v[10:11], off offset:16
	global_load_dwordx4 v[31:34], v[10:11], off
	v_add_co_u32_e64 v6, s[0:1], 64, v6
	v_addc_co_u32_e64 v7, s[0:1], 0, v7, s[0:1]
	v_add_co_u32_e64 v18, s[0:1], 1, v18
	v_addc_co_u32_e64 v19, s[0:1], 0, v19, s[0:1]
	v_cmp_eq_u64_e64 s[0:1], 0, v[18:19]
	s_or_b64 s[10:11], s[0:1], s[10:11]
	s_waitcnt vmcnt(3)
	v_sub_co_u32_e32 v35, vcc, v35, v1
	v_subb_co_u32_e32 v36, vcc, v36, v2, vcc
	v_lshlrev_b64 v[35:36], 4, v[35:36]
	v_add_co_u32_e32 v43, vcc, s8, v35
	v_addc_co_u32_e32 v44, vcc, v20, v36, vcc
	global_load_dwordx4 v[35:38], v[43:44], off
	global_load_dwordx4 v[39:42], v[10:11], off offset:48
	v_add_co_u32_e32 v10, vcc, s14, v10
	v_addc_co_u32_e32 v11, vcc, 0, v11, vcc
	v_add_co_u32_e32 v16, vcc, 0x200, v16
	v_addc_co_u32_e32 v17, vcc, 0, v17, vcc
	s_waitcnt vmcnt(1)
	v_fmac_f32_e32 v13, v31, v35
	v_fmac_f32_e32 v26, v32, v35
	;; [unrolled: 1-line block ×12, first 2 shown]
	s_waitcnt vmcnt(0)
	v_fmac_f32_e32 v13, v39, v38
	v_fmac_f32_e32 v26, v40, v38
	;; [unrolled: 1-line block ×4, first 2 shown]
	s_andn2_b64 exec, exec, s[10:11]
	s_cbranch_execnz .LBB44_31
; %bb.32:
	s_or_b64 exec, exec, s[10:11]
.LBB44_33:
	s_or_b64 exec, exec, s[6:7]
	s_mov_b64 s[0:1], 0xbf
	v_cmp_lt_u64_e32 vcc, s[0:1], v[14:15]
	s_and_saveexec_b64 s[6:7], vcc
	s_cbranch_execz .LBB44_37
; %bb.34:
	v_lshlrev_b64 v[14:15], 3, v[6:7]
	v_mov_b32_e32 v16, s13
	v_add_co_u32_e32 v14, vcc, s12, v14
	v_addc_co_u32_e32 v15, vcc, v16, v15, vcc
	v_add_co_u32_e32 v14, vcc, 0x400, v14
	v_addc_co_u32_e32 v15, vcc, 0, v15, vcc
	s_mov_b64 s[10:11], 0
	v_mov_b32_e32 v16, s9
	s_movk_i32 s9, 0x1000
	s_movk_i32 s12, 0x2000
	;; [unrolled: 1-line block ×3, first 2 shown]
.LBB44_35:                              ; =>This Inner Loop Header: Depth=1
	global_load_dwordx2 v[47:48], v[14:15], off offset:-1024
	global_load_dwordx4 v[17:20], v[10:11], off offset:32
	global_load_dwordx4 v[21:24], v[10:11], off offset:16
	v_add_co_u32_e32 v51, vcc, s12, v10
	v_addc_co_u32_e32 v52, vcc, 0, v11, vcc
	v_add_co_u32_e32 v59, vcc, s9, v10
	v_addc_co_u32_e32 v60, vcc, 0, v11, vcc
	v_add_co_u32_e32 v61, vcc, s13, v10
	v_addc_co_u32_e32 v62, vcc, 0, v11, vcc
	global_load_dwordx2 v[53:54], v[14:15], off offset:-512
	global_load_dwordx2 v[55:56], v[14:15], off
	global_load_dwordx2 v[57:58], v[14:15], off offset:512
	global_load_dwordx4 v[27:30], v[10:11], off offset:48
	global_load_dwordx4 v[31:34], v[10:11], off
	global_load_dwordx4 v[35:38], v[51:52], off offset:48
	global_load_dwordx4 v[39:42], v[51:52], off offset:-4096
	global_load_dwordx4 v[43:46], v[51:52], off
	s_waitcnt vmcnt(10)
	v_sub_co_u32_e32 v47, vcc, v47, v1
	v_subb_co_u32_e32 v48, vcc, v48, v2, vcc
	v_lshlrev_b64 v[47:48], 4, v[47:48]
	v_add_co_u32_e32 v47, vcc, s8, v47
	v_addc_co_u32_e32 v48, vcc, v16, v48, vcc
	global_load_dwordx4 v[47:50], v[47:48], off
	s_waitcnt vmcnt(0)
	v_fmac_f32_e32 v13, v31, v47
	v_fmac_f32_e32 v26, v32, v47
	;; [unrolled: 1-line block ×12, first 2 shown]
	global_load_dwordx4 v[31:34], v[59:60], off offset:16
	global_load_dwordx4 v[21:24], v[59:60], off offset:32
	;; [unrolled: 1-line block ×3, first 2 shown]
	v_fmac_f32_e32 v13, v27, v50
	v_fmac_f32_e32 v26, v28, v50
	;; [unrolled: 1-line block ×4, first 2 shown]
	global_load_dwordx4 v[27:30], v[51:52], off offset:16
	global_load_dwordx4 v[47:50], v[51:52], off offset:32
	v_sub_co_u32_e32 v51, vcc, v53, v1
	v_subb_co_u32_e32 v52, vcc, v54, v2, vcc
	v_sub_co_u32_e32 v53, vcc, v55, v1
	v_subb_co_u32_e32 v54, vcc, v56, v2, vcc
	v_sub_co_u32_e32 v55, vcc, v57, v1
	v_lshlrev_b64 v[51:52], 4, v[51:52]
	v_subb_co_u32_e32 v56, vcc, v58, v2, vcc
	v_lshlrev_b64 v[53:54], 4, v[53:54]
	v_add_co_u32_e32 v51, vcc, s8, v51
	v_addc_co_u32_e32 v52, vcc, v16, v52, vcc
	v_lshlrev_b64 v[55:56], 4, v[55:56]
	v_add_co_u32_e32 v57, vcc, s8, v53
	v_addc_co_u32_e32 v58, vcc, v16, v54, vcc
	v_add_co_u32_e32 v59, vcc, s8, v55
	v_addc_co_u32_e32 v60, vcc, v16, v56, vcc
	global_load_dwordx4 v[51:54], v[51:52], off
	s_nop 0
	global_load_dwordx4 v[55:58], v[57:58], off
	v_add_co_u32_e32 v6, vcc, 0x100, v6
	v_addc_co_u32_e32 v7, vcc, 0, v7, vcc
	v_add_co_u32_e32 v14, vcc, 0x800, v14
	v_addc_co_u32_e32 v15, vcc, 0, v15, vcc
	v_cmp_ge_i64_e64 s[0:1], v[6:7], v[8:9]
	v_add_co_u32_e32 v10, vcc, 0x4000, v10
	v_addc_co_u32_e32 v11, vcc, 0, v11, vcc
	s_or_b64 s[10:11], s[0:1], s[10:11]
	s_waitcnt vmcnt(1)
	v_fmac_f32_e32 v13, v39, v51
	v_fmac_f32_e32 v26, v40, v51
	;; [unrolled: 1-line block ×8, first 2 shown]
	global_load_dwordx4 v[39:42], v[61:62], off
	v_fmac_f32_e32 v13, v21, v53
	v_fmac_f32_e32 v26, v22, v53
	;; [unrolled: 1-line block ×4, first 2 shown]
	global_load_dwordx4 v[31:34], v[61:62], off offset:32
	global_load_dwordx4 v[21:24], v[61:62], off offset:16
	v_fmac_f32_e32 v13, v17, v54
	v_fmac_f32_e32 v26, v18, v54
	;; [unrolled: 1-line block ×4, first 2 shown]
	global_load_dwordx4 v[17:20], v[59:60], off
	global_load_dwordx4 v[51:54], v[61:62], off offset:48
	s_waitcnt vmcnt(5)
	v_fmac_f32_e32 v13, v43, v55
	v_fmac_f32_e32 v26, v44, v55
	;; [unrolled: 1-line block ×16, first 2 shown]
	s_waitcnt vmcnt(1)
	v_fmac_f32_e32 v13, v39, v17
	v_fmac_f32_e32 v26, v40, v17
	;; [unrolled: 1-line block ×12, first 2 shown]
	s_waitcnt vmcnt(0)
	v_fmac_f32_e32 v13, v51, v20
	v_fmac_f32_e32 v26, v52, v20
	;; [unrolled: 1-line block ×4, first 2 shown]
	s_andn2_b64 exec, exec, s[10:11]
	s_cbranch_execnz .LBB44_35
; %bb.36:
	s_or_b64 exec, exec, s[10:11]
.LBB44_37:
	s_or_b64 exec, exec, s[6:7]
.LBB44_38:
	s_or_b64 exec, exec, s[2:3]
.LBB44_39:
	v_mov_b32_dpp v1, v13 row_shr:1 row_mask:0xf bank_mask:0xf
	v_mov_b32_dpp v6, v26 row_shr:1 row_mask:0xf bank_mask:0xf
	v_mov_b32_dpp v8, v12 row_shr:1 row_mask:0xf bank_mask:0xf
	v_mov_b32_dpp v10, v3 row_shr:1 row_mask:0xf bank_mask:0xf
	v_add_f32_e32 v1, v13, v1
	v_add_f32_e32 v6, v26, v6
	v_add_f32_e32 v8, v12, v8
	v_add_f32_e32 v3, v3, v10
	v_mov_b32_dpp v2, v1 row_shr:2 row_mask:0xf bank_mask:0xf
	v_mov_b32_dpp v7, v6 row_shr:2 row_mask:0xf bank_mask:0xf
	v_mov_b32_dpp v9, v8 row_shr:2 row_mask:0xf bank_mask:0xf
	v_mov_b32_dpp v10, v3 row_shr:2 row_mask:0xf bank_mask:0xf
	v_add_f32_e32 v1, v1, v2
	v_add_f32_e32 v6, v6, v7
	v_add_f32_e32 v8, v8, v9
	v_add_f32_e32 v3, v3, v10
	;; [unrolled: 8-line block ×4, first 2 shown]
	v_mov_b32_dpp v2, v1 row_bcast:15 row_mask:0xa bank_mask:0xf
	v_mov_b32_dpp v7, v6 row_bcast:15 row_mask:0xa bank_mask:0xf
	v_mov_b32_dpp v9, v8 row_bcast:15 row_mask:0xa bank_mask:0xf
	v_mov_b32_dpp v10, v3 row_bcast:15 row_mask:0xa bank_mask:0xf
	v_add_f32_e32 v1, v1, v2
	v_add_f32_e32 v6, v6, v7
	;; [unrolled: 1-line block ×4, first 2 shown]
	v_mov_b32_dpp v2, v1 row_bcast:31 row_mask:0xc bank_mask:0xf
	v_mov_b32_dpp v7, v6 row_bcast:31 row_mask:0xc bank_mask:0xf
	;; [unrolled: 1-line block ×4, first 2 shown]
	v_cmp_eq_u32_e32 vcc, 63, v0
	s_and_b64 exec, exec, vcc
	s_cbranch_execz .LBB44_10
; %bb.40:
	s_load_dwordx2 s[0:1], s[4:5], 0x58
	v_add_f32_e32 v0, v1, v2
	v_add_f32_e32 v1, v6, v7
	;; [unrolled: 1-line block ×4, first 2 shown]
	v_cmp_eq_f32_e64 s[2:3], s20, 0
	v_lshlrev_b64 v[4:5], 4, v[4:5]
	s_and_b64 vcc, exec, s[2:3]
	v_mul_f32_e32 v0, s16, v0
	v_mul_f32_e32 v1, s16, v1
	;; [unrolled: 1-line block ×4, first 2 shown]
	s_cbranch_vccz .LBB44_42
; %bb.41:
	s_waitcnt lgkmcnt(0)
	v_mov_b32_e32 v7, s1
	v_add_co_u32_e32 v6, vcc, s0, v4
	v_addc_co_u32_e32 v7, vcc, v7, v5, vcc
	global_store_dwordx4 v[6:7], v[0:3], off
	s_cbranch_execnz .LBB44_10
	s_branch .LBB44_43
.LBB44_42:
.LBB44_43:
	s_waitcnt lgkmcnt(0)
	v_mov_b32_e32 v6, s1
	v_add_co_u32_e32 v8, vcc, s0, v4
	v_addc_co_u32_e32 v9, vcc, v6, v5, vcc
	global_load_dwordx4 v[4:7], v[8:9], off
	s_waitcnt vmcnt(0)
	v_fmac_f32_e32 v0, s20, v4
	v_fmac_f32_e32 v1, s20, v5
	v_fmac_f32_e32 v2, s20, v6
	v_fmac_f32_e32 v3, s20, v7
	global_store_dwordx4 v[8:9], v[0:3], off
	s_endpgm
	.section	.rodata,"a",@progbits
	.p2align	6, 0x0
	.amdhsa_kernel _ZN9rocsparseL18bsrxmvn_4x4_kernelILj128ELj64EfllfffEEvT3_20rocsparse_direction_NS_24const_host_device_scalarIT1_EES1_PKS1_PKT2_SA_S7_PKT4_PKT5_S5_PT6_21rocsparse_index_base_b
		.amdhsa_group_segment_fixed_size 0
		.amdhsa_private_segment_fixed_size 0
		.amdhsa_kernarg_size 104
		.amdhsa_user_sgpr_count 6
		.amdhsa_user_sgpr_private_segment_buffer 1
		.amdhsa_user_sgpr_dispatch_ptr 0
		.amdhsa_user_sgpr_queue_ptr 0
		.amdhsa_user_sgpr_kernarg_segment_ptr 1
		.amdhsa_user_sgpr_dispatch_id 0
		.amdhsa_user_sgpr_flat_scratch_init 0
		.amdhsa_user_sgpr_private_segment_size 0
		.amdhsa_uses_dynamic_stack 0
		.amdhsa_system_sgpr_private_segment_wavefront_offset 0
		.amdhsa_system_sgpr_workgroup_id_x 1
		.amdhsa_system_sgpr_workgroup_id_y 0
		.amdhsa_system_sgpr_workgroup_id_z 0
		.amdhsa_system_sgpr_workgroup_info 0
		.amdhsa_system_vgpr_workitem_id 0
		.amdhsa_next_free_vgpr 63
		.amdhsa_next_free_sgpr 23
		.amdhsa_reserve_vcc 1
		.amdhsa_reserve_flat_scratch 0
		.amdhsa_float_round_mode_32 0
		.amdhsa_float_round_mode_16_64 0
		.amdhsa_float_denorm_mode_32 3
		.amdhsa_float_denorm_mode_16_64 3
		.amdhsa_dx10_clamp 1
		.amdhsa_ieee_mode 1
		.amdhsa_fp16_overflow 0
		.amdhsa_exception_fp_ieee_invalid_op 0
		.amdhsa_exception_fp_denorm_src 0
		.amdhsa_exception_fp_ieee_div_zero 0
		.amdhsa_exception_fp_ieee_overflow 0
		.amdhsa_exception_fp_ieee_underflow 0
		.amdhsa_exception_fp_ieee_inexact 0
		.amdhsa_exception_int_div_zero 0
	.end_amdhsa_kernel
	.section	.text._ZN9rocsparseL18bsrxmvn_4x4_kernelILj128ELj64EfllfffEEvT3_20rocsparse_direction_NS_24const_host_device_scalarIT1_EES1_PKS1_PKT2_SA_S7_PKT4_PKT5_S5_PT6_21rocsparse_index_base_b,"axG",@progbits,_ZN9rocsparseL18bsrxmvn_4x4_kernelILj128ELj64EfllfffEEvT3_20rocsparse_direction_NS_24const_host_device_scalarIT1_EES1_PKS1_PKT2_SA_S7_PKT4_PKT5_S5_PT6_21rocsparse_index_base_b,comdat
.Lfunc_end44:
	.size	_ZN9rocsparseL18bsrxmvn_4x4_kernelILj128ELj64EfllfffEEvT3_20rocsparse_direction_NS_24const_host_device_scalarIT1_EES1_PKS1_PKT2_SA_S7_PKT4_PKT5_S5_PT6_21rocsparse_index_base_b, .Lfunc_end44-_ZN9rocsparseL18bsrxmvn_4x4_kernelILj128ELj64EfllfffEEvT3_20rocsparse_direction_NS_24const_host_device_scalarIT1_EES1_PKS1_PKT2_SA_S7_PKT4_PKT5_S5_PT6_21rocsparse_index_base_b
                                        ; -- End function
	.set _ZN9rocsparseL18bsrxmvn_4x4_kernelILj128ELj64EfllfffEEvT3_20rocsparse_direction_NS_24const_host_device_scalarIT1_EES1_PKS1_PKT2_SA_S7_PKT4_PKT5_S5_PT6_21rocsparse_index_base_b.num_vgpr, 63
	.set _ZN9rocsparseL18bsrxmvn_4x4_kernelILj128ELj64EfllfffEEvT3_20rocsparse_direction_NS_24const_host_device_scalarIT1_EES1_PKS1_PKT2_SA_S7_PKT4_PKT5_S5_PT6_21rocsparse_index_base_b.num_agpr, 0
	.set _ZN9rocsparseL18bsrxmvn_4x4_kernelILj128ELj64EfllfffEEvT3_20rocsparse_direction_NS_24const_host_device_scalarIT1_EES1_PKS1_PKT2_SA_S7_PKT4_PKT5_S5_PT6_21rocsparse_index_base_b.numbered_sgpr, 23
	.set _ZN9rocsparseL18bsrxmvn_4x4_kernelILj128ELj64EfllfffEEvT3_20rocsparse_direction_NS_24const_host_device_scalarIT1_EES1_PKS1_PKT2_SA_S7_PKT4_PKT5_S5_PT6_21rocsparse_index_base_b.num_named_barrier, 0
	.set _ZN9rocsparseL18bsrxmvn_4x4_kernelILj128ELj64EfllfffEEvT3_20rocsparse_direction_NS_24const_host_device_scalarIT1_EES1_PKS1_PKT2_SA_S7_PKT4_PKT5_S5_PT6_21rocsparse_index_base_b.private_seg_size, 0
	.set _ZN9rocsparseL18bsrxmvn_4x4_kernelILj128ELj64EfllfffEEvT3_20rocsparse_direction_NS_24const_host_device_scalarIT1_EES1_PKS1_PKT2_SA_S7_PKT4_PKT5_S5_PT6_21rocsparse_index_base_b.uses_vcc, 1
	.set _ZN9rocsparseL18bsrxmvn_4x4_kernelILj128ELj64EfllfffEEvT3_20rocsparse_direction_NS_24const_host_device_scalarIT1_EES1_PKS1_PKT2_SA_S7_PKT4_PKT5_S5_PT6_21rocsparse_index_base_b.uses_flat_scratch, 0
	.set _ZN9rocsparseL18bsrxmvn_4x4_kernelILj128ELj64EfllfffEEvT3_20rocsparse_direction_NS_24const_host_device_scalarIT1_EES1_PKS1_PKT2_SA_S7_PKT4_PKT5_S5_PT6_21rocsparse_index_base_b.has_dyn_sized_stack, 0
	.set _ZN9rocsparseL18bsrxmvn_4x4_kernelILj128ELj64EfllfffEEvT3_20rocsparse_direction_NS_24const_host_device_scalarIT1_EES1_PKS1_PKT2_SA_S7_PKT4_PKT5_S5_PT6_21rocsparse_index_base_b.has_recursion, 0
	.set _ZN9rocsparseL18bsrxmvn_4x4_kernelILj128ELj64EfllfffEEvT3_20rocsparse_direction_NS_24const_host_device_scalarIT1_EES1_PKS1_PKT2_SA_S7_PKT4_PKT5_S5_PT6_21rocsparse_index_base_b.has_indirect_call, 0
	.section	.AMDGPU.csdata,"",@progbits
; Kernel info:
; codeLenInByte = 3332
; TotalNumSgprs: 27
; NumVgprs: 63
; ScratchSize: 0
; MemoryBound: 0
; FloatMode: 240
; IeeeMode: 1
; LDSByteSize: 0 bytes/workgroup (compile time only)
; SGPRBlocks: 3
; VGPRBlocks: 15
; NumSGPRsForWavesPerEU: 27
; NumVGPRsForWavesPerEU: 63
; Occupancy: 4
; WaveLimiterHint : 1
; COMPUTE_PGM_RSRC2:SCRATCH_EN: 0
; COMPUTE_PGM_RSRC2:USER_SGPR: 6
; COMPUTE_PGM_RSRC2:TRAP_HANDLER: 0
; COMPUTE_PGM_RSRC2:TGID_X_EN: 1
; COMPUTE_PGM_RSRC2:TGID_Y_EN: 0
; COMPUTE_PGM_RSRC2:TGID_Z_EN: 0
; COMPUTE_PGM_RSRC2:TIDIG_COMP_CNT: 0
	.section	.text._ZN9rocsparseL18bsrxmvn_4x4_kernelILj128ELj4EdlldddEEvT3_20rocsparse_direction_NS_24const_host_device_scalarIT1_EES1_PKS1_PKT2_SA_S7_PKT4_PKT5_S5_PT6_21rocsparse_index_base_b,"axG",@progbits,_ZN9rocsparseL18bsrxmvn_4x4_kernelILj128ELj4EdlldddEEvT3_20rocsparse_direction_NS_24const_host_device_scalarIT1_EES1_PKS1_PKT2_SA_S7_PKT4_PKT5_S5_PT6_21rocsparse_index_base_b,comdat
	.globl	_ZN9rocsparseL18bsrxmvn_4x4_kernelILj128ELj4EdlldddEEvT3_20rocsparse_direction_NS_24const_host_device_scalarIT1_EES1_PKS1_PKT2_SA_S7_PKT4_PKT5_S5_PT6_21rocsparse_index_base_b ; -- Begin function _ZN9rocsparseL18bsrxmvn_4x4_kernelILj128ELj4EdlldddEEvT3_20rocsparse_direction_NS_24const_host_device_scalarIT1_EES1_PKS1_PKT2_SA_S7_PKT4_PKT5_S5_PT6_21rocsparse_index_base_b
	.p2align	8
	.type	_ZN9rocsparseL18bsrxmvn_4x4_kernelILj128ELj4EdlldddEEvT3_20rocsparse_direction_NS_24const_host_device_scalarIT1_EES1_PKS1_PKT2_SA_S7_PKT4_PKT5_S5_PT6_21rocsparse_index_base_b,@function
_ZN9rocsparseL18bsrxmvn_4x4_kernelILj128ELj4EdlldddEEvT3_20rocsparse_direction_NS_24const_host_device_scalarIT1_EES1_PKS1_PKT2_SA_S7_PKT4_PKT5_S5_PT6_21rocsparse_index_base_b: ; @_ZN9rocsparseL18bsrxmvn_4x4_kernelILj128ELj4EdlldddEEvT3_20rocsparse_direction_NS_24const_host_device_scalarIT1_EES1_PKS1_PKT2_SA_S7_PKT4_PKT5_S5_PT6_21rocsparse_index_base_b
; %bb.0:
	s_load_dwordx2 s[8:9], s[4:5], 0x60
	s_load_dwordx4 s[0:3], s[4:5], 0x10
	s_load_dwordx2 s[10:11], s[4:5], 0x50
	s_waitcnt lgkmcnt(0)
	s_bitcmp1_b32 s9, 0
	s_cselect_b64 s[14:15], -1, 0
	v_mov_b32_e32 v3, s1
	s_xor_b64 s[12:13], s[14:15], -1
	s_and_b64 vcc, exec, s[14:15]
	v_mov_b32_e32 v2, s0
	s_cbranch_vccnz .LBB45_2
; %bb.1:
	v_mov_b32_e32 v2, s1
	v_mov_b32_e32 v1, s0
	flat_load_dwordx2 v[2:3], v[1:2]
.LBB45_2:
	v_mov_b32_e32 v8, s10
	s_andn2_b64 vcc, exec, s[12:13]
	v_mov_b32_e32 v9, s11
	s_cbranch_vccnz .LBB45_4
; %bb.3:
	v_mov_b32_e32 v4, s10
	v_mov_b32_e32 v5, s11
	flat_load_dwordx2 v[8:9], v[4:5]
.LBB45_4:
	s_waitcnt vmcnt(0) lgkmcnt(0)
	v_cmp_neq_f64_e32 vcc, 0, v[2:3]
	v_cmp_neq_f64_e64 s[0:1], 1.0, v[8:9]
	s_mov_b64 s[10:11], 0
	s_or_b64 s[0:1], vcc, s[0:1]
	s_and_saveexec_b64 s[12:13], s[0:1]
	s_cbranch_execz .LBB45_10
; %bb.5:
	s_load_dwordx2 s[12:13], s[4:5], 0x20
	v_lshrrev_b32_e32 v1, 2, v0
	v_lshl_or_b32 v6, s6, 5, v1
	v_mov_b32_e32 v7, 0
	s_mov_b64 s[0:1], 0
	s_waitcnt lgkmcnt(0)
	s_cmp_lg_u64 s[12:13], 0
	s_cbranch_scc0 .LBB45_11
; %bb.6:
	v_cmp_gt_i64_e32 vcc, s[2:3], v[6:7]
                                        ; implicit-def: $vgpr10_vgpr11
                                        ; implicit-def: $vgpr4_vgpr5
	s_and_saveexec_b64 s[2:3], vcc
	s_xor_b64 s[2:3], exec, s[2:3]
	s_cbranch_execz .LBB45_8
; %bb.7:
	v_lshlrev_b64 v[4:5], 3, v[6:7]
	v_mov_b32_e32 v1, s13
	v_add_co_u32_e32 v4, vcc, s12, v4
	v_addc_co_u32_e32 v5, vcc, v1, v5, vcc
	global_load_dwordx2 v[4:5], v[4:5], off
	s_mov_b32 s9, 0
	s_mov_b64 s[0:1], exec
	s_waitcnt vmcnt(0)
	v_subrev_co_u32_e32 v10, vcc, s8, v4
	v_subbrev_co_u32_e32 v11, vcc, 0, v5, vcc
	v_mov_b32_e32 v4, s8
	v_mov_b32_e32 v5, s9
.LBB45_8:
	s_or_b64 exec, exec, s[2:3]
	s_mov_b64 s[10:11], s[0:1]
.LBB45_9:
	s_and_b64 exec, exec, s[10:11]
	s_cbranch_execnz .LBB45_15
.LBB45_10:
	s_endpgm
.LBB45_11:
                                        ; implicit-def: $vgpr10_vgpr11
                                        ; implicit-def: $vgpr4_vgpr5
	s_cbranch_execz .LBB45_9
; %bb.12:
	s_load_dwordx2 s[0:1], s[4:5], 0x0
	s_waitcnt lgkmcnt(0)
	v_cmp_gt_i64_e32 vcc, s[0:1], v[6:7]
	s_and_saveexec_b64 s[0:1], vcc
; %bb.13:
	s_mov_b32 s9, 0
	s_or_b64 s[10:11], s[10:11], exec
; %bb.14:
	s_or_b64 exec, exec, s[0:1]
	v_mov_b32_e32 v4, s8
	v_mov_b32_e32 v11, v7
	;; [unrolled: 1-line block ×4, first 2 shown]
	s_and_b64 exec, exec, s[10:11]
	s_cbranch_execz .LBB45_10
.LBB45_15:
	s_load_dwordx8 s[8:15], s[4:5], 0x28
	v_lshlrev_b64 v[6:7], 3, v[10:11]
	v_and_b32_e32 v34, 3, v0
	s_waitcnt lgkmcnt(0)
	v_mov_b32_e32 v1, s9
	v_add_co_u32_e32 v12, vcc, s8, v6
	v_addc_co_u32_e32 v13, vcc, v1, v7, vcc
	v_add_co_u32_e32 v1, vcc, 8, v12
	global_load_dwordx2 v[14:15], v[12:13], off
	v_addc_co_u32_e32 v12, vcc, 0, v13, vcc
	v_mov_b32_e32 v13, s11
	v_add_co_u32_e32 v6, vcc, s10, v6
	s_cmp_eq_u64 s[10:11], 0
	v_addc_co_u32_e32 v7, vcc, v13, v7, vcc
	s_cselect_b64 vcc, -1, 0
	v_cndmask_b32_e32 v7, v7, v12, vcc
	v_cndmask_b32_e32 v6, v6, v1, vcc
	global_load_dwordx2 v[6:7], v[6:7], off
	s_load_dword s0, s[4:5], 0x8
	s_load_dwordx2 s[10:11], s[4:5], 0x48
	v_mov_b32_e32 v16, s15
	s_waitcnt lgkmcnt(0)
	s_cmp_eq_u32 s0, 1
	s_waitcnt vmcnt(1)
	v_sub_co_u32_e32 v0, vcc, v14, v4
	v_subb_co_u32_e32 v1, vcc, v15, v5, vcc
	v_add_co_u32_e32 v0, vcc, v0, v34
	v_addc_co_u32_e32 v1, vcc, 0, v1, vcc
	v_lshlrev_b64 v[12:13], 7, v[0:1]
	s_waitcnt vmcnt(0)
	v_sub_co_u32_e32 v6, vcc, v6, v4
	v_subb_co_u32_e32 v7, vcc, v7, v5, vcc
	v_cmp_lt_i64_e64 s[0:1], v[0:1], v[6:7]
	v_add_co_u32_e32 v12, vcc, s14, v12
	v_addc_co_u32_e32 v13, vcc, v16, v13, vcc
	s_cbranch_scc1 .LBB45_27
; %bb.16:
	v_mov_b32_e32 v22, 0
	v_mov_b32_e32 v26, 0
	;; [unrolled: 1-line block ×8, first 2 shown]
	s_and_saveexec_b64 s[14:15], s[0:1]
	s_cbranch_execz .LBB45_26
; %bb.17:
	v_or_b32_e32 v16, 4, v34
	v_sub_co_u32_e32 v16, vcc, v16, v4
	v_subb_co_u32_e32 v17, vcc, 0, v5, vcc
	v_add_co_u32_e32 v16, vcc, v16, v14
	v_addc_co_u32_e32 v17, vcc, v17, v15, vcc
	v_cmp_gt_i64_e32 vcc, v[16:17], v[6:7]
	v_not_b32_e32 v19, v14
	v_cndmask_b32_e32 v17, v7, v17, vcc
	v_cndmask_b32_e32 v16, v6, v16, vcc
	v_sub_co_u32_e32 v20, vcc, v4, v34
	v_subbrev_co_u32_e32 v21, vcc, 0, v5, vcc
	v_not_b32_e32 v18, v15
	v_add_co_u32_e32 v19, vcc, v20, v19
	v_addc_co_u32_e32 v18, vcc, v21, v18, vcc
	v_add_co_u32_e32 v28, vcc, v19, v16
	v_addc_co_u32_e32 v29, vcc, v18, v17, vcc
	v_and_b32_e32 v16, 12, v28
	v_mov_b32_e32 v17, 0
	v_cmp_ne_u64_e32 vcc, 12, v[16:17]
	v_mov_b32_e32 v20, 0
	v_mov_b32_e32 v24, 0
	;; [unrolled: 1-line block ×12, first 2 shown]
	s_and_saveexec_b64 s[16:17], vcc
	s_cbranch_execz .LBB45_21
; %bb.18:
	v_lshrrev_b32_e32 v16, 2, v28
	v_add_u32_e32 v16, 1, v16
	v_and_b32_e32 v18, 3, v16
	v_lshlrev_b64 v[16:17], 3, v[0:1]
	v_mov_b32_e32 v19, s13
	v_add_co_u32_e32 v30, vcc, s12, v16
	v_addc_co_u32_e32 v31, vcc, v19, v17, vcc
	v_sub_co_u32_e32 v32, vcc, 0, v18
	v_mov_b32_e32 v22, 0
	v_mov_b32_e32 v17, v13
	;; [unrolled: 1-line block ×6, first 2 shown]
	s_mov_b64 s[18:19], 0
	v_subb_co_u32_e64 v33, s[2:3], 0, 0, vcc
	v_mov_b32_e32 v23, 0
	s_movk_i32 s20, 0x200
	v_mov_b32_e32 v16, v12
	v_mov_b32_e32 v27, 0
	;; [unrolled: 1-line block ×5, first 2 shown]
.LBB45_19:                              ; =>This Inner Loop Header: Depth=1
	global_load_dwordx2 v[47:48], v[30:31], off
	global_load_dwordx4 v[35:38], v[16:17], off offset:32
	global_load_dwordx4 v[39:42], v[16:17], off
	v_mov_b32_e32 v49, s11
	global_load_dwordx4 v[43:46], v[16:17], off offset:64
	v_add_co_u32_e64 v18, s[2:3], 4, v18
	v_add_co_u32_e64 v30, s[6:7], 32, v30
	;; [unrolled: 1-line block ×3, first 2 shown]
	v_addc_co_u32_e64 v19, s[2:3], 0, v19, s[2:3]
	v_addc_co_u32_e64 v31, s[2:3], 0, v31, s[6:7]
	;; [unrolled: 1-line block ×3, first 2 shown]
	v_cmp_eq_u64_e64 s[2:3], 0, v[32:33]
	s_or_b64 s[18:19], s[2:3], s[18:19]
	s_waitcnt vmcnt(3)
	v_sub_co_u32_e32 v47, vcc, v47, v4
	v_subb_co_u32_e32 v48, vcc, v48, v5, vcc
	v_lshlrev_b64 v[47:48], 5, v[47:48]
	v_add_co_u32_e32 v51, vcc, s10, v47
	v_addc_co_u32_e32 v52, vcc, v49, v48, vcc
	global_load_dwordx4 v[47:50], v[51:52], off
	s_waitcnt vmcnt(0)
	v_fma_f64 v[20:21], v[39:40], v[47:48], v[20:21]
	v_fma_f64 v[24:25], v[35:36], v[47:48], v[24:25]
	;; [unrolled: 1-line block ×3, first 2 shown]
	global_load_dwordx4 v[39:42], v[16:17], off offset:96
	v_fma_f64 v[53:54], v[37:38], v[49:50], v[24:25]
	v_fma_f64 v[24:25], v[43:44], v[47:48], v[26:27]
	global_load_dwordx4 v[35:38], v[16:17], off offset:48
	v_fma_f64 v[55:56], v[45:46], v[49:50], v[24:25]
	global_load_dwordx4 v[24:27], v[16:17], off offset:16
	s_waitcnt vmcnt(2)
	v_fma_f64 v[22:23], v[39:40], v[47:48], v[22:23]
	v_fma_f64 v[22:23], v[41:42], v[49:50], v[22:23]
	global_load_dwordx4 v[39:42], v[16:17], off offset:80
	global_load_dwordx4 v[43:46], v[51:52], off offset:16
	;; [unrolled: 1-line block ×3, first 2 shown]
	v_add_co_u32_e32 v16, vcc, s20, v16
	v_addc_co_u32_e32 v17, vcc, 0, v17, vcc
	s_waitcnt vmcnt(1)
	v_fma_f64 v[20:21], v[24:25], v[43:44], v[20:21]
	v_fma_f64 v[24:25], v[35:36], v[43:44], v[53:54]
	s_waitcnt vmcnt(0)
	v_fma_f64 v[22:23], v[47:48], v[43:44], v[22:23]
	v_fma_f64 v[20:21], v[26:27], v[45:46], v[20:21]
	v_fma_f64 v[26:27], v[39:40], v[43:44], v[55:56]
	v_fma_f64 v[24:25], v[37:38], v[45:46], v[24:25]
	v_fma_f64 v[22:23], v[49:50], v[45:46], v[22:23]
	v_fma_f64 v[26:27], v[41:42], v[45:46], v[26:27]
	s_andn2_b64 exec, exec, s[18:19]
	s_cbranch_execnz .LBB45_19
; %bb.20:
	s_or_b64 exec, exec, s[18:19]
.LBB45_21:
	s_or_b64 exec, exec, s[16:17]
	v_cmp_lt_u64_e32 vcc, 11, v[28:29]
	s_and_saveexec_b64 s[2:3], vcc
	s_cbranch_execz .LBB45_25
; %bb.22:
	v_lshlrev_b64 v[28:29], 3, v[18:19]
	v_mov_b32_e32 v30, s13
	v_add_co_u32_e32 v28, vcc, s12, v28
	v_addc_co_u32_e32 v29, vcc, v30, v29, vcc
	v_add_co_u32_e32 v28, vcc, 64, v28
	v_addc_co_u32_e32 v29, vcc, 0, v29, vcc
	s_mov_b64 s[6:7], 0
	v_mov_b32_e32 v30, s11
	s_movk_i32 s8, 0x800
.LBB45_23:                              ; =>This Inner Loop Header: Depth=1
	global_load_dwordx2 v[31:32], v[28:29], off offset:-64
	global_load_dwordx4 v[35:38], v[16:17], off offset:48
	global_load_dwordx4 v[39:42], v[16:17], off offset:32
	global_load_dwordx4 v[43:46], v[16:17], off offset:16
	global_load_dwordx4 v[47:50], v[16:17], off
	s_waitcnt vmcnt(4)
	v_sub_co_u32_e32 v31, vcc, v31, v4
	v_subb_co_u32_e32 v32, vcc, v32, v5, vcc
	v_lshlrev_b64 v[31:32], 5, v[31:32]
	v_add_co_u32_e32 v31, vcc, s10, v31
	v_addc_co_u32_e32 v32, vcc, v30, v32, vcc
	global_load_dwordx4 v[51:54], v[31:32], off offset:16
	global_load_dwordx4 v[55:58], v[31:32], off
	s_waitcnt vmcnt(0)
	v_fma_f64 v[20:21], v[47:48], v[55:56], v[20:21]
	v_fma_f64 v[20:21], v[49:50], v[57:58], v[20:21]
	;; [unrolled: 1-line block ×8, first 2 shown]
	global_load_dwordx4 v[35:38], v[16:17], off offset:112
	global_load_dwordx4 v[39:42], v[16:17], off offset:96
	;; [unrolled: 1-line block ×4, first 2 shown]
	s_waitcnt vmcnt(0)
	v_fma_f64 v[20:21], v[47:48], v[55:56], v[26:27]
	v_fma_f64 v[20:21], v[49:50], v[57:58], v[20:21]
	;; [unrolled: 1-line block ×8, first 2 shown]
	global_load_dwordx2 v[20:21], v[28:29], off offset:-32
	s_waitcnt vmcnt(0)
	v_sub_co_u32_e32 v43, vcc, v20, v4
	v_subb_co_u32_e32 v44, vcc, v21, v5, vcc
	v_lshlrev_b64 v[43:44], 5, v[43:44]
	global_load_dwordx4 v[20:23], v[16:17], off offset:560
	global_load_dwordx4 v[24:27], v[16:17], off offset:544
	;; [unrolled: 1-line block ×4, first 2 shown]
	v_add_co_u32_e32 v53, vcc, s10, v43
	v_addc_co_u32_e32 v54, vcc, v30, v44, vcc
	global_load_dwordx4 v[43:46], v[53:54], off offset:16
	global_load_dwordx4 v[47:50], v[53:54], off
	s_waitcnt vmcnt(0)
	v_fma_f64 v[31:32], v[39:40], v[47:48], v[31:32]
	v_fma_f64 v[24:25], v[24:25], v[47:48], v[59:60]
	;; [unrolled: 1-line block ×8, first 2 shown]
	global_load_dwordx4 v[20:23], v[16:17], off offset:624
	global_load_dwordx4 v[24:27], v[16:17], off offset:608
	;; [unrolled: 1-line block ×4, first 2 shown]
	s_waitcnt vmcnt(2)
	v_fma_f64 v[24:25], v[24:25], v[47:48], v[51:52]
	s_waitcnt vmcnt(0)
	v_fma_f64 v[39:40], v[39:40], v[47:48], v[61:62]
	v_fma_f64 v[24:25], v[26:27], v[49:50], v[24:25]
	v_fma_f64 v[39:40], v[41:42], v[49:50], v[39:40]
	v_fma_f64 v[20:21], v[20:21], v[43:44], v[24:25]
	v_fma_f64 v[35:36], v[35:36], v[43:44], v[39:40]
	v_fma_f64 v[51:52], v[22:23], v[45:46], v[20:21]
	global_load_dwordx2 v[20:21], v[28:29], off
	v_fma_f64 v[55:56], v[37:38], v[45:46], v[35:36]
	s_waitcnt vmcnt(0)
	v_sub_co_u32_e32 v43, vcc, v20, v4
	v_subb_co_u32_e32 v44, vcc, v21, v5, vcc
	v_lshlrev_b64 v[43:44], 5, v[43:44]
	global_load_dwordx4 v[20:23], v[16:17], off offset:1072
	global_load_dwordx4 v[24:27], v[16:17], off offset:1056
	;; [unrolled: 1-line block ×4, first 2 shown]
	v_add_co_u32_e32 v57, vcc, s10, v43
	v_addc_co_u32_e32 v58, vcc, v30, v44, vcc
	global_load_dwordx4 v[43:46], v[57:58], off offset:16
	global_load_dwordx4 v[47:50], v[57:58], off
	s_waitcnt vmcnt(0)
	v_fma_f64 v[31:32], v[39:40], v[47:48], v[31:32]
	v_fma_f64 v[24:25], v[24:25], v[47:48], v[53:54]
	;; [unrolled: 1-line block ×8, first 2 shown]
	global_load_dwordx4 v[20:23], v[16:17], off offset:1136
	global_load_dwordx4 v[24:27], v[16:17], off offset:1120
	global_load_dwordx4 v[35:38], v[16:17], off offset:1104
	global_load_dwordx4 v[39:42], v[16:17], off offset:1088
	s_waitcnt vmcnt(2)
	v_fma_f64 v[24:25], v[24:25], v[47:48], v[51:52]
	s_waitcnt vmcnt(0)
	v_fma_f64 v[39:40], v[39:40], v[47:48], v[55:56]
	v_fma_f64 v[24:25], v[26:27], v[49:50], v[24:25]
	;; [unrolled: 1-line block ×6, first 2 shown]
	global_load_dwordx2 v[20:21], v[28:29], off offset:32
	v_fma_f64 v[59:60], v[37:38], v[45:46], v[35:36]
	global_load_dwordx4 v[22:25], v[16:17], off offset:1584
	global_load_dwordx4 v[35:38], v[16:17], off offset:1568
	;; [unrolled: 1-line block ×4, first 2 shown]
	s_waitcnt vmcnt(4)
	v_sub_co_u32_e32 v20, vcc, v20, v4
	v_subb_co_u32_e32 v21, vcc, v21, v5, vcc
	v_lshlrev_b64 v[20:21], 5, v[20:21]
	v_add_co_u32_e32 v20, vcc, s10, v20
	v_addc_co_u32_e32 v21, vcc, v30, v21, vcc
	global_load_dwordx4 v[47:50], v[20:21], off offset:16
	global_load_dwordx4 v[51:54], v[20:21], off
	s_waitcnt vmcnt(0)
	v_fma_f64 v[20:21], v[43:44], v[51:52], v[31:32]
	v_fma_f64 v[26:27], v[35:36], v[51:52], v[57:58]
	;; [unrolled: 1-line block ×7, first 2 shown]
	global_load_dwordx4 v[35:38], v[16:17], off offset:1648
	global_load_dwordx4 v[39:42], v[16:17], off offset:1632
	;; [unrolled: 1-line block ×4, first 2 shown]
	v_fma_f64 v[24:25], v[24:25], v[49:50], v[22:23]
	v_add_co_u32_e32 v16, vcc, s8, v16
	v_addc_co_u32_e32 v17, vcc, 0, v17, vcc
	v_add_co_u32_e32 v18, vcc, 16, v18
	v_addc_co_u32_e32 v19, vcc, 0, v19, vcc
	;; [unrolled: 2-line block ×3, first 2 shown]
	v_cmp_ge_i64_e32 vcc, v[18:19], v[6:7]
	s_or_b64 s[6:7], vcc, s[6:7]
	s_waitcnt vmcnt(0)
	v_fma_f64 v[22:23], v[55:56], v[51:52], v[59:60]
	v_fma_f64 v[22:23], v[57:58], v[53:54], v[22:23]
	;; [unrolled: 1-line block ×8, first 2 shown]
	s_andn2_b64 exec, exec, s[6:7]
	s_cbranch_execnz .LBB45_23
; %bb.24:
	s_or_b64 exec, exec, s[6:7]
.LBB45_25:
	s_or_b64 exec, exec, s[2:3]
.LBB45_26:
	s_or_b64 exec, exec, s[14:15]
	s_cbranch_execz .LBB45_28
	s_branch .LBB45_39
.LBB45_27:
                                        ; implicit-def: $vgpr22_vgpr23
                                        ; implicit-def: $vgpr26_vgpr27
                                        ; implicit-def: $vgpr24_vgpr25
                                        ; implicit-def: $vgpr20_vgpr21
.LBB45_28:
	v_mov_b32_e32 v22, 0
	v_mov_b32_e32 v26, 0
	;; [unrolled: 1-line block ×8, first 2 shown]
	s_and_saveexec_b64 s[2:3], s[0:1]
	s_cbranch_execz .LBB45_38
; %bb.29:
	v_or_b32_e32 v16, 4, v34
	v_sub_co_u32_e32 v16, vcc, v16, v4
	v_subb_co_u32_e32 v17, vcc, 0, v5, vcc
	v_add_co_u32_e32 v16, vcc, v16, v14
	v_addc_co_u32_e32 v17, vcc, v17, v15, vcc
	v_cmp_gt_i64_e32 vcc, v[16:17], v[6:7]
	v_not_b32_e32 v14, v14
	v_cndmask_b32_e32 v17, v7, v17, vcc
	v_cndmask_b32_e32 v16, v6, v16, vcc
	v_sub_co_u32_e32 v18, vcc, v4, v34
	v_subbrev_co_u32_e32 v19, vcc, 0, v5, vcc
	v_not_b32_e32 v15, v15
	v_add_co_u32_e32 v14, vcc, v18, v14
	v_addc_co_u32_e32 v15, vcc, v19, v15, vcc
	v_add_co_u32_e32 v14, vcc, v14, v16
	v_addc_co_u32_e32 v15, vcc, v15, v17, vcc
	v_and_b32_e32 v16, 12, v14
	v_mov_b32_e32 v17, 0
	v_cmp_ne_u64_e32 vcc, 12, v[16:17]
	v_mov_b32_e32 v20, 0
	v_mov_b32_e32 v24, 0
	;; [unrolled: 1-line block ×8, first 2 shown]
	s_and_saveexec_b64 s[0:1], vcc
	s_cbranch_execz .LBB45_33
; %bb.30:
	v_lshrrev_b32_e32 v16, 2, v14
	v_add_u32_e32 v16, 1, v16
	v_and_b32_e32 v18, 3, v16
	v_lshlrev_b64 v[16:17], 3, v[0:1]
	v_mov_b32_e32 v19, s13
	v_add_co_u32_e32 v16, vcc, s12, v16
	v_addc_co_u32_e32 v17, vcc, v19, v17, vcc
	v_sub_co_u32_e32 v18, vcc, 0, v18
	v_subb_co_u32_e64 v19, s[8:9], 0, 0, vcc
	v_mov_b32_e32 v22, 0
	v_mov_b32_e32 v26, 0
	;; [unrolled: 1-line block ×4, first 2 shown]
	s_mov_b64 s[6:7], 0
	v_mov_b32_e32 v23, 0
	v_mov_b32_e32 v27, 0
	;; [unrolled: 1-line block ×4, first 2 shown]
	s_movk_i32 s8, 0x200
.LBB45_31:                              ; =>This Inner Loop Header: Depth=1
	global_load_dwordx2 v[28:29], v[16:17], off
	v_mov_b32_e32 v47, s11
	s_waitcnt vmcnt(0)
	v_sub_co_u32_e32 v32, vcc, v28, v4
	v_subb_co_u32_e32 v33, vcc, v29, v5, vcc
	v_lshlrev_b64 v[32:33], 5, v[32:33]
	global_load_dwordx4 v[28:31], v[12:13], off offset:48
	global_load_dwordx4 v[35:38], v[12:13], off offset:32
	;; [unrolled: 1-line block ×3, first 2 shown]
	global_load_dwordx4 v[43:46], v[12:13], off
	v_add_co_u32_e32 v32, vcc, s10, v32
	v_addc_co_u32_e32 v33, vcc, v47, v33, vcc
	global_load_dwordx4 v[47:50], v[32:33], off offset:16
	global_load_dwordx4 v[51:54], v[32:33], off
	s_waitcnt vmcnt(0)
	v_fma_f64 v[20:21], v[43:44], v[51:52], v[20:21]
	v_fma_f64 v[24:25], v[45:46], v[51:52], v[24:25]
	;; [unrolled: 1-line block ×8, first 2 shown]
	global_load_dwordx4 v[26:29], v[12:13], off offset:112
	global_load_dwordx4 v[20:23], v[12:13], off offset:96
	;; [unrolled: 1-line block ×4, first 2 shown]
	v_add_co_u32_e32 v12, vcc, s8, v12
	v_addc_co_u32_e32 v13, vcc, 0, v13, vcc
	v_add_co_u32_e32 v0, vcc, 4, v0
	v_addc_co_u32_e32 v1, vcc, 0, v1, vcc
	;; [unrolled: 2-line block ×4, first 2 shown]
	v_cmp_eq_u64_e32 vcc, 0, v[18:19]
	s_or_b64 s[6:7], vcc, s[6:7]
	s_waitcnt vmcnt(1)
	v_fma_f64 v[30:31], v[30:31], v[47:48], v[41:42]
	s_waitcnt vmcnt(0)
	v_fma_f64 v[35:36], v[35:36], v[47:48], v[39:40]
	v_fma_f64 v[24:25], v[37:38], v[47:48], v[24:25]
	;; [unrolled: 1-line block ×7, first 2 shown]
	s_andn2_b64 exec, exec, s[6:7]
	s_cbranch_execnz .LBB45_31
; %bb.32:
	s_or_b64 exec, exec, s[6:7]
.LBB45_33:
	s_or_b64 exec, exec, s[0:1]
	v_cmp_lt_u64_e32 vcc, 11, v[14:15]
	s_and_saveexec_b64 s[0:1], vcc
	s_cbranch_execz .LBB45_37
; %bb.34:
	v_lshlrev_b64 v[14:15], 3, v[0:1]
	v_mov_b32_e32 v16, s13
	v_add_co_u32_e32 v14, vcc, s12, v14
	v_addc_co_u32_e32 v15, vcc, v16, v15, vcc
	v_add_co_u32_e32 v14, vcc, 64, v14
	v_addc_co_u32_e32 v15, vcc, 0, v15, vcc
	s_mov_b64 s[6:7], 0
	v_mov_b32_e32 v16, s11
	s_movk_i32 s8, 0x800
.LBB45_35:                              ; =>This Inner Loop Header: Depth=1
	global_load_dwordx2 v[17:18], v[14:15], off offset:-64
	global_load_dwordx4 v[28:31], v[12:13], off offset:48
	global_load_dwordx4 v[35:38], v[12:13], off offset:32
	;; [unrolled: 1-line block ×3, first 2 shown]
	global_load_dwordx4 v[43:46], v[12:13], off
	s_waitcnt vmcnt(4)
	v_sub_co_u32_e32 v17, vcc, v17, v4
	v_subb_co_u32_e32 v18, vcc, v18, v5, vcc
	v_lshlrev_b64 v[17:18], 5, v[17:18]
	v_add_co_u32_e32 v17, vcc, s10, v17
	v_addc_co_u32_e32 v18, vcc, v16, v18, vcc
	global_load_dwordx4 v[47:50], v[17:18], off offset:16
	global_load_dwordx4 v[51:54], v[17:18], off
	s_waitcnt vmcnt(0)
	v_fma_f64 v[17:18], v[43:44], v[51:52], v[20:21]
	v_fma_f64 v[19:20], v[45:46], v[51:52], v[24:25]
	;; [unrolled: 1-line block ×8, first 2 shown]
	global_load_dwordx4 v[17:20], v[12:13], off offset:112
	global_load_dwordx4 v[21:24], v[12:13], off offset:96
	;; [unrolled: 1-line block ×4, first 2 shown]
	s_waitcnt vmcnt(1)
	v_fma_f64 v[25:26], v[25:26], v[47:48], v[39:40]
	s_waitcnt vmcnt(0)
	v_fma_f64 v[29:30], v[29:30], v[47:48], v[35:36]
	v_fma_f64 v[31:32], v[31:32], v[47:48], v[37:38]
	v_fma_f64 v[27:28], v[27:28], v[47:48], v[41:42]
	v_fma_f64 v[47:48], v[17:18], v[49:50], v[25:26]
	global_load_dwordx2 v[17:18], v[14:15], off offset:-32
	v_fma_f64 v[43:44], v[21:22], v[49:50], v[29:30]
	v_fma_f64 v[45:46], v[23:24], v[49:50], v[31:32]
	;; [unrolled: 1-line block ×3, first 2 shown]
	s_waitcnt vmcnt(0)
	v_sub_co_u32_e32 v35, vcc, v17, v4
	v_subb_co_u32_e32 v36, vcc, v18, v5, vcc
	v_lshlrev_b64 v[35:36], 5, v[35:36]
	global_load_dwordx4 v[17:20], v[12:13], off offset:560
	global_load_dwordx4 v[21:24], v[12:13], off offset:544
	;; [unrolled: 1-line block ×4, first 2 shown]
	v_add_co_u32_e32 v51, vcc, s10, v35
	v_addc_co_u32_e32 v52, vcc, v16, v36, vcc
	global_load_dwordx4 v[35:38], v[51:52], off offset:16
	global_load_dwordx4 v[39:42], v[51:52], off
	s_waitcnt vmcnt(0)
	v_fma_f64 v[29:30], v[29:30], v[39:40], v[43:44]
	v_fma_f64 v[31:32], v[31:32], v[39:40], v[45:46]
	;; [unrolled: 1-line block ×8, first 2 shown]
	global_load_dwordx4 v[17:20], v[12:13], off offset:624
	global_load_dwordx4 v[21:24], v[12:13], off offset:608
	;; [unrolled: 1-line block ×4, first 2 shown]
	s_waitcnt vmcnt(1)
	v_fma_f64 v[25:26], v[25:26], v[35:36], v[45:46]
	s_waitcnt vmcnt(0)
	v_fma_f64 v[29:30], v[29:30], v[35:36], v[39:40]
	v_fma_f64 v[31:32], v[31:32], v[35:36], v[43:44]
	;; [unrolled: 1-line block ×4, first 2 shown]
	global_load_dwordx2 v[17:18], v[14:15], off
	v_fma_f64 v[43:44], v[21:22], v[37:38], v[29:30]
	v_fma_f64 v[45:46], v[23:24], v[37:38], v[31:32]
	;; [unrolled: 1-line block ×3, first 2 shown]
	s_waitcnt vmcnt(0)
	v_sub_co_u32_e32 v35, vcc, v17, v4
	v_subb_co_u32_e32 v36, vcc, v18, v5, vcc
	v_lshlrev_b64 v[35:36], 5, v[35:36]
	global_load_dwordx4 v[17:20], v[12:13], off offset:1072
	global_load_dwordx4 v[21:24], v[12:13], off offset:1056
	;; [unrolled: 1-line block ×4, first 2 shown]
	v_add_co_u32_e32 v51, vcc, s10, v35
	v_addc_co_u32_e32 v52, vcc, v16, v36, vcc
	global_load_dwordx4 v[35:38], v[51:52], off offset:16
	global_load_dwordx4 v[39:42], v[51:52], off
	s_waitcnt vmcnt(0)
	v_fma_f64 v[29:30], v[29:30], v[39:40], v[43:44]
	v_fma_f64 v[31:32], v[31:32], v[39:40], v[45:46]
	v_fma_f64 v[25:26], v[25:26], v[39:40], v[47:48]
	v_fma_f64 v[27:28], v[27:28], v[39:40], v[49:50]
	v_fma_f64 v[39:40], v[21:22], v[41:42], v[29:30]
	v_fma_f64 v[43:44], v[23:24], v[41:42], v[31:32]
	v_fma_f64 v[45:46], v[17:18], v[41:42], v[25:26]
	v_fma_f64 v[41:42], v[19:20], v[41:42], v[27:28]
	global_load_dwordx4 v[17:20], v[12:13], off offset:1136
	global_load_dwordx4 v[21:24], v[12:13], off offset:1120
	;; [unrolled: 1-line block ×4, first 2 shown]
	s_waitcnt vmcnt(1)
	v_fma_f64 v[25:26], v[25:26], v[35:36], v[45:46]
	s_waitcnt vmcnt(0)
	v_fma_f64 v[29:30], v[29:30], v[35:36], v[39:40]
	v_fma_f64 v[31:32], v[31:32], v[35:36], v[43:44]
	;; [unrolled: 1-line block ×4, first 2 shown]
	global_load_dwordx2 v[17:18], v[14:15], off offset:32
	v_fma_f64 v[43:44], v[21:22], v[37:38], v[29:30]
	v_fma_f64 v[45:46], v[23:24], v[37:38], v[31:32]
	;; [unrolled: 1-line block ×3, first 2 shown]
	s_waitcnt vmcnt(0)
	v_sub_co_u32_e32 v35, vcc, v17, v4
	v_subb_co_u32_e32 v36, vcc, v18, v5, vcc
	v_lshlrev_b64 v[35:36], 5, v[35:36]
	global_load_dwordx4 v[17:20], v[12:13], off offset:1584
	global_load_dwordx4 v[21:24], v[12:13], off offset:1568
	;; [unrolled: 1-line block ×4, first 2 shown]
	v_add_co_u32_e32 v51, vcc, s10, v35
	v_addc_co_u32_e32 v52, vcc, v16, v36, vcc
	global_load_dwordx4 v[35:38], v[51:52], off offset:16
	global_load_dwordx4 v[39:42], v[51:52], off
	s_waitcnt vmcnt(0)
	v_fma_f64 v[29:30], v[29:30], v[39:40], v[43:44]
	v_fma_f64 v[31:32], v[31:32], v[39:40], v[45:46]
	;; [unrolled: 1-line block ×8, first 2 shown]
	global_load_dwordx4 v[26:29], v[12:13], off offset:1648
	global_load_dwordx4 v[20:23], v[12:13], off offset:1632
	;; [unrolled: 1-line block ×4, first 2 shown]
	v_add_co_u32_e32 v12, vcc, s8, v12
	v_addc_co_u32_e32 v13, vcc, 0, v13, vcc
	v_add_co_u32_e32 v0, vcc, 16, v0
	v_addc_co_u32_e32 v1, vcc, 0, v1, vcc
	;; [unrolled: 2-line block ×3, first 2 shown]
	v_cmp_ge_i64_e32 vcc, v[0:1], v[6:7]
	s_or_b64 s[6:7], vcc, s[6:7]
	s_waitcnt vmcnt(1)
	v_fma_f64 v[17:18], v[30:31], v[35:36], v[17:18]
	s_waitcnt vmcnt(0)
	v_fma_f64 v[39:40], v[39:40], v[35:36], v[43:44]
	v_fma_f64 v[41:42], v[41:42], v[35:36], v[45:46]
	;; [unrolled: 1-line block ×7, first 2 shown]
	s_andn2_b64 exec, exec, s[6:7]
	s_cbranch_execnz .LBB45_35
; %bb.36:
	s_or_b64 exec, exec, s[6:7]
.LBB45_37:
	s_or_b64 exec, exec, s[0:1]
.LBB45_38:
	s_or_b64 exec, exec, s[2:3]
.LBB45_39:
	v_mov_b32_dpp v0, v20 row_shr:1 row_mask:0xf bank_mask:0xf
	v_mov_b32_dpp v1, v21 row_shr:1 row_mask:0xf bank_mask:0xf
	;; [unrolled: 1-line block ×8, first 2 shown]
	v_add_f64 v[0:1], v[20:21], v[0:1]
	v_add_f64 v[4:5], v[24:25], v[4:5]
	;; [unrolled: 1-line block ×4, first 2 shown]
	v_cmp_eq_u32_e32 vcc, 3, v34
	v_mov_b32_dpp v20, v0 row_shr:2 row_mask:0xf bank_mask:0xf
	v_mov_b32_dpp v21, v1 row_shr:2 row_mask:0xf bank_mask:0xf
	;; [unrolled: 1-line block ×8, first 2 shown]
	s_and_b64 exec, exec, vcc
	s_cbranch_execz .LBB45_10
; %bb.40:
	v_add_f64 v[0:1], v[0:1], v[20:21]
	v_add_f64 v[18:19], v[4:5], v[18:19]
	;; [unrolled: 1-line block ×4, first 2 shown]
	v_cmp_eq_f64_e32 vcc, 0, v[8:9]
	s_load_dwordx2 s[0:1], s[4:5], 0x58
	v_lshlrev_b64 v[10:11], 5, v[10:11]
	v_mul_f64 v[4:5], v[2:3], v[0:1]
	v_mul_f64 v[6:7], v[2:3], v[18:19]
	;; [unrolled: 1-line block ×4, first 2 shown]
	s_and_saveexec_b64 s[2:3], vcc
	s_xor_b64 s[2:3], exec, s[2:3]
	s_cbranch_execz .LBB45_42
; %bb.41:
	s_waitcnt lgkmcnt(0)
	v_mov_b32_e32 v9, s1
	v_add_co_u32_e32 v8, vcc, s0, v10
	v_addc_co_u32_e32 v9, vcc, v9, v11, vcc
	global_store_dwordx4 v[8:9], v[4:7], off
	global_store_dwordx4 v[8:9], v[0:3], off offset:16
                                        ; implicit-def: $vgpr10_vgpr11
                                        ; implicit-def: $vgpr8_vgpr9
                                        ; implicit-def: $vgpr4_vgpr5
                                        ; implicit-def: $vgpr0_vgpr1
.LBB45_42:
	s_andn2_saveexec_b64 s[2:3], s[2:3]
	s_cbranch_execz .LBB45_10
; %bb.43:
	s_waitcnt lgkmcnt(0)
	v_mov_b32_e32 v12, s1
	v_add_co_u32_e32 v18, vcc, s0, v10
	v_addc_co_u32_e32 v19, vcc, v12, v11, vcc
	global_load_dwordx4 v[10:13], v[18:19], off
	global_load_dwordx4 v[14:17], v[18:19], off offset:16
	s_waitcnt vmcnt(1)
	v_fma_f64 v[4:5], v[8:9], v[10:11], v[4:5]
	v_fma_f64 v[6:7], v[8:9], v[12:13], v[6:7]
	s_waitcnt vmcnt(0)
	v_fma_f64 v[0:1], v[8:9], v[14:15], v[0:1]
	v_fma_f64 v[2:3], v[8:9], v[16:17], v[2:3]
	global_store_dwordx4 v[18:19], v[4:7], off
	global_store_dwordx4 v[18:19], v[0:3], off offset:16
	s_endpgm
	.section	.rodata,"a",@progbits
	.p2align	6, 0x0
	.amdhsa_kernel _ZN9rocsparseL18bsrxmvn_4x4_kernelILj128ELj4EdlldddEEvT3_20rocsparse_direction_NS_24const_host_device_scalarIT1_EES1_PKS1_PKT2_SA_S7_PKT4_PKT5_S5_PT6_21rocsparse_index_base_b
		.amdhsa_group_segment_fixed_size 0
		.amdhsa_private_segment_fixed_size 0
		.amdhsa_kernarg_size 104
		.amdhsa_user_sgpr_count 6
		.amdhsa_user_sgpr_private_segment_buffer 1
		.amdhsa_user_sgpr_dispatch_ptr 0
		.amdhsa_user_sgpr_queue_ptr 0
		.amdhsa_user_sgpr_kernarg_segment_ptr 1
		.amdhsa_user_sgpr_dispatch_id 0
		.amdhsa_user_sgpr_flat_scratch_init 0
		.amdhsa_user_sgpr_private_segment_size 0
		.amdhsa_uses_dynamic_stack 0
		.amdhsa_system_sgpr_private_segment_wavefront_offset 0
		.amdhsa_system_sgpr_workgroup_id_x 1
		.amdhsa_system_sgpr_workgroup_id_y 0
		.amdhsa_system_sgpr_workgroup_id_z 0
		.amdhsa_system_sgpr_workgroup_info 0
		.amdhsa_system_vgpr_workitem_id 0
		.amdhsa_next_free_vgpr 63
		.amdhsa_next_free_sgpr 21
		.amdhsa_reserve_vcc 1
		.amdhsa_reserve_flat_scratch 0
		.amdhsa_float_round_mode_32 0
		.amdhsa_float_round_mode_16_64 0
		.amdhsa_float_denorm_mode_32 3
		.amdhsa_float_denorm_mode_16_64 3
		.amdhsa_dx10_clamp 1
		.amdhsa_ieee_mode 1
		.amdhsa_fp16_overflow 0
		.amdhsa_exception_fp_ieee_invalid_op 0
		.amdhsa_exception_fp_denorm_src 0
		.amdhsa_exception_fp_ieee_div_zero 0
		.amdhsa_exception_fp_ieee_overflow 0
		.amdhsa_exception_fp_ieee_underflow 0
		.amdhsa_exception_fp_ieee_inexact 0
		.amdhsa_exception_int_div_zero 0
	.end_amdhsa_kernel
	.section	.text._ZN9rocsparseL18bsrxmvn_4x4_kernelILj128ELj4EdlldddEEvT3_20rocsparse_direction_NS_24const_host_device_scalarIT1_EES1_PKS1_PKT2_SA_S7_PKT4_PKT5_S5_PT6_21rocsparse_index_base_b,"axG",@progbits,_ZN9rocsparseL18bsrxmvn_4x4_kernelILj128ELj4EdlldddEEvT3_20rocsparse_direction_NS_24const_host_device_scalarIT1_EES1_PKS1_PKT2_SA_S7_PKT4_PKT5_S5_PT6_21rocsparse_index_base_b,comdat
.Lfunc_end45:
	.size	_ZN9rocsparseL18bsrxmvn_4x4_kernelILj128ELj4EdlldddEEvT3_20rocsparse_direction_NS_24const_host_device_scalarIT1_EES1_PKS1_PKT2_SA_S7_PKT4_PKT5_S5_PT6_21rocsparse_index_base_b, .Lfunc_end45-_ZN9rocsparseL18bsrxmvn_4x4_kernelILj128ELj4EdlldddEEvT3_20rocsparse_direction_NS_24const_host_device_scalarIT1_EES1_PKS1_PKT2_SA_S7_PKT4_PKT5_S5_PT6_21rocsparse_index_base_b
                                        ; -- End function
	.set _ZN9rocsparseL18bsrxmvn_4x4_kernelILj128ELj4EdlldddEEvT3_20rocsparse_direction_NS_24const_host_device_scalarIT1_EES1_PKS1_PKT2_SA_S7_PKT4_PKT5_S5_PT6_21rocsparse_index_base_b.num_vgpr, 63
	.set _ZN9rocsparseL18bsrxmvn_4x4_kernelILj128ELj4EdlldddEEvT3_20rocsparse_direction_NS_24const_host_device_scalarIT1_EES1_PKS1_PKT2_SA_S7_PKT4_PKT5_S5_PT6_21rocsparse_index_base_b.num_agpr, 0
	.set _ZN9rocsparseL18bsrxmvn_4x4_kernelILj128ELj4EdlldddEEvT3_20rocsparse_direction_NS_24const_host_device_scalarIT1_EES1_PKS1_PKT2_SA_S7_PKT4_PKT5_S5_PT6_21rocsparse_index_base_b.numbered_sgpr, 21
	.set _ZN9rocsparseL18bsrxmvn_4x4_kernelILj128ELj4EdlldddEEvT3_20rocsparse_direction_NS_24const_host_device_scalarIT1_EES1_PKS1_PKT2_SA_S7_PKT4_PKT5_S5_PT6_21rocsparse_index_base_b.num_named_barrier, 0
	.set _ZN9rocsparseL18bsrxmvn_4x4_kernelILj128ELj4EdlldddEEvT3_20rocsparse_direction_NS_24const_host_device_scalarIT1_EES1_PKS1_PKT2_SA_S7_PKT4_PKT5_S5_PT6_21rocsparse_index_base_b.private_seg_size, 0
	.set _ZN9rocsparseL18bsrxmvn_4x4_kernelILj128ELj4EdlldddEEvT3_20rocsparse_direction_NS_24const_host_device_scalarIT1_EES1_PKS1_PKT2_SA_S7_PKT4_PKT5_S5_PT6_21rocsparse_index_base_b.uses_vcc, 1
	.set _ZN9rocsparseL18bsrxmvn_4x4_kernelILj128ELj4EdlldddEEvT3_20rocsparse_direction_NS_24const_host_device_scalarIT1_EES1_PKS1_PKT2_SA_S7_PKT4_PKT5_S5_PT6_21rocsparse_index_base_b.uses_flat_scratch, 0
	.set _ZN9rocsparseL18bsrxmvn_4x4_kernelILj128ELj4EdlldddEEvT3_20rocsparse_direction_NS_24const_host_device_scalarIT1_EES1_PKS1_PKT2_SA_S7_PKT4_PKT5_S5_PT6_21rocsparse_index_base_b.has_dyn_sized_stack, 0
	.set _ZN9rocsparseL18bsrxmvn_4x4_kernelILj128ELj4EdlldddEEvT3_20rocsparse_direction_NS_24const_host_device_scalarIT1_EES1_PKS1_PKT2_SA_S7_PKT4_PKT5_S5_PT6_21rocsparse_index_base_b.has_recursion, 0
	.set _ZN9rocsparseL18bsrxmvn_4x4_kernelILj128ELj4EdlldddEEvT3_20rocsparse_direction_NS_24const_host_device_scalarIT1_EES1_PKS1_PKT2_SA_S7_PKT4_PKT5_S5_PT6_21rocsparse_index_base_b.has_indirect_call, 0
	.section	.AMDGPU.csdata,"",@progbits
; Kernel info:
; codeLenInByte = 4344
; TotalNumSgprs: 25
; NumVgprs: 63
; ScratchSize: 0
; MemoryBound: 1
; FloatMode: 240
; IeeeMode: 1
; LDSByteSize: 0 bytes/workgroup (compile time only)
; SGPRBlocks: 3
; VGPRBlocks: 15
; NumSGPRsForWavesPerEU: 25
; NumVGPRsForWavesPerEU: 63
; Occupancy: 4
; WaveLimiterHint : 1
; COMPUTE_PGM_RSRC2:SCRATCH_EN: 0
; COMPUTE_PGM_RSRC2:USER_SGPR: 6
; COMPUTE_PGM_RSRC2:TRAP_HANDLER: 0
; COMPUTE_PGM_RSRC2:TGID_X_EN: 1
; COMPUTE_PGM_RSRC2:TGID_Y_EN: 0
; COMPUTE_PGM_RSRC2:TGID_Z_EN: 0
; COMPUTE_PGM_RSRC2:TIDIG_COMP_CNT: 0
	.section	.text._ZN9rocsparseL18bsrxmvn_4x4_kernelILj128ELj8EdlldddEEvT3_20rocsparse_direction_NS_24const_host_device_scalarIT1_EES1_PKS1_PKT2_SA_S7_PKT4_PKT5_S5_PT6_21rocsparse_index_base_b,"axG",@progbits,_ZN9rocsparseL18bsrxmvn_4x4_kernelILj128ELj8EdlldddEEvT3_20rocsparse_direction_NS_24const_host_device_scalarIT1_EES1_PKS1_PKT2_SA_S7_PKT4_PKT5_S5_PT6_21rocsparse_index_base_b,comdat
	.globl	_ZN9rocsparseL18bsrxmvn_4x4_kernelILj128ELj8EdlldddEEvT3_20rocsparse_direction_NS_24const_host_device_scalarIT1_EES1_PKS1_PKT2_SA_S7_PKT4_PKT5_S5_PT6_21rocsparse_index_base_b ; -- Begin function _ZN9rocsparseL18bsrxmvn_4x4_kernelILj128ELj8EdlldddEEvT3_20rocsparse_direction_NS_24const_host_device_scalarIT1_EES1_PKS1_PKT2_SA_S7_PKT4_PKT5_S5_PT6_21rocsparse_index_base_b
	.p2align	8
	.type	_ZN9rocsparseL18bsrxmvn_4x4_kernelILj128ELj8EdlldddEEvT3_20rocsparse_direction_NS_24const_host_device_scalarIT1_EES1_PKS1_PKT2_SA_S7_PKT4_PKT5_S5_PT6_21rocsparse_index_base_b,@function
_ZN9rocsparseL18bsrxmvn_4x4_kernelILj128ELj8EdlldddEEvT3_20rocsparse_direction_NS_24const_host_device_scalarIT1_EES1_PKS1_PKT2_SA_S7_PKT4_PKT5_S5_PT6_21rocsparse_index_base_b: ; @_ZN9rocsparseL18bsrxmvn_4x4_kernelILj128ELj8EdlldddEEvT3_20rocsparse_direction_NS_24const_host_device_scalarIT1_EES1_PKS1_PKT2_SA_S7_PKT4_PKT5_S5_PT6_21rocsparse_index_base_b
; %bb.0:
	s_load_dwordx2 s[8:9], s[4:5], 0x60
	s_load_dwordx4 s[0:3], s[4:5], 0x10
	s_load_dwordx2 s[10:11], s[4:5], 0x50
	s_waitcnt lgkmcnt(0)
	s_bitcmp1_b32 s9, 0
	s_cselect_b64 s[14:15], -1, 0
	v_mov_b32_e32 v3, s1
	s_xor_b64 s[12:13], s[14:15], -1
	s_and_b64 vcc, exec, s[14:15]
	v_mov_b32_e32 v2, s0
	s_cbranch_vccnz .LBB46_2
; %bb.1:
	v_mov_b32_e32 v2, s1
	v_mov_b32_e32 v1, s0
	flat_load_dwordx2 v[2:3], v[1:2]
.LBB46_2:
	v_mov_b32_e32 v8, s10
	s_andn2_b64 vcc, exec, s[12:13]
	v_mov_b32_e32 v9, s11
	s_cbranch_vccnz .LBB46_4
; %bb.3:
	v_mov_b32_e32 v4, s10
	v_mov_b32_e32 v5, s11
	flat_load_dwordx2 v[8:9], v[4:5]
.LBB46_4:
	s_waitcnt vmcnt(0) lgkmcnt(0)
	v_cmp_neq_f64_e32 vcc, 0, v[2:3]
	v_cmp_neq_f64_e64 s[0:1], 1.0, v[8:9]
	s_mov_b64 s[10:11], 0
	s_or_b64 s[0:1], vcc, s[0:1]
	s_and_saveexec_b64 s[12:13], s[0:1]
	s_cbranch_execz .LBB46_10
; %bb.5:
	s_load_dwordx2 s[12:13], s[4:5], 0x20
	v_lshrrev_b32_e32 v1, 3, v0
	v_lshl_or_b32 v6, s6, 4, v1
	v_mov_b32_e32 v7, 0
	s_mov_b64 s[0:1], 0
	s_waitcnt lgkmcnt(0)
	s_cmp_lg_u64 s[12:13], 0
	s_cbranch_scc0 .LBB46_11
; %bb.6:
	v_cmp_gt_i64_e32 vcc, s[2:3], v[6:7]
                                        ; implicit-def: $vgpr10_vgpr11
                                        ; implicit-def: $vgpr4_vgpr5
	s_and_saveexec_b64 s[2:3], vcc
	s_xor_b64 s[2:3], exec, s[2:3]
	s_cbranch_execz .LBB46_8
; %bb.7:
	v_lshlrev_b64 v[4:5], 3, v[6:7]
	v_mov_b32_e32 v1, s13
	v_add_co_u32_e32 v4, vcc, s12, v4
	v_addc_co_u32_e32 v5, vcc, v1, v5, vcc
	global_load_dwordx2 v[4:5], v[4:5], off
	s_mov_b32 s9, 0
	s_mov_b64 s[0:1], exec
	s_waitcnt vmcnt(0)
	v_subrev_co_u32_e32 v10, vcc, s8, v4
	v_subbrev_co_u32_e32 v11, vcc, 0, v5, vcc
	v_mov_b32_e32 v4, s8
	v_mov_b32_e32 v5, s9
.LBB46_8:
	s_or_b64 exec, exec, s[2:3]
	s_mov_b64 s[10:11], s[0:1]
.LBB46_9:
	s_and_b64 exec, exec, s[10:11]
	s_cbranch_execnz .LBB46_15
.LBB46_10:
	s_endpgm
.LBB46_11:
                                        ; implicit-def: $vgpr10_vgpr11
                                        ; implicit-def: $vgpr4_vgpr5
	s_cbranch_execz .LBB46_9
; %bb.12:
	s_load_dwordx2 s[0:1], s[4:5], 0x0
	s_waitcnt lgkmcnt(0)
	v_cmp_gt_i64_e32 vcc, s[0:1], v[6:7]
	s_and_saveexec_b64 s[0:1], vcc
; %bb.13:
	s_mov_b32 s9, 0
	s_or_b64 s[10:11], s[10:11], exec
; %bb.14:
	s_or_b64 exec, exec, s[0:1]
	v_mov_b32_e32 v4, s8
	v_mov_b32_e32 v11, v7
	v_mov_b32_e32 v5, s9
	v_mov_b32_e32 v10, v6
	s_and_b64 exec, exec, s[10:11]
	s_cbranch_execz .LBB46_10
.LBB46_15:
	s_load_dwordx8 s[8:15], s[4:5], 0x28
	v_lshlrev_b64 v[6:7], 3, v[10:11]
	v_and_b32_e32 v34, 7, v0
	s_waitcnt lgkmcnt(0)
	v_mov_b32_e32 v1, s9
	v_add_co_u32_e32 v12, vcc, s8, v6
	v_addc_co_u32_e32 v13, vcc, v1, v7, vcc
	v_add_co_u32_e32 v1, vcc, 8, v12
	global_load_dwordx2 v[14:15], v[12:13], off
	v_addc_co_u32_e32 v12, vcc, 0, v13, vcc
	v_mov_b32_e32 v13, s11
	v_add_co_u32_e32 v6, vcc, s10, v6
	s_cmp_eq_u64 s[10:11], 0
	v_addc_co_u32_e32 v7, vcc, v13, v7, vcc
	s_cselect_b64 vcc, -1, 0
	v_cndmask_b32_e32 v7, v7, v12, vcc
	v_cndmask_b32_e32 v6, v6, v1, vcc
	global_load_dwordx2 v[6:7], v[6:7], off
	s_load_dword s0, s[4:5], 0x8
	s_load_dwordx2 s[10:11], s[4:5], 0x48
	v_mov_b32_e32 v16, s15
	s_waitcnt lgkmcnt(0)
	s_cmp_eq_u32 s0, 1
	s_waitcnt vmcnt(1)
	v_sub_co_u32_e32 v0, vcc, v14, v4
	v_subb_co_u32_e32 v1, vcc, v15, v5, vcc
	v_add_co_u32_e32 v0, vcc, v0, v34
	v_addc_co_u32_e32 v1, vcc, 0, v1, vcc
	v_lshlrev_b64 v[12:13], 7, v[0:1]
	s_waitcnt vmcnt(0)
	v_sub_co_u32_e32 v6, vcc, v6, v4
	v_subb_co_u32_e32 v7, vcc, v7, v5, vcc
	v_cmp_lt_i64_e64 s[0:1], v[0:1], v[6:7]
	v_add_co_u32_e32 v12, vcc, s14, v12
	v_addc_co_u32_e32 v13, vcc, v16, v13, vcc
	s_cbranch_scc1 .LBB46_27
; %bb.16:
	v_mov_b32_e32 v22, 0
	v_mov_b32_e32 v26, 0
	;; [unrolled: 1-line block ×8, first 2 shown]
	s_and_saveexec_b64 s[14:15], s[0:1]
	s_cbranch_execz .LBB46_26
; %bb.17:
	v_or_b32_e32 v16, 8, v34
	v_sub_co_u32_e32 v16, vcc, v16, v4
	v_subb_co_u32_e32 v17, vcc, 0, v5, vcc
	v_add_co_u32_e32 v16, vcc, v16, v14
	v_addc_co_u32_e32 v17, vcc, v17, v15, vcc
	v_cmp_gt_i64_e32 vcc, v[16:17], v[6:7]
	v_not_b32_e32 v19, v14
	v_cndmask_b32_e32 v17, v7, v17, vcc
	v_cndmask_b32_e32 v16, v6, v16, vcc
	v_sub_co_u32_e32 v20, vcc, v4, v34
	v_subbrev_co_u32_e32 v21, vcc, 0, v5, vcc
	v_not_b32_e32 v18, v15
	v_add_co_u32_e32 v19, vcc, v20, v19
	v_addc_co_u32_e32 v18, vcc, v21, v18, vcc
	v_add_co_u32_e32 v28, vcc, v19, v16
	v_addc_co_u32_e32 v29, vcc, v18, v17, vcc
	v_and_b32_e32 v16, 24, v28
	v_mov_b32_e32 v17, 0
	v_cmp_ne_u64_e32 vcc, 24, v[16:17]
	v_mov_b32_e32 v20, 0
	v_mov_b32_e32 v24, 0
	;; [unrolled: 1-line block ×12, first 2 shown]
	s_and_saveexec_b64 s[16:17], vcc
	s_cbranch_execz .LBB46_21
; %bb.18:
	v_lshrrev_b32_e32 v16, 3, v28
	v_add_u32_e32 v16, 1, v16
	v_and_b32_e32 v18, 3, v16
	v_lshlrev_b64 v[16:17], 3, v[0:1]
	v_mov_b32_e32 v19, s13
	v_add_co_u32_e32 v30, vcc, s12, v16
	v_addc_co_u32_e32 v31, vcc, v19, v17, vcc
	v_sub_co_u32_e32 v32, vcc, 0, v18
	v_mov_b32_e32 v22, 0
	v_mov_b32_e32 v17, v13
	;; [unrolled: 1-line block ×6, first 2 shown]
	s_mov_b64 s[18:19], 0
	v_subb_co_u32_e64 v33, s[2:3], 0, 0, vcc
	v_mov_b32_e32 v23, 0
	s_movk_i32 s20, 0x400
	v_mov_b32_e32 v16, v12
	v_mov_b32_e32 v27, 0
	;; [unrolled: 1-line block ×5, first 2 shown]
.LBB46_19:                              ; =>This Inner Loop Header: Depth=1
	global_load_dwordx2 v[47:48], v[30:31], off
	global_load_dwordx4 v[35:38], v[16:17], off offset:32
	global_load_dwordx4 v[39:42], v[16:17], off
	v_mov_b32_e32 v49, s11
	global_load_dwordx4 v[43:46], v[16:17], off offset:64
	v_add_co_u32_e64 v18, s[2:3], 8, v18
	v_add_co_u32_e64 v30, s[6:7], 64, v30
	;; [unrolled: 1-line block ×3, first 2 shown]
	v_addc_co_u32_e64 v19, s[2:3], 0, v19, s[2:3]
	v_addc_co_u32_e64 v31, s[2:3], 0, v31, s[6:7]
	;; [unrolled: 1-line block ×3, first 2 shown]
	v_cmp_eq_u64_e64 s[2:3], 0, v[32:33]
	s_or_b64 s[18:19], s[2:3], s[18:19]
	s_waitcnt vmcnt(3)
	v_sub_co_u32_e32 v47, vcc, v47, v4
	v_subb_co_u32_e32 v48, vcc, v48, v5, vcc
	v_lshlrev_b64 v[47:48], 5, v[47:48]
	v_add_co_u32_e32 v51, vcc, s10, v47
	v_addc_co_u32_e32 v52, vcc, v49, v48, vcc
	global_load_dwordx4 v[47:50], v[51:52], off
	s_waitcnt vmcnt(0)
	v_fma_f64 v[20:21], v[39:40], v[47:48], v[20:21]
	v_fma_f64 v[24:25], v[35:36], v[47:48], v[24:25]
	;; [unrolled: 1-line block ×3, first 2 shown]
	global_load_dwordx4 v[39:42], v[16:17], off offset:96
	v_fma_f64 v[53:54], v[37:38], v[49:50], v[24:25]
	v_fma_f64 v[24:25], v[43:44], v[47:48], v[26:27]
	global_load_dwordx4 v[35:38], v[16:17], off offset:48
	v_fma_f64 v[55:56], v[45:46], v[49:50], v[24:25]
	global_load_dwordx4 v[24:27], v[16:17], off offset:16
	s_waitcnt vmcnt(2)
	v_fma_f64 v[22:23], v[39:40], v[47:48], v[22:23]
	v_fma_f64 v[22:23], v[41:42], v[49:50], v[22:23]
	global_load_dwordx4 v[39:42], v[16:17], off offset:80
	global_load_dwordx4 v[43:46], v[51:52], off offset:16
	;; [unrolled: 1-line block ×3, first 2 shown]
	v_add_co_u32_e32 v16, vcc, s20, v16
	v_addc_co_u32_e32 v17, vcc, 0, v17, vcc
	s_waitcnt vmcnt(1)
	v_fma_f64 v[20:21], v[24:25], v[43:44], v[20:21]
	v_fma_f64 v[24:25], v[35:36], v[43:44], v[53:54]
	s_waitcnt vmcnt(0)
	v_fma_f64 v[22:23], v[47:48], v[43:44], v[22:23]
	v_fma_f64 v[20:21], v[26:27], v[45:46], v[20:21]
	;; [unrolled: 1-line block ×6, first 2 shown]
	s_andn2_b64 exec, exec, s[18:19]
	s_cbranch_execnz .LBB46_19
; %bb.20:
	s_or_b64 exec, exec, s[18:19]
.LBB46_21:
	s_or_b64 exec, exec, s[16:17]
	v_cmp_lt_u64_e32 vcc, 23, v[28:29]
	s_and_saveexec_b64 s[2:3], vcc
	s_cbranch_execz .LBB46_25
; %bb.22:
	v_lshlrev_b64 v[28:29], 3, v[18:19]
	v_mov_b32_e32 v30, s13
	v_add_co_u32_e32 v28, vcc, s12, v28
	v_addc_co_u32_e32 v29, vcc, v30, v29, vcc
	v_add_co_u32_e32 v28, vcc, 0x80, v28
	v_addc_co_u32_e32 v29, vcc, 0, v29, vcc
	s_mov_b64 s[6:7], 0
	v_mov_b32_e32 v30, s11
	s_movk_i32 s8, 0x1000
.LBB46_23:                              ; =>This Inner Loop Header: Depth=1
	global_load_dwordx2 v[31:32], v[28:29], off offset:-128
	global_load_dwordx4 v[35:38], v[16:17], off offset:48
	global_load_dwordx4 v[39:42], v[16:17], off offset:32
	;; [unrolled: 1-line block ×3, first 2 shown]
	global_load_dwordx4 v[47:50], v[16:17], off
	s_waitcnt vmcnt(4)
	v_sub_co_u32_e32 v31, vcc, v31, v4
	v_subb_co_u32_e32 v32, vcc, v32, v5, vcc
	v_lshlrev_b64 v[31:32], 5, v[31:32]
	v_add_co_u32_e32 v31, vcc, s10, v31
	v_addc_co_u32_e32 v32, vcc, v30, v32, vcc
	global_load_dwordx4 v[51:54], v[31:32], off offset:16
	global_load_dwordx4 v[55:58], v[31:32], off
	s_waitcnt vmcnt(0)
	v_fma_f64 v[20:21], v[47:48], v[55:56], v[20:21]
	v_fma_f64 v[20:21], v[49:50], v[57:58], v[20:21]
	;; [unrolled: 1-line block ×8, first 2 shown]
	global_load_dwordx4 v[35:38], v[16:17], off offset:112
	global_load_dwordx4 v[39:42], v[16:17], off offset:96
	;; [unrolled: 1-line block ×4, first 2 shown]
	s_waitcnt vmcnt(0)
	v_fma_f64 v[20:21], v[47:48], v[55:56], v[26:27]
	v_fma_f64 v[20:21], v[49:50], v[57:58], v[20:21]
	;; [unrolled: 1-line block ×8, first 2 shown]
	global_load_dwordx2 v[20:21], v[28:29], off offset:-64
	s_waitcnt vmcnt(0)
	v_sub_co_u32_e32 v43, vcc, v20, v4
	v_subb_co_u32_e32 v44, vcc, v21, v5, vcc
	v_lshlrev_b64 v[43:44], 5, v[43:44]
	global_load_dwordx4 v[20:23], v[16:17], off offset:1072
	global_load_dwordx4 v[24:27], v[16:17], off offset:1056
	;; [unrolled: 1-line block ×4, first 2 shown]
	v_add_co_u32_e32 v53, vcc, s10, v43
	v_addc_co_u32_e32 v54, vcc, v30, v44, vcc
	global_load_dwordx4 v[43:46], v[53:54], off offset:16
	global_load_dwordx4 v[47:50], v[53:54], off
	s_waitcnt vmcnt(0)
	v_fma_f64 v[31:32], v[39:40], v[47:48], v[31:32]
	v_fma_f64 v[24:25], v[24:25], v[47:48], v[59:60]
	;; [unrolled: 1-line block ×8, first 2 shown]
	global_load_dwordx4 v[20:23], v[16:17], off offset:1136
	global_load_dwordx4 v[24:27], v[16:17], off offset:1120
	global_load_dwordx4 v[35:38], v[16:17], off offset:1104
	global_load_dwordx4 v[39:42], v[16:17], off offset:1088
	s_waitcnt vmcnt(2)
	v_fma_f64 v[24:25], v[24:25], v[47:48], v[51:52]
	s_waitcnt vmcnt(0)
	v_fma_f64 v[39:40], v[39:40], v[47:48], v[61:62]
	v_fma_f64 v[24:25], v[26:27], v[49:50], v[24:25]
	;; [unrolled: 1-line block ×6, first 2 shown]
	global_load_dwordx2 v[20:21], v[28:29], off
	v_fma_f64 v[55:56], v[37:38], v[45:46], v[35:36]
	s_waitcnt vmcnt(0)
	v_sub_co_u32_e32 v43, vcc, v20, v4
	v_subb_co_u32_e32 v44, vcc, v21, v5, vcc
	v_lshlrev_b64 v[43:44], 5, v[43:44]
	global_load_dwordx4 v[20:23], v[16:17], off offset:2096
	global_load_dwordx4 v[24:27], v[16:17], off offset:2080
	;; [unrolled: 1-line block ×4, first 2 shown]
	v_add_co_u32_e32 v57, vcc, s10, v43
	v_addc_co_u32_e32 v58, vcc, v30, v44, vcc
	global_load_dwordx4 v[43:46], v[57:58], off offset:16
	global_load_dwordx4 v[47:50], v[57:58], off
	s_waitcnt vmcnt(0)
	v_fma_f64 v[31:32], v[39:40], v[47:48], v[31:32]
	v_fma_f64 v[24:25], v[24:25], v[47:48], v[53:54]
	;; [unrolled: 1-line block ×8, first 2 shown]
	global_load_dwordx4 v[20:23], v[16:17], off offset:2160
	global_load_dwordx4 v[24:27], v[16:17], off offset:2144
	;; [unrolled: 1-line block ×4, first 2 shown]
	s_waitcnt vmcnt(2)
	v_fma_f64 v[24:25], v[24:25], v[47:48], v[51:52]
	s_waitcnt vmcnt(0)
	v_fma_f64 v[39:40], v[39:40], v[47:48], v[55:56]
	v_fma_f64 v[24:25], v[26:27], v[49:50], v[24:25]
	;; [unrolled: 1-line block ×6, first 2 shown]
	global_load_dwordx2 v[20:21], v[28:29], off offset:64
	v_fma_f64 v[59:60], v[37:38], v[45:46], v[35:36]
	global_load_dwordx4 v[22:25], v[16:17], off offset:3120
	global_load_dwordx4 v[35:38], v[16:17], off offset:3104
	;; [unrolled: 1-line block ×4, first 2 shown]
	s_waitcnt vmcnt(4)
	v_sub_co_u32_e32 v20, vcc, v20, v4
	v_subb_co_u32_e32 v21, vcc, v21, v5, vcc
	v_lshlrev_b64 v[20:21], 5, v[20:21]
	v_add_co_u32_e32 v20, vcc, s10, v20
	v_addc_co_u32_e32 v21, vcc, v30, v21, vcc
	global_load_dwordx4 v[47:50], v[20:21], off offset:16
	global_load_dwordx4 v[51:54], v[20:21], off
	s_waitcnt vmcnt(0)
	v_fma_f64 v[20:21], v[43:44], v[51:52], v[31:32]
	v_fma_f64 v[26:27], v[35:36], v[51:52], v[57:58]
	;; [unrolled: 1-line block ×7, first 2 shown]
	global_load_dwordx4 v[35:38], v[16:17], off offset:3184
	global_load_dwordx4 v[39:42], v[16:17], off offset:3168
	;; [unrolled: 1-line block ×4, first 2 shown]
	v_fma_f64 v[24:25], v[24:25], v[49:50], v[22:23]
	v_add_co_u32_e32 v16, vcc, s8, v16
	v_addc_co_u32_e32 v17, vcc, 0, v17, vcc
	v_add_co_u32_e32 v18, vcc, 32, v18
	v_addc_co_u32_e32 v19, vcc, 0, v19, vcc
	;; [unrolled: 2-line block ×3, first 2 shown]
	v_cmp_ge_i64_e32 vcc, v[18:19], v[6:7]
	s_or_b64 s[6:7], vcc, s[6:7]
	s_waitcnt vmcnt(0)
	v_fma_f64 v[22:23], v[55:56], v[51:52], v[59:60]
	v_fma_f64 v[22:23], v[57:58], v[53:54], v[22:23]
	;; [unrolled: 1-line block ×8, first 2 shown]
	s_andn2_b64 exec, exec, s[6:7]
	s_cbranch_execnz .LBB46_23
; %bb.24:
	s_or_b64 exec, exec, s[6:7]
.LBB46_25:
	s_or_b64 exec, exec, s[2:3]
.LBB46_26:
	s_or_b64 exec, exec, s[14:15]
	s_cbranch_execz .LBB46_28
	s_branch .LBB46_39
.LBB46_27:
                                        ; implicit-def: $vgpr22_vgpr23
                                        ; implicit-def: $vgpr26_vgpr27
                                        ; implicit-def: $vgpr24_vgpr25
                                        ; implicit-def: $vgpr20_vgpr21
.LBB46_28:
	v_mov_b32_e32 v22, 0
	v_mov_b32_e32 v26, 0
	;; [unrolled: 1-line block ×8, first 2 shown]
	s_and_saveexec_b64 s[2:3], s[0:1]
	s_cbranch_execz .LBB46_38
; %bb.29:
	v_or_b32_e32 v16, 8, v34
	v_sub_co_u32_e32 v16, vcc, v16, v4
	v_subb_co_u32_e32 v17, vcc, 0, v5, vcc
	v_add_co_u32_e32 v16, vcc, v16, v14
	v_addc_co_u32_e32 v17, vcc, v17, v15, vcc
	v_cmp_gt_i64_e32 vcc, v[16:17], v[6:7]
	v_not_b32_e32 v14, v14
	v_cndmask_b32_e32 v17, v7, v17, vcc
	v_cndmask_b32_e32 v16, v6, v16, vcc
	v_sub_co_u32_e32 v18, vcc, v4, v34
	v_subbrev_co_u32_e32 v19, vcc, 0, v5, vcc
	v_not_b32_e32 v15, v15
	v_add_co_u32_e32 v14, vcc, v18, v14
	v_addc_co_u32_e32 v15, vcc, v19, v15, vcc
	v_add_co_u32_e32 v14, vcc, v14, v16
	v_addc_co_u32_e32 v15, vcc, v15, v17, vcc
	v_and_b32_e32 v16, 24, v14
	v_mov_b32_e32 v17, 0
	v_cmp_ne_u64_e32 vcc, 24, v[16:17]
	v_mov_b32_e32 v20, 0
	v_mov_b32_e32 v24, 0
	;; [unrolled: 1-line block ×8, first 2 shown]
	s_and_saveexec_b64 s[0:1], vcc
	s_cbranch_execz .LBB46_33
; %bb.30:
	v_lshrrev_b32_e32 v16, 3, v14
	v_add_u32_e32 v16, 1, v16
	v_and_b32_e32 v18, 3, v16
	v_lshlrev_b64 v[16:17], 3, v[0:1]
	v_mov_b32_e32 v19, s13
	v_add_co_u32_e32 v16, vcc, s12, v16
	v_addc_co_u32_e32 v17, vcc, v19, v17, vcc
	v_sub_co_u32_e32 v18, vcc, 0, v18
	v_subb_co_u32_e64 v19, s[8:9], 0, 0, vcc
	v_mov_b32_e32 v22, 0
	v_mov_b32_e32 v26, 0
	v_mov_b32_e32 v24, 0
	v_mov_b32_e32 v20, 0
	s_mov_b64 s[6:7], 0
	v_mov_b32_e32 v23, 0
	v_mov_b32_e32 v27, 0
	v_mov_b32_e32 v25, 0
	v_mov_b32_e32 v21, 0
	s_movk_i32 s8, 0x400
.LBB46_31:                              ; =>This Inner Loop Header: Depth=1
	global_load_dwordx2 v[28:29], v[16:17], off
	v_mov_b32_e32 v47, s11
	s_waitcnt vmcnt(0)
	v_sub_co_u32_e32 v32, vcc, v28, v4
	v_subb_co_u32_e32 v33, vcc, v29, v5, vcc
	v_lshlrev_b64 v[32:33], 5, v[32:33]
	global_load_dwordx4 v[28:31], v[12:13], off offset:48
	global_load_dwordx4 v[35:38], v[12:13], off offset:32
	;; [unrolled: 1-line block ×3, first 2 shown]
	global_load_dwordx4 v[43:46], v[12:13], off
	v_add_co_u32_e32 v32, vcc, s10, v32
	v_addc_co_u32_e32 v33, vcc, v47, v33, vcc
	global_load_dwordx4 v[47:50], v[32:33], off offset:16
	global_load_dwordx4 v[51:54], v[32:33], off
	s_waitcnt vmcnt(0)
	v_fma_f64 v[20:21], v[43:44], v[51:52], v[20:21]
	v_fma_f64 v[24:25], v[45:46], v[51:52], v[24:25]
	;; [unrolled: 1-line block ×8, first 2 shown]
	global_load_dwordx4 v[26:29], v[12:13], off offset:112
	global_load_dwordx4 v[20:23], v[12:13], off offset:96
	;; [unrolled: 1-line block ×4, first 2 shown]
	v_add_co_u32_e32 v12, vcc, s8, v12
	v_addc_co_u32_e32 v13, vcc, 0, v13, vcc
	v_add_co_u32_e32 v0, vcc, 8, v0
	v_addc_co_u32_e32 v1, vcc, 0, v1, vcc
	;; [unrolled: 2-line block ×4, first 2 shown]
	v_cmp_eq_u64_e32 vcc, 0, v[18:19]
	s_or_b64 s[6:7], vcc, s[6:7]
	s_waitcnt vmcnt(1)
	v_fma_f64 v[30:31], v[30:31], v[47:48], v[41:42]
	s_waitcnt vmcnt(0)
	v_fma_f64 v[35:36], v[35:36], v[47:48], v[39:40]
	v_fma_f64 v[24:25], v[37:38], v[47:48], v[24:25]
	;; [unrolled: 1-line block ×7, first 2 shown]
	s_andn2_b64 exec, exec, s[6:7]
	s_cbranch_execnz .LBB46_31
; %bb.32:
	s_or_b64 exec, exec, s[6:7]
.LBB46_33:
	s_or_b64 exec, exec, s[0:1]
	v_cmp_lt_u64_e32 vcc, 23, v[14:15]
	s_and_saveexec_b64 s[0:1], vcc
	s_cbranch_execz .LBB46_37
; %bb.34:
	v_lshlrev_b64 v[14:15], 3, v[0:1]
	v_mov_b32_e32 v16, s13
	v_add_co_u32_e32 v14, vcc, s12, v14
	v_addc_co_u32_e32 v15, vcc, v16, v15, vcc
	v_add_co_u32_e32 v14, vcc, 0x80, v14
	v_addc_co_u32_e32 v15, vcc, 0, v15, vcc
	s_mov_b64 s[6:7], 0
	v_mov_b32_e32 v16, s11
	s_movk_i32 s8, 0x1000
.LBB46_35:                              ; =>This Inner Loop Header: Depth=1
	global_load_dwordx2 v[17:18], v[14:15], off offset:-128
	global_load_dwordx4 v[28:31], v[12:13], off offset:48
	global_load_dwordx4 v[35:38], v[12:13], off offset:32
	;; [unrolled: 1-line block ×3, first 2 shown]
	global_load_dwordx4 v[43:46], v[12:13], off
	s_waitcnt vmcnt(4)
	v_sub_co_u32_e32 v17, vcc, v17, v4
	v_subb_co_u32_e32 v18, vcc, v18, v5, vcc
	v_lshlrev_b64 v[17:18], 5, v[17:18]
	v_add_co_u32_e32 v17, vcc, s10, v17
	v_addc_co_u32_e32 v18, vcc, v16, v18, vcc
	global_load_dwordx4 v[47:50], v[17:18], off offset:16
	global_load_dwordx4 v[51:54], v[17:18], off
	s_waitcnt vmcnt(0)
	v_fma_f64 v[17:18], v[43:44], v[51:52], v[20:21]
	v_fma_f64 v[19:20], v[45:46], v[51:52], v[24:25]
	;; [unrolled: 1-line block ×8, first 2 shown]
	global_load_dwordx4 v[17:20], v[12:13], off offset:112
	global_load_dwordx4 v[21:24], v[12:13], off offset:96
	;; [unrolled: 1-line block ×4, first 2 shown]
	s_waitcnt vmcnt(1)
	v_fma_f64 v[25:26], v[25:26], v[47:48], v[39:40]
	s_waitcnt vmcnt(0)
	v_fma_f64 v[29:30], v[29:30], v[47:48], v[35:36]
	v_fma_f64 v[31:32], v[31:32], v[47:48], v[37:38]
	;; [unrolled: 1-line block ×4, first 2 shown]
	global_load_dwordx2 v[17:18], v[14:15], off offset:-64
	v_fma_f64 v[43:44], v[21:22], v[49:50], v[29:30]
	v_fma_f64 v[45:46], v[23:24], v[49:50], v[31:32]
	;; [unrolled: 1-line block ×3, first 2 shown]
	s_waitcnt vmcnt(0)
	v_sub_co_u32_e32 v35, vcc, v17, v4
	v_subb_co_u32_e32 v36, vcc, v18, v5, vcc
	v_lshlrev_b64 v[35:36], 5, v[35:36]
	global_load_dwordx4 v[17:20], v[12:13], off offset:1072
	global_load_dwordx4 v[21:24], v[12:13], off offset:1056
	;; [unrolled: 1-line block ×4, first 2 shown]
	v_add_co_u32_e32 v51, vcc, s10, v35
	v_addc_co_u32_e32 v52, vcc, v16, v36, vcc
	global_load_dwordx4 v[35:38], v[51:52], off offset:16
	global_load_dwordx4 v[39:42], v[51:52], off
	s_waitcnt vmcnt(0)
	v_fma_f64 v[29:30], v[29:30], v[39:40], v[43:44]
	v_fma_f64 v[31:32], v[31:32], v[39:40], v[45:46]
	;; [unrolled: 1-line block ×8, first 2 shown]
	global_load_dwordx4 v[17:20], v[12:13], off offset:1136
	global_load_dwordx4 v[21:24], v[12:13], off offset:1120
	global_load_dwordx4 v[25:28], v[12:13], off offset:1104
	global_load_dwordx4 v[29:32], v[12:13], off offset:1088
	s_waitcnt vmcnt(1)
	v_fma_f64 v[25:26], v[25:26], v[35:36], v[45:46]
	s_waitcnt vmcnt(0)
	v_fma_f64 v[29:30], v[29:30], v[35:36], v[39:40]
	v_fma_f64 v[31:32], v[31:32], v[35:36], v[43:44]
	;; [unrolled: 1-line block ×4, first 2 shown]
	global_load_dwordx2 v[17:18], v[14:15], off
	v_fma_f64 v[43:44], v[21:22], v[37:38], v[29:30]
	v_fma_f64 v[45:46], v[23:24], v[37:38], v[31:32]
	;; [unrolled: 1-line block ×3, first 2 shown]
	s_waitcnt vmcnt(0)
	v_sub_co_u32_e32 v35, vcc, v17, v4
	v_subb_co_u32_e32 v36, vcc, v18, v5, vcc
	v_lshlrev_b64 v[35:36], 5, v[35:36]
	global_load_dwordx4 v[17:20], v[12:13], off offset:2096
	global_load_dwordx4 v[21:24], v[12:13], off offset:2080
	;; [unrolled: 1-line block ×4, first 2 shown]
	v_add_co_u32_e32 v51, vcc, s10, v35
	v_addc_co_u32_e32 v52, vcc, v16, v36, vcc
	global_load_dwordx4 v[35:38], v[51:52], off offset:16
	global_load_dwordx4 v[39:42], v[51:52], off
	s_waitcnt vmcnt(0)
	v_fma_f64 v[29:30], v[29:30], v[39:40], v[43:44]
	v_fma_f64 v[31:32], v[31:32], v[39:40], v[45:46]
	;; [unrolled: 1-line block ×8, first 2 shown]
	global_load_dwordx4 v[17:20], v[12:13], off offset:2160
	global_load_dwordx4 v[21:24], v[12:13], off offset:2144
	;; [unrolled: 1-line block ×4, first 2 shown]
	s_waitcnt vmcnt(1)
	v_fma_f64 v[25:26], v[25:26], v[35:36], v[45:46]
	s_waitcnt vmcnt(0)
	v_fma_f64 v[29:30], v[29:30], v[35:36], v[39:40]
	v_fma_f64 v[31:32], v[31:32], v[35:36], v[43:44]
	;; [unrolled: 1-line block ×4, first 2 shown]
	global_load_dwordx2 v[17:18], v[14:15], off offset:64
	v_fma_f64 v[43:44], v[21:22], v[37:38], v[29:30]
	v_fma_f64 v[45:46], v[23:24], v[37:38], v[31:32]
	v_fma_f64 v[49:50], v[19:20], v[37:38], v[27:28]
	s_waitcnt vmcnt(0)
	v_sub_co_u32_e32 v35, vcc, v17, v4
	v_subb_co_u32_e32 v36, vcc, v18, v5, vcc
	v_lshlrev_b64 v[35:36], 5, v[35:36]
	global_load_dwordx4 v[17:20], v[12:13], off offset:3120
	global_load_dwordx4 v[21:24], v[12:13], off offset:3104
	;; [unrolled: 1-line block ×4, first 2 shown]
	v_add_co_u32_e32 v51, vcc, s10, v35
	v_addc_co_u32_e32 v52, vcc, v16, v36, vcc
	global_load_dwordx4 v[35:38], v[51:52], off offset:16
	global_load_dwordx4 v[39:42], v[51:52], off
	s_waitcnt vmcnt(0)
	v_fma_f64 v[29:30], v[29:30], v[39:40], v[43:44]
	v_fma_f64 v[31:32], v[31:32], v[39:40], v[45:46]
	;; [unrolled: 1-line block ×8, first 2 shown]
	global_load_dwordx4 v[26:29], v[12:13], off offset:3184
	global_load_dwordx4 v[20:23], v[12:13], off offset:3168
	;; [unrolled: 1-line block ×4, first 2 shown]
	v_add_co_u32_e32 v12, vcc, s8, v12
	v_addc_co_u32_e32 v13, vcc, 0, v13, vcc
	v_add_co_u32_e32 v0, vcc, 32, v0
	v_addc_co_u32_e32 v1, vcc, 0, v1, vcc
	;; [unrolled: 2-line block ×3, first 2 shown]
	v_cmp_ge_i64_e32 vcc, v[0:1], v[6:7]
	s_or_b64 s[6:7], vcc, s[6:7]
	s_waitcnt vmcnt(1)
	v_fma_f64 v[17:18], v[30:31], v[35:36], v[17:18]
	s_waitcnt vmcnt(0)
	v_fma_f64 v[39:40], v[39:40], v[35:36], v[43:44]
	v_fma_f64 v[41:42], v[41:42], v[35:36], v[45:46]
	;; [unrolled: 1-line block ×7, first 2 shown]
	s_andn2_b64 exec, exec, s[6:7]
	s_cbranch_execnz .LBB46_35
; %bb.36:
	s_or_b64 exec, exec, s[6:7]
.LBB46_37:
	s_or_b64 exec, exec, s[0:1]
.LBB46_38:
	s_or_b64 exec, exec, s[2:3]
.LBB46_39:
	v_mov_b32_dpp v0, v20 row_shr:1 row_mask:0xf bank_mask:0xf
	v_mov_b32_dpp v1, v21 row_shr:1 row_mask:0xf bank_mask:0xf
	v_add_f64 v[0:1], v[20:21], v[0:1]
	v_mov_b32_dpp v4, v24 row_shr:1 row_mask:0xf bank_mask:0xf
	v_mov_b32_dpp v5, v25 row_shr:1 row_mask:0xf bank_mask:0xf
	;; [unrolled: 1-line block ×4, first 2 shown]
	v_add_f64 v[4:5], v[24:25], v[4:5]
	v_add_f64 v[6:7], v[26:27], v[6:7]
	v_mov_b32_dpp v14, v22 row_shr:1 row_mask:0xf bank_mask:0xf
	v_mov_b32_dpp v15, v23 row_shr:1 row_mask:0xf bank_mask:0xf
	v_add_f64 v[14:15], v[22:23], v[14:15]
	v_mov_b32_dpp v12, v0 row_shr:2 row_mask:0xf bank_mask:0xf
	v_mov_b32_dpp v13, v1 row_shr:2 row_mask:0xf bank_mask:0xf
	;; [unrolled: 3-line block ×6, first 2 shown]
	v_mov_b32_dpp v18, v4 row_shr:4 row_mask:0xf bank_mask:0xe
	v_mov_b32_dpp v19, v5 row_shr:4 row_mask:0xf bank_mask:0xe
	;; [unrolled: 1-line block ×4, first 2 shown]
	v_cmp_eq_u32_e32 vcc, 7, v34
	v_mov_b32_dpp v14, v12 row_shr:4 row_mask:0xf bank_mask:0xe
	v_mov_b32_dpp v15, v13 row_shr:4 row_mask:0xf bank_mask:0xe
	s_and_b64 exec, exec, vcc
	s_cbranch_execz .LBB46_10
; %bb.40:
	v_add_f64 v[0:1], v[0:1], v[20:21]
	v_add_f64 v[18:19], v[4:5], v[18:19]
	;; [unrolled: 1-line block ×4, first 2 shown]
	v_cmp_eq_f64_e32 vcc, 0, v[8:9]
	s_load_dwordx2 s[0:1], s[4:5], 0x58
	v_lshlrev_b64 v[10:11], 5, v[10:11]
	v_mul_f64 v[4:5], v[2:3], v[0:1]
	v_mul_f64 v[6:7], v[2:3], v[18:19]
	;; [unrolled: 1-line block ×4, first 2 shown]
	s_and_saveexec_b64 s[2:3], vcc
	s_xor_b64 s[2:3], exec, s[2:3]
	s_cbranch_execz .LBB46_42
; %bb.41:
	s_waitcnt lgkmcnt(0)
	v_mov_b32_e32 v9, s1
	v_add_co_u32_e32 v8, vcc, s0, v10
	v_addc_co_u32_e32 v9, vcc, v9, v11, vcc
	global_store_dwordx4 v[8:9], v[4:7], off
	global_store_dwordx4 v[8:9], v[0:3], off offset:16
                                        ; implicit-def: $vgpr10_vgpr11
                                        ; implicit-def: $vgpr8_vgpr9
                                        ; implicit-def: $vgpr4_vgpr5
                                        ; implicit-def: $vgpr0_vgpr1
.LBB46_42:
	s_andn2_saveexec_b64 s[2:3], s[2:3]
	s_cbranch_execz .LBB46_10
; %bb.43:
	s_waitcnt lgkmcnt(0)
	v_mov_b32_e32 v12, s1
	v_add_co_u32_e32 v18, vcc, s0, v10
	v_addc_co_u32_e32 v19, vcc, v12, v11, vcc
	global_load_dwordx4 v[10:13], v[18:19], off
	global_load_dwordx4 v[14:17], v[18:19], off offset:16
	s_waitcnt vmcnt(1)
	v_fma_f64 v[4:5], v[8:9], v[10:11], v[4:5]
	v_fma_f64 v[6:7], v[8:9], v[12:13], v[6:7]
	s_waitcnt vmcnt(0)
	v_fma_f64 v[0:1], v[8:9], v[14:15], v[0:1]
	v_fma_f64 v[2:3], v[8:9], v[16:17], v[2:3]
	global_store_dwordx4 v[18:19], v[4:7], off
	global_store_dwordx4 v[18:19], v[0:3], off offset:16
	s_endpgm
	.section	.rodata,"a",@progbits
	.p2align	6, 0x0
	.amdhsa_kernel _ZN9rocsparseL18bsrxmvn_4x4_kernelILj128ELj8EdlldddEEvT3_20rocsparse_direction_NS_24const_host_device_scalarIT1_EES1_PKS1_PKT2_SA_S7_PKT4_PKT5_S5_PT6_21rocsparse_index_base_b
		.amdhsa_group_segment_fixed_size 0
		.amdhsa_private_segment_fixed_size 0
		.amdhsa_kernarg_size 104
		.amdhsa_user_sgpr_count 6
		.amdhsa_user_sgpr_private_segment_buffer 1
		.amdhsa_user_sgpr_dispatch_ptr 0
		.amdhsa_user_sgpr_queue_ptr 0
		.amdhsa_user_sgpr_kernarg_segment_ptr 1
		.amdhsa_user_sgpr_dispatch_id 0
		.amdhsa_user_sgpr_flat_scratch_init 0
		.amdhsa_user_sgpr_private_segment_size 0
		.amdhsa_uses_dynamic_stack 0
		.amdhsa_system_sgpr_private_segment_wavefront_offset 0
		.amdhsa_system_sgpr_workgroup_id_x 1
		.amdhsa_system_sgpr_workgroup_id_y 0
		.amdhsa_system_sgpr_workgroup_id_z 0
		.amdhsa_system_sgpr_workgroup_info 0
		.amdhsa_system_vgpr_workitem_id 0
		.amdhsa_next_free_vgpr 63
		.amdhsa_next_free_sgpr 21
		.amdhsa_reserve_vcc 1
		.amdhsa_reserve_flat_scratch 0
		.amdhsa_float_round_mode_32 0
		.amdhsa_float_round_mode_16_64 0
		.amdhsa_float_denorm_mode_32 3
		.amdhsa_float_denorm_mode_16_64 3
		.amdhsa_dx10_clamp 1
		.amdhsa_ieee_mode 1
		.amdhsa_fp16_overflow 0
		.amdhsa_exception_fp_ieee_invalid_op 0
		.amdhsa_exception_fp_denorm_src 0
		.amdhsa_exception_fp_ieee_div_zero 0
		.amdhsa_exception_fp_ieee_overflow 0
		.amdhsa_exception_fp_ieee_underflow 0
		.amdhsa_exception_fp_ieee_inexact 0
		.amdhsa_exception_int_div_zero 0
	.end_amdhsa_kernel
	.section	.text._ZN9rocsparseL18bsrxmvn_4x4_kernelILj128ELj8EdlldddEEvT3_20rocsparse_direction_NS_24const_host_device_scalarIT1_EES1_PKS1_PKT2_SA_S7_PKT4_PKT5_S5_PT6_21rocsparse_index_base_b,"axG",@progbits,_ZN9rocsparseL18bsrxmvn_4x4_kernelILj128ELj8EdlldddEEvT3_20rocsparse_direction_NS_24const_host_device_scalarIT1_EES1_PKS1_PKT2_SA_S7_PKT4_PKT5_S5_PT6_21rocsparse_index_base_b,comdat
.Lfunc_end46:
	.size	_ZN9rocsparseL18bsrxmvn_4x4_kernelILj128ELj8EdlldddEEvT3_20rocsparse_direction_NS_24const_host_device_scalarIT1_EES1_PKS1_PKT2_SA_S7_PKT4_PKT5_S5_PT6_21rocsparse_index_base_b, .Lfunc_end46-_ZN9rocsparseL18bsrxmvn_4x4_kernelILj128ELj8EdlldddEEvT3_20rocsparse_direction_NS_24const_host_device_scalarIT1_EES1_PKS1_PKT2_SA_S7_PKT4_PKT5_S5_PT6_21rocsparse_index_base_b
                                        ; -- End function
	.set _ZN9rocsparseL18bsrxmvn_4x4_kernelILj128ELj8EdlldddEEvT3_20rocsparse_direction_NS_24const_host_device_scalarIT1_EES1_PKS1_PKT2_SA_S7_PKT4_PKT5_S5_PT6_21rocsparse_index_base_b.num_vgpr, 63
	.set _ZN9rocsparseL18bsrxmvn_4x4_kernelILj128ELj8EdlldddEEvT3_20rocsparse_direction_NS_24const_host_device_scalarIT1_EES1_PKS1_PKT2_SA_S7_PKT4_PKT5_S5_PT6_21rocsparse_index_base_b.num_agpr, 0
	.set _ZN9rocsparseL18bsrxmvn_4x4_kernelILj128ELj8EdlldddEEvT3_20rocsparse_direction_NS_24const_host_device_scalarIT1_EES1_PKS1_PKT2_SA_S7_PKT4_PKT5_S5_PT6_21rocsparse_index_base_b.numbered_sgpr, 21
	.set _ZN9rocsparseL18bsrxmvn_4x4_kernelILj128ELj8EdlldddEEvT3_20rocsparse_direction_NS_24const_host_device_scalarIT1_EES1_PKS1_PKT2_SA_S7_PKT4_PKT5_S5_PT6_21rocsparse_index_base_b.num_named_barrier, 0
	.set _ZN9rocsparseL18bsrxmvn_4x4_kernelILj128ELj8EdlldddEEvT3_20rocsparse_direction_NS_24const_host_device_scalarIT1_EES1_PKS1_PKT2_SA_S7_PKT4_PKT5_S5_PT6_21rocsparse_index_base_b.private_seg_size, 0
	.set _ZN9rocsparseL18bsrxmvn_4x4_kernelILj128ELj8EdlldddEEvT3_20rocsparse_direction_NS_24const_host_device_scalarIT1_EES1_PKS1_PKT2_SA_S7_PKT4_PKT5_S5_PT6_21rocsparse_index_base_b.uses_vcc, 1
	.set _ZN9rocsparseL18bsrxmvn_4x4_kernelILj128ELj8EdlldddEEvT3_20rocsparse_direction_NS_24const_host_device_scalarIT1_EES1_PKS1_PKT2_SA_S7_PKT4_PKT5_S5_PT6_21rocsparse_index_base_b.uses_flat_scratch, 0
	.set _ZN9rocsparseL18bsrxmvn_4x4_kernelILj128ELj8EdlldddEEvT3_20rocsparse_direction_NS_24const_host_device_scalarIT1_EES1_PKS1_PKT2_SA_S7_PKT4_PKT5_S5_PT6_21rocsparse_index_base_b.has_dyn_sized_stack, 0
	.set _ZN9rocsparseL18bsrxmvn_4x4_kernelILj128ELj8EdlldddEEvT3_20rocsparse_direction_NS_24const_host_device_scalarIT1_EES1_PKS1_PKT2_SA_S7_PKT4_PKT5_S5_PT6_21rocsparse_index_base_b.has_recursion, 0
	.set _ZN9rocsparseL18bsrxmvn_4x4_kernelILj128ELj8EdlldddEEvT3_20rocsparse_direction_NS_24const_host_device_scalarIT1_EES1_PKS1_PKT2_SA_S7_PKT4_PKT5_S5_PT6_21rocsparse_index_base_b.has_indirect_call, 0
	.section	.AMDGPU.csdata,"",@progbits
; Kernel info:
; codeLenInByte = 4448
; TotalNumSgprs: 25
; NumVgprs: 63
; ScratchSize: 0
; MemoryBound: 1
; FloatMode: 240
; IeeeMode: 1
; LDSByteSize: 0 bytes/workgroup (compile time only)
; SGPRBlocks: 3
; VGPRBlocks: 15
; NumSGPRsForWavesPerEU: 25
; NumVGPRsForWavesPerEU: 63
; Occupancy: 4
; WaveLimiterHint : 1
; COMPUTE_PGM_RSRC2:SCRATCH_EN: 0
; COMPUTE_PGM_RSRC2:USER_SGPR: 6
; COMPUTE_PGM_RSRC2:TRAP_HANDLER: 0
; COMPUTE_PGM_RSRC2:TGID_X_EN: 1
; COMPUTE_PGM_RSRC2:TGID_Y_EN: 0
; COMPUTE_PGM_RSRC2:TGID_Z_EN: 0
; COMPUTE_PGM_RSRC2:TIDIG_COMP_CNT: 0
	.section	.text._ZN9rocsparseL18bsrxmvn_4x4_kernelILj128ELj16EdlldddEEvT3_20rocsparse_direction_NS_24const_host_device_scalarIT1_EES1_PKS1_PKT2_SA_S7_PKT4_PKT5_S5_PT6_21rocsparse_index_base_b,"axG",@progbits,_ZN9rocsparseL18bsrxmvn_4x4_kernelILj128ELj16EdlldddEEvT3_20rocsparse_direction_NS_24const_host_device_scalarIT1_EES1_PKS1_PKT2_SA_S7_PKT4_PKT5_S5_PT6_21rocsparse_index_base_b,comdat
	.globl	_ZN9rocsparseL18bsrxmvn_4x4_kernelILj128ELj16EdlldddEEvT3_20rocsparse_direction_NS_24const_host_device_scalarIT1_EES1_PKS1_PKT2_SA_S7_PKT4_PKT5_S5_PT6_21rocsparse_index_base_b ; -- Begin function _ZN9rocsparseL18bsrxmvn_4x4_kernelILj128ELj16EdlldddEEvT3_20rocsparse_direction_NS_24const_host_device_scalarIT1_EES1_PKS1_PKT2_SA_S7_PKT4_PKT5_S5_PT6_21rocsparse_index_base_b
	.p2align	8
	.type	_ZN9rocsparseL18bsrxmvn_4x4_kernelILj128ELj16EdlldddEEvT3_20rocsparse_direction_NS_24const_host_device_scalarIT1_EES1_PKS1_PKT2_SA_S7_PKT4_PKT5_S5_PT6_21rocsparse_index_base_b,@function
_ZN9rocsparseL18bsrxmvn_4x4_kernelILj128ELj16EdlldddEEvT3_20rocsparse_direction_NS_24const_host_device_scalarIT1_EES1_PKS1_PKT2_SA_S7_PKT4_PKT5_S5_PT6_21rocsparse_index_base_b: ; @_ZN9rocsparseL18bsrxmvn_4x4_kernelILj128ELj16EdlldddEEvT3_20rocsparse_direction_NS_24const_host_device_scalarIT1_EES1_PKS1_PKT2_SA_S7_PKT4_PKT5_S5_PT6_21rocsparse_index_base_b
; %bb.0:
	s_load_dwordx2 s[8:9], s[4:5], 0x60
	s_load_dwordx4 s[0:3], s[4:5], 0x10
	s_load_dwordx2 s[10:11], s[4:5], 0x50
	s_waitcnt lgkmcnt(0)
	s_bitcmp1_b32 s9, 0
	s_cselect_b64 s[14:15], -1, 0
	v_mov_b32_e32 v3, s1
	s_xor_b64 s[12:13], s[14:15], -1
	s_and_b64 vcc, exec, s[14:15]
	v_mov_b32_e32 v2, s0
	s_cbranch_vccnz .LBB47_2
; %bb.1:
	v_mov_b32_e32 v2, s1
	v_mov_b32_e32 v1, s0
	flat_load_dwordx2 v[2:3], v[1:2]
.LBB47_2:
	v_mov_b32_e32 v8, s10
	s_andn2_b64 vcc, exec, s[12:13]
	v_mov_b32_e32 v9, s11
	s_cbranch_vccnz .LBB47_4
; %bb.3:
	v_mov_b32_e32 v4, s10
	v_mov_b32_e32 v5, s11
	flat_load_dwordx2 v[8:9], v[4:5]
.LBB47_4:
	s_waitcnt vmcnt(0) lgkmcnt(0)
	v_cmp_neq_f64_e32 vcc, 0, v[2:3]
	v_cmp_neq_f64_e64 s[0:1], 1.0, v[8:9]
	s_mov_b64 s[10:11], 0
	s_or_b64 s[0:1], vcc, s[0:1]
	s_and_saveexec_b64 s[12:13], s[0:1]
	s_cbranch_execz .LBB47_10
; %bb.5:
	s_load_dwordx2 s[12:13], s[4:5], 0x20
	v_lshrrev_b32_e32 v1, 4, v0
	v_lshl_or_b32 v6, s6, 3, v1
	v_mov_b32_e32 v7, 0
	s_mov_b64 s[0:1], 0
	s_waitcnt lgkmcnt(0)
	s_cmp_lg_u64 s[12:13], 0
	s_cbranch_scc0 .LBB47_11
; %bb.6:
	v_cmp_gt_i64_e32 vcc, s[2:3], v[6:7]
                                        ; implicit-def: $vgpr10_vgpr11
                                        ; implicit-def: $vgpr4_vgpr5
	s_and_saveexec_b64 s[2:3], vcc
	s_xor_b64 s[2:3], exec, s[2:3]
	s_cbranch_execz .LBB47_8
; %bb.7:
	v_lshlrev_b64 v[4:5], 3, v[6:7]
	v_mov_b32_e32 v1, s13
	v_add_co_u32_e32 v4, vcc, s12, v4
	v_addc_co_u32_e32 v5, vcc, v1, v5, vcc
	global_load_dwordx2 v[4:5], v[4:5], off
	s_mov_b32 s9, 0
	s_mov_b64 s[0:1], exec
	s_waitcnt vmcnt(0)
	v_subrev_co_u32_e32 v10, vcc, s8, v4
	v_subbrev_co_u32_e32 v11, vcc, 0, v5, vcc
	v_mov_b32_e32 v4, s8
	v_mov_b32_e32 v5, s9
.LBB47_8:
	s_or_b64 exec, exec, s[2:3]
	s_mov_b64 s[10:11], s[0:1]
.LBB47_9:
	s_and_b64 exec, exec, s[10:11]
	s_cbranch_execnz .LBB47_15
.LBB47_10:
	s_endpgm
.LBB47_11:
                                        ; implicit-def: $vgpr10_vgpr11
                                        ; implicit-def: $vgpr4_vgpr5
	s_cbranch_execz .LBB47_9
; %bb.12:
	s_load_dwordx2 s[0:1], s[4:5], 0x0
	s_waitcnt lgkmcnt(0)
	v_cmp_gt_i64_e32 vcc, s[0:1], v[6:7]
	s_and_saveexec_b64 s[0:1], vcc
; %bb.13:
	s_mov_b32 s9, 0
	s_or_b64 s[10:11], s[10:11], exec
; %bb.14:
	s_or_b64 exec, exec, s[0:1]
	v_mov_b32_e32 v4, s8
	v_mov_b32_e32 v11, v7
	;; [unrolled: 1-line block ×4, first 2 shown]
	s_and_b64 exec, exec, s[10:11]
	s_cbranch_execz .LBB47_10
.LBB47_15:
	s_load_dwordx8 s[8:15], s[4:5], 0x28
	v_lshlrev_b64 v[6:7], 3, v[10:11]
	v_and_b32_e32 v34, 15, v0
	s_waitcnt lgkmcnt(0)
	v_mov_b32_e32 v1, s9
	v_add_co_u32_e32 v12, vcc, s8, v6
	v_addc_co_u32_e32 v13, vcc, v1, v7, vcc
	v_add_co_u32_e32 v1, vcc, 8, v12
	global_load_dwordx2 v[14:15], v[12:13], off
	v_addc_co_u32_e32 v12, vcc, 0, v13, vcc
	v_mov_b32_e32 v13, s11
	v_add_co_u32_e32 v6, vcc, s10, v6
	s_cmp_eq_u64 s[10:11], 0
	v_addc_co_u32_e32 v7, vcc, v13, v7, vcc
	s_cselect_b64 vcc, -1, 0
	v_cndmask_b32_e32 v7, v7, v12, vcc
	v_cndmask_b32_e32 v6, v6, v1, vcc
	global_load_dwordx2 v[6:7], v[6:7], off
	s_load_dword s0, s[4:5], 0x8
	s_load_dwordx2 s[8:9], s[4:5], 0x48
	v_mov_b32_e32 v16, s15
	s_waitcnt lgkmcnt(0)
	s_cmp_eq_u32 s0, 1
	s_waitcnt vmcnt(1)
	v_sub_co_u32_e32 v0, vcc, v14, v4
	v_subb_co_u32_e32 v1, vcc, v15, v5, vcc
	v_add_co_u32_e32 v0, vcc, v0, v34
	v_addc_co_u32_e32 v1, vcc, 0, v1, vcc
	v_lshlrev_b64 v[12:13], 7, v[0:1]
	s_waitcnt vmcnt(0)
	v_sub_co_u32_e32 v6, vcc, v6, v4
	v_subb_co_u32_e32 v7, vcc, v7, v5, vcc
	v_cmp_lt_i64_e64 s[0:1], v[0:1], v[6:7]
	v_add_co_u32_e32 v12, vcc, s14, v12
	v_addc_co_u32_e32 v13, vcc, v16, v13, vcc
	s_cbranch_scc1 .LBB47_27
; %bb.16:
	v_mov_b32_e32 v20, 0
	v_mov_b32_e32 v24, 0
	;; [unrolled: 1-line block ×8, first 2 shown]
	s_and_saveexec_b64 s[10:11], s[0:1]
	s_cbranch_execz .LBB47_26
; %bb.17:
	v_or_b32_e32 v16, 16, v34
	v_sub_co_u32_e32 v16, vcc, v16, v4
	v_subb_co_u32_e32 v17, vcc, 0, v5, vcc
	v_add_co_u32_e32 v16, vcc, v16, v14
	v_addc_co_u32_e32 v17, vcc, v17, v15, vcc
	v_cmp_gt_i64_e32 vcc, v[16:17], v[6:7]
	v_not_b32_e32 v19, v14
	v_cndmask_b32_e32 v17, v7, v17, vcc
	v_cndmask_b32_e32 v16, v6, v16, vcc
	v_sub_co_u32_e32 v20, vcc, v4, v34
	v_subbrev_co_u32_e32 v21, vcc, 0, v5, vcc
	v_not_b32_e32 v18, v15
	v_add_co_u32_e32 v19, vcc, v20, v19
	v_addc_co_u32_e32 v18, vcc, v21, v18, vcc
	v_add_co_u32_e32 v28, vcc, v19, v16
	v_addc_co_u32_e32 v29, vcc, v18, v17, vcc
	v_and_b32_e32 v16, 48, v28
	v_mov_b32_e32 v17, 0
	v_cmp_ne_u64_e32 vcc, 48, v[16:17]
	v_mov_b32_e32 v22, 0
	v_mov_b32_e32 v26, 0
	;; [unrolled: 1-line block ×12, first 2 shown]
	s_and_saveexec_b64 s[14:15], vcc
	s_cbranch_execz .LBB47_21
; %bb.18:
	v_lshrrev_b32_e32 v16, 4, v28
	v_add_u32_e32 v16, 1, v16
	v_and_b32_e32 v18, 3, v16
	v_lshlrev_b64 v[16:17], 3, v[0:1]
	v_mov_b32_e32 v19, s13
	v_add_co_u32_e32 v30, vcc, s12, v16
	v_addc_co_u32_e32 v31, vcc, v19, v17, vcc
	v_sub_co_u32_e32 v32, vcc, 0, v18
	v_mov_b32_e32 v20, 0
	v_mov_b32_e32 v17, v13
	;; [unrolled: 1-line block ×6, first 2 shown]
	s_mov_b64 s[16:17], 0
	v_subb_co_u32_e64 v33, s[2:3], 0, 0, vcc
	v_mov_b32_e32 v21, 0
	s_movk_i32 s18, 0x800
	v_mov_b32_e32 v16, v12
	v_mov_b32_e32 v25, 0
	;; [unrolled: 1-line block ×5, first 2 shown]
.LBB47_19:                              ; =>This Inner Loop Header: Depth=1
	global_load_dwordx2 v[47:48], v[30:31], off
	global_load_dwordx4 v[35:38], v[16:17], off offset:32
	global_load_dwordx4 v[39:42], v[16:17], off
	v_mov_b32_e32 v49, s9
	global_load_dwordx4 v[43:46], v[16:17], off offset:64
	v_add_co_u32_e64 v32, s[6:7], 1, v32
	s_waitcnt vmcnt(3)
	v_sub_co_u32_e32 v47, vcc, v47, v4
	v_subb_co_u32_e32 v48, vcc, v48, v5, vcc
	v_lshlrev_b64 v[47:48], 5, v[47:48]
	v_add_co_u32_e32 v51, vcc, s8, v47
	v_addc_co_u32_e32 v52, vcc, v49, v48, vcc
	global_load_dwordx4 v[47:50], v[51:52], off
	s_waitcnt vmcnt(0)
	v_fma_f64 v[22:23], v[39:40], v[47:48], v[22:23]
	v_fma_f64 v[53:54], v[41:42], v[49:50], v[22:23]
	global_load_dwordx4 v[39:42], v[16:17], off offset:96
	v_fma_f64 v[22:23], v[35:36], v[47:48], v[26:27]
	v_fma_f64 v[26:27], v[37:38], v[49:50], v[22:23]
	;; [unrolled: 1-line block ×3, first 2 shown]
	global_load_dwordx4 v[35:38], v[16:17], off offset:48
	v_fma_f64 v[55:56], v[45:46], v[49:50], v[22:23]
	global_load_dwordx4 v[22:25], v[16:17], off offset:16
	s_waitcnt vmcnt(2)
	v_fma_f64 v[20:21], v[39:40], v[47:48], v[20:21]
	v_fma_f64 v[20:21], v[41:42], v[49:50], v[20:21]
	global_load_dwordx4 v[39:42], v[16:17], off offset:80
	global_load_dwordx4 v[43:46], v[51:52], off offset:16
	;; [unrolled: 1-line block ×3, first 2 shown]
	v_add_co_u32_e32 v16, vcc, s18, v16
	s_mov_b64 s[2:3], vcc
	v_add_co_u32_e32 v18, vcc, 16, v18
	v_addc_co_u32_e32 v19, vcc, 0, v19, vcc
	v_addc_co_u32_e64 v33, vcc, 0, v33, s[6:7]
	v_cmp_eq_u64_e64 s[6:7], 0, v[32:33]
	v_add_co_u32_e32 v30, vcc, 0x80, v30
	v_addc_co_u32_e64 v17, s[2:3], 0, v17, s[2:3]
	s_or_b64 s[16:17], s[6:7], s[16:17]
	v_addc_co_u32_e32 v31, vcc, 0, v31, vcc
	s_waitcnt vmcnt(1)
	v_fma_f64 v[22:23], v[22:23], v[43:44], v[53:54]
	s_waitcnt vmcnt(0)
	v_fma_f64 v[20:21], v[47:48], v[43:44], v[20:21]
	v_fma_f64 v[22:23], v[24:25], v[45:46], v[22:23]
	;; [unrolled: 1-line block ×7, first 2 shown]
	s_andn2_b64 exec, exec, s[16:17]
	s_cbranch_execnz .LBB47_19
; %bb.20:
	s_or_b64 exec, exec, s[16:17]
.LBB47_21:
	s_or_b64 exec, exec, s[14:15]
	v_cmp_lt_u64_e32 vcc, 47, v[28:29]
	s_and_saveexec_b64 s[6:7], vcc
	s_cbranch_execz .LBB47_25
; %bb.22:
	v_lshlrev_b64 v[28:29], 3, v[18:19]
	v_mov_b32_e32 v30, s13
	v_add_co_u32_e32 v28, vcc, s12, v28
	v_addc_co_u32_e32 v29, vcc, v30, v29, vcc
	v_add_co_u32_e32 v28, vcc, 0x100, v28
	v_addc_co_u32_e32 v29, vcc, 0, v29, vcc
	s_mov_b64 s[14:15], 0
	v_mov_b32_e32 v30, s9
	s_movk_i32 s16, 0x1000
.LBB47_23:                              ; =>This Inner Loop Header: Depth=1
	global_load_dwordx2 v[31:32], v[28:29], off offset:-256
	global_load_dwordx4 v[35:38], v[16:17], off offset:48
	global_load_dwordx4 v[39:42], v[16:17], off offset:32
	;; [unrolled: 1-line block ×3, first 2 shown]
	global_load_dwordx4 v[47:50], v[16:17], off
	s_waitcnt vmcnt(4)
	v_sub_co_u32_e32 v31, vcc, v31, v4
	v_subb_co_u32_e32 v32, vcc, v32, v5, vcc
	v_lshlrev_b64 v[31:32], 5, v[31:32]
	v_add_co_u32_e32 v31, vcc, s8, v31
	v_addc_co_u32_e32 v32, vcc, v30, v32, vcc
	global_load_dwordx4 v[51:54], v[31:32], off offset:16
	global_load_dwordx4 v[55:58], v[31:32], off
	s_waitcnt vmcnt(0)
	v_fma_f64 v[22:23], v[47:48], v[55:56], v[22:23]
	v_fma_f64 v[22:23], v[49:50], v[57:58], v[22:23]
	;; [unrolled: 1-line block ×8, first 2 shown]
	global_load_dwordx4 v[35:38], v[16:17], off offset:112
	global_load_dwordx4 v[39:42], v[16:17], off offset:96
	;; [unrolled: 1-line block ×4, first 2 shown]
	s_waitcnt vmcnt(2)
	v_fma_f64 v[20:21], v[39:40], v[55:56], v[20:21]
	s_waitcnt vmcnt(0)
	v_fma_f64 v[22:23], v[47:48], v[55:56], v[24:25]
	v_fma_f64 v[20:21], v[41:42], v[57:58], v[20:21]
	;; [unrolled: 1-line block ×6, first 2 shown]
	global_load_dwordx2 v[20:21], v[28:29], off offset:-128
	v_fma_f64 v[61:62], v[45:46], v[53:54], v[22:23]
	s_waitcnt vmcnt(0)
	v_sub_co_u32_e32 v43, vcc, v20, v4
	v_subb_co_u32_e32 v44, vcc, v21, v5, vcc
	v_lshlrev_b64 v[43:44], 5, v[43:44]
	global_load_dwordx4 v[20:23], v[16:17], off offset:2096
	global_load_dwordx4 v[24:27], v[16:17], off offset:2080
	;; [unrolled: 1-line block ×4, first 2 shown]
	v_add_co_u32_e32 v53, vcc, s8, v43
	v_addc_co_u32_e32 v54, vcc, v30, v44, vcc
	global_load_dwordx4 v[43:46], v[53:54], off offset:16
	global_load_dwordx4 v[47:50], v[53:54], off
	s_waitcnt vmcnt(0)
	v_fma_f64 v[31:32], v[39:40], v[47:48], v[31:32]
	v_fma_f64 v[24:25], v[24:25], v[47:48], v[59:60]
	;; [unrolled: 1-line block ×8, first 2 shown]
	global_load_dwordx4 v[20:23], v[16:17], off offset:2160
	global_load_dwordx4 v[24:27], v[16:17], off offset:2144
	;; [unrolled: 1-line block ×4, first 2 shown]
	s_waitcnt vmcnt(2)
	v_fma_f64 v[24:25], v[24:25], v[47:48], v[51:52]
	s_waitcnt vmcnt(0)
	v_fma_f64 v[39:40], v[39:40], v[47:48], v[61:62]
	v_fma_f64 v[24:25], v[26:27], v[49:50], v[24:25]
	;; [unrolled: 1-line block ×6, first 2 shown]
	global_load_dwordx2 v[22:23], v[28:29], off
	v_add_co_u32_e32 v20, vcc, s16, v16
	v_addc_co_u32_e32 v21, vcc, 0, v17, vcc
	v_fma_f64 v[57:58], v[37:38], v[45:46], v[35:36]
	s_waitcnt vmcnt(0)
	v_sub_co_u32_e32 v47, vcc, v22, v4
	v_subb_co_u32_e32 v48, vcc, v23, v5, vcc
	v_lshlrev_b64 v[47:48], 5, v[47:48]
	global_load_dwordx4 v[22:25], v[20:21], off
	global_load_dwordx4 v[35:38], v[20:21], off offset:48
	global_load_dwordx4 v[39:42], v[20:21], off offset:32
	;; [unrolled: 1-line block ×3, first 2 shown]
	v_add_co_u32_e32 v59, vcc, s8, v47
	v_addc_co_u32_e32 v60, vcc, v30, v48, vcc
	global_load_dwordx4 v[47:50], v[59:60], off offset:16
	global_load_dwordx4 v[51:54], v[59:60], off
	s_waitcnt vmcnt(0)
	v_fma_f64 v[22:23], v[22:23], v[51:52], v[31:32]
	v_fma_f64 v[22:23], v[24:25], v[53:54], v[22:23]
	;; [unrolled: 1-line block ×8, first 2 shown]
	global_load_dwordx4 v[22:25], v[20:21], off offset:112
	global_load_dwordx4 v[35:38], v[20:21], off offset:96
	;; [unrolled: 1-line block ×4, first 2 shown]
	s_waitcnt vmcnt(2)
	v_fma_f64 v[26:27], v[35:36], v[51:52], v[26:27]
	s_waitcnt vmcnt(0)
	v_fma_f64 v[43:44], v[43:44], v[51:52], v[57:58]
	v_fma_f64 v[26:27], v[37:38], v[53:54], v[26:27]
	v_fma_f64 v[43:44], v[45:46], v[53:54], v[43:44]
	v_fma_f64 v[22:23], v[22:23], v[47:48], v[26:27]
	v_fma_f64 v[39:40], v[39:40], v[47:48], v[43:44]
	v_fma_f64 v[61:62], v[24:25], v[49:50], v[22:23]
	global_load_dwordx2 v[22:23], v[28:29], off offset:128
	v_fma_f64 v[59:60], v[41:42], v[49:50], v[39:40]
	global_load_dwordx4 v[24:27], v[20:21], off offset:2096
	global_load_dwordx4 v[35:38], v[20:21], off offset:2080
	;; [unrolled: 1-line block ×4, first 2 shown]
	s_waitcnt vmcnt(4)
	v_sub_co_u32_e32 v22, vcc, v22, v4
	v_subb_co_u32_e32 v23, vcc, v23, v5, vcc
	v_lshlrev_b64 v[22:23], 5, v[22:23]
	v_add_co_u32_e32 v22, vcc, s8, v22
	v_addc_co_u32_e32 v23, vcc, v30, v23, vcc
	global_load_dwordx4 v[47:50], v[22:23], off offset:16
	global_load_dwordx4 v[51:54], v[22:23], off
	v_add_co_u32_e32 v18, vcc, 64, v18
	v_addc_co_u32_e32 v19, vcc, 0, v19, vcc
	v_add_co_u32_e32 v28, vcc, 0x200, v28
	v_addc_co_u32_e32 v29, vcc, 0, v29, vcc
	v_cmp_ge_i64_e64 s[2:3], v[18:19], v[6:7]
	v_add_co_u32_e32 v16, vcc, 0x2000, v16
	v_addc_co_u32_e32 v17, vcc, 0, v17, vcc
	s_or_b64 s[14:15], s[2:3], s[14:15]
	s_waitcnt vmcnt(0)
	v_fma_f64 v[22:23], v[43:44], v[51:52], v[31:32]
	v_fma_f64 v[31:32], v[35:36], v[51:52], v[55:56]
	;; [unrolled: 1-line block ×7, first 2 shown]
	global_load_dwordx4 v[35:38], v[20:21], off offset:2160
	global_load_dwordx4 v[39:42], v[20:21], off offset:2144
	;; [unrolled: 1-line block ×4, first 2 shown]
	v_fma_f64 v[26:27], v[26:27], v[49:50], v[24:25]
	s_waitcnt vmcnt(0)
	v_fma_f64 v[20:21], v[55:56], v[51:52], v[59:60]
	v_fma_f64 v[20:21], v[57:58], v[53:54], v[20:21]
	;; [unrolled: 1-line block ×8, first 2 shown]
	s_andn2_b64 exec, exec, s[14:15]
	s_cbranch_execnz .LBB47_23
; %bb.24:
	s_or_b64 exec, exec, s[14:15]
.LBB47_25:
	s_or_b64 exec, exec, s[6:7]
.LBB47_26:
	s_or_b64 exec, exec, s[10:11]
	s_cbranch_execz .LBB47_28
	s_branch .LBB47_39
.LBB47_27:
                                        ; implicit-def: $vgpr20_vgpr21
                                        ; implicit-def: $vgpr24_vgpr25
                                        ; implicit-def: $vgpr26_vgpr27
                                        ; implicit-def: $vgpr22_vgpr23
.LBB47_28:
	v_mov_b32_e32 v20, 0
	v_mov_b32_e32 v24, 0
	;; [unrolled: 1-line block ×8, first 2 shown]
	s_and_saveexec_b64 s[2:3], s[0:1]
	s_cbranch_execz .LBB47_38
; %bb.29:
	v_or_b32_e32 v16, 16, v34
	v_sub_co_u32_e32 v16, vcc, v16, v4
	v_subb_co_u32_e32 v17, vcc, 0, v5, vcc
	v_add_co_u32_e32 v16, vcc, v16, v14
	v_addc_co_u32_e32 v17, vcc, v17, v15, vcc
	v_cmp_gt_i64_e32 vcc, v[16:17], v[6:7]
	v_not_b32_e32 v14, v14
	v_cndmask_b32_e32 v17, v7, v17, vcc
	v_cndmask_b32_e32 v16, v6, v16, vcc
	v_sub_co_u32_e32 v18, vcc, v4, v34
	v_subbrev_co_u32_e32 v19, vcc, 0, v5, vcc
	v_not_b32_e32 v15, v15
	v_add_co_u32_e32 v14, vcc, v18, v14
	v_addc_co_u32_e32 v15, vcc, v19, v15, vcc
	v_add_co_u32_e32 v14, vcc, v14, v16
	v_addc_co_u32_e32 v15, vcc, v15, v17, vcc
	v_and_b32_e32 v16, 48, v14
	v_mov_b32_e32 v17, 0
	v_cmp_ne_u64_e32 vcc, 48, v[16:17]
	v_mov_b32_e32 v22, 0
	v_mov_b32_e32 v26, 0
	;; [unrolled: 1-line block ×8, first 2 shown]
	s_and_saveexec_b64 s[0:1], vcc
	s_cbranch_execz .LBB47_33
; %bb.30:
	v_lshrrev_b32_e32 v16, 4, v14
	v_add_u32_e32 v16, 1, v16
	v_and_b32_e32 v18, 3, v16
	v_lshlrev_b64 v[16:17], 3, v[0:1]
	v_mov_b32_e32 v19, s13
	v_add_co_u32_e32 v16, vcc, s12, v16
	v_addc_co_u32_e32 v17, vcc, v19, v17, vcc
	v_sub_co_u32_e32 v18, vcc, 0, v18
	v_subb_co_u32_e64 v19, s[10:11], 0, 0, vcc
	v_mov_b32_e32 v20, 0
	v_mov_b32_e32 v24, 0
	v_mov_b32_e32 v26, 0
	v_mov_b32_e32 v22, 0
	s_mov_b64 s[6:7], 0
	v_mov_b32_e32 v21, 0
	v_mov_b32_e32 v25, 0
	;; [unrolled: 1-line block ×4, first 2 shown]
	s_movk_i32 s10, 0x800
.LBB47_31:                              ; =>This Inner Loop Header: Depth=1
	global_load_dwordx2 v[28:29], v[16:17], off
	v_mov_b32_e32 v47, s9
	s_waitcnt vmcnt(0)
	v_sub_co_u32_e32 v32, vcc, v28, v4
	v_subb_co_u32_e32 v33, vcc, v29, v5, vcc
	v_lshlrev_b64 v[32:33], 5, v[32:33]
	global_load_dwordx4 v[28:31], v[12:13], off offset:48
	global_load_dwordx4 v[35:38], v[12:13], off offset:32
	;; [unrolled: 1-line block ×3, first 2 shown]
	global_load_dwordx4 v[43:46], v[12:13], off
	v_add_co_u32_e32 v32, vcc, s8, v32
	v_addc_co_u32_e32 v33, vcc, v47, v33, vcc
	global_load_dwordx4 v[47:50], v[32:33], off offset:16
	global_load_dwordx4 v[51:54], v[32:33], off
	s_waitcnt vmcnt(0)
	v_fma_f64 v[22:23], v[43:44], v[51:52], v[22:23]
	v_fma_f64 v[26:27], v[45:46], v[51:52], v[26:27]
	;; [unrolled: 1-line block ×8, first 2 shown]
	global_load_dwordx4 v[28:31], v[12:13], off offset:112
	global_load_dwordx4 v[22:25], v[12:13], off offset:96
	;; [unrolled: 1-line block ×4, first 2 shown]
	v_add_co_u32_e32 v12, vcc, s10, v12
	v_addc_co_u32_e32 v13, vcc, 0, v13, vcc
	v_add_co_u32_e32 v0, vcc, 16, v0
	v_addc_co_u32_e32 v1, vcc, 0, v1, vcc
	;; [unrolled: 2-line block ×4, first 2 shown]
	v_cmp_eq_u64_e32 vcc, 0, v[18:19]
	s_or_b64 s[6:7], vcc, s[6:7]
	s_waitcnt vmcnt(1)
	v_fma_f64 v[35:36], v[35:36], v[47:48], v[43:44]
	s_waitcnt vmcnt(0)
	v_fma_f64 v[32:33], v[39:40], v[47:48], v[32:33]
	v_fma_f64 v[26:27], v[41:42], v[47:48], v[26:27]
	;; [unrolled: 1-line block ×7, first 2 shown]
	s_andn2_b64 exec, exec, s[6:7]
	s_cbranch_execnz .LBB47_31
; %bb.32:
	s_or_b64 exec, exec, s[6:7]
.LBB47_33:
	s_or_b64 exec, exec, s[0:1]
	v_cmp_lt_u64_e32 vcc, 47, v[14:15]
	s_and_saveexec_b64 s[6:7], vcc
	s_cbranch_execz .LBB47_37
; %bb.34:
	v_lshlrev_b64 v[14:15], 3, v[0:1]
	v_mov_b32_e32 v16, s13
	v_add_co_u32_e32 v14, vcc, s12, v14
	v_addc_co_u32_e32 v15, vcc, v16, v15, vcc
	v_add_co_u32_e32 v14, vcc, 0x100, v14
	v_addc_co_u32_e32 v15, vcc, 0, v15, vcc
	s_mov_b64 s[10:11], 0
	v_mov_b32_e32 v18, s9
	s_movk_i32 s9, 0x1000
.LBB47_35:                              ; =>This Inner Loop Header: Depth=1
	global_load_dwordx2 v[16:17], v[14:15], off offset:-256
	global_load_dwordx4 v[28:31], v[12:13], off offset:48
	global_load_dwordx4 v[35:38], v[12:13], off offset:32
	;; [unrolled: 1-line block ×3, first 2 shown]
	global_load_dwordx4 v[43:46], v[12:13], off
	s_waitcnt vmcnt(4)
	v_sub_co_u32_e32 v16, vcc, v16, v4
	v_subb_co_u32_e32 v17, vcc, v17, v5, vcc
	v_lshlrev_b64 v[16:17], 5, v[16:17]
	v_add_co_u32_e32 v16, vcc, s8, v16
	v_addc_co_u32_e32 v17, vcc, v18, v17, vcc
	global_load_dwordx4 v[47:50], v[16:17], off offset:16
	global_load_dwordx4 v[51:54], v[16:17], off
	s_waitcnt vmcnt(0)
	v_fma_f64 v[16:17], v[43:44], v[51:52], v[22:23]
	v_fma_f64 v[22:23], v[45:46], v[51:52], v[26:27]
	v_fma_f64 v[24:25], v[39:40], v[51:52], v[24:25]
	v_fma_f64 v[19:20], v[41:42], v[51:52], v[20:21]
	v_fma_f64 v[16:17], v[35:36], v[53:54], v[16:17]
	v_fma_f64 v[32:33], v[37:38], v[53:54], v[22:23]
	v_fma_f64 v[39:40], v[28:29], v[53:54], v[24:25]
	v_fma_f64 v[41:42], v[30:31], v[53:54], v[19:20]
	global_load_dwordx4 v[19:22], v[12:13], off offset:112
	global_load_dwordx4 v[23:26], v[12:13], off offset:96
	;; [unrolled: 1-line block ×4, first 2 shown]
	s_waitcnt vmcnt(1)
	v_fma_f64 v[27:28], v[27:28], v[47:48], v[39:40]
	s_waitcnt vmcnt(0)
	v_fma_f64 v[16:17], v[35:36], v[47:48], v[16:17]
	v_fma_f64 v[31:32], v[37:38], v[47:48], v[32:33]
	;; [unrolled: 1-line block ×4, first 2 shown]
	global_load_dwordx2 v[19:20], v[14:15], off offset:-128
	v_fma_f64 v[16:17], v[23:24], v[49:50], v[16:17]
	v_fma_f64 v[31:32], v[25:26], v[49:50], v[31:32]
	;; [unrolled: 1-line block ×3, first 2 shown]
	s_waitcnt vmcnt(0)
	v_sub_co_u32_e32 v39, vcc, v19, v4
	v_subb_co_u32_e32 v40, vcc, v20, v5, vcc
	v_lshlrev_b64 v[39:40], 5, v[39:40]
	global_load_dwordx4 v[19:22], v[12:13], off offset:2096
	global_load_dwordx4 v[23:26], v[12:13], off offset:2080
	;; [unrolled: 1-line block ×4, first 2 shown]
	v_add_co_u32_e32 v51, vcc, s8, v39
	v_addc_co_u32_e32 v52, vcc, v18, v40, vcc
	global_load_dwordx4 v[39:42], v[51:52], off offset:16
	global_load_dwordx4 v[43:46], v[51:52], off
	s_waitcnt vmcnt(0)
	v_fma_f64 v[16:17], v[35:36], v[43:44], v[16:17]
	v_fma_f64 v[31:32], v[37:38], v[43:44], v[31:32]
	;; [unrolled: 1-line block ×8, first 2 shown]
	global_load_dwordx4 v[19:22], v[12:13], off offset:2160
	global_load_dwordx4 v[23:26], v[12:13], off offset:2144
	;; [unrolled: 1-line block ×4, first 2 shown]
	s_waitcnt vmcnt(1)
	v_fma_f64 v[27:28], v[27:28], v[39:40], v[43:44]
	s_waitcnt vmcnt(0)
	v_fma_f64 v[16:17], v[35:36], v[39:40], v[16:17]
	v_fma_f64 v[31:32], v[37:38], v[39:40], v[31:32]
	;; [unrolled: 1-line block ×4, first 2 shown]
	global_load_dwordx2 v[19:20], v[14:15], off
	v_fma_f64 v[47:48], v[23:24], v[41:42], v[16:17]
	v_add_co_u32_e32 v16, vcc, s9, v12
	v_addc_co_u32_e32 v17, vcc, 0, v13, vcc
	v_fma_f64 v[31:32], v[25:26], v[41:42], v[31:32]
	v_fma_f64 v[51:52], v[21:22], v[41:42], v[29:30]
	s_waitcnt vmcnt(0)
	v_sub_co_u32_e32 v39, vcc, v19, v4
	v_subb_co_u32_e32 v40, vcc, v20, v5, vcc
	v_lshlrev_b64 v[39:40], 5, v[39:40]
	global_load_dwordx4 v[19:22], v[16:17], off
	global_load_dwordx4 v[23:26], v[16:17], off offset:48
	global_load_dwordx4 v[27:30], v[16:17], off offset:32
	;; [unrolled: 1-line block ×3, first 2 shown]
	v_add_co_u32_e32 v53, vcc, s8, v39
	v_addc_co_u32_e32 v54, vcc, v18, v40, vcc
	global_load_dwordx4 v[39:42], v[53:54], off offset:16
	global_load_dwordx4 v[43:46], v[53:54], off
	s_waitcnt vmcnt(0)
	v_fma_f64 v[19:20], v[19:20], v[43:44], v[47:48]
	v_fma_f64 v[21:22], v[21:22], v[43:44], v[31:32]
	;; [unrolled: 1-line block ×8, first 2 shown]
	global_load_dwordx4 v[19:22], v[16:17], off offset:112
	global_load_dwordx4 v[23:26], v[16:17], off offset:96
	;; [unrolled: 1-line block ×4, first 2 shown]
	s_waitcnt vmcnt(1)
	v_fma_f64 v[27:28], v[27:28], v[39:40], v[31:32]
	s_waitcnt vmcnt(0)
	v_fma_f64 v[35:36], v[35:36], v[39:40], v[43:44]
	v_fma_f64 v[37:38], v[37:38], v[39:40], v[47:48]
	;; [unrolled: 1-line block ×4, first 2 shown]
	global_load_dwordx2 v[19:20], v[14:15], off offset:128
	v_fma_f64 v[31:32], v[23:24], v[41:42], v[35:36]
	v_fma_f64 v[47:48], v[25:26], v[41:42], v[37:38]
	;; [unrolled: 1-line block ×3, first 2 shown]
	s_waitcnt vmcnt(0)
	v_sub_co_u32_e32 v39, vcc, v19, v4
	v_subb_co_u32_e32 v40, vcc, v20, v5, vcc
	v_lshlrev_b64 v[39:40], 5, v[39:40]
	global_load_dwordx4 v[19:22], v[16:17], off offset:2096
	global_load_dwordx4 v[23:26], v[16:17], off offset:2080
	;; [unrolled: 1-line block ×4, first 2 shown]
	v_add_co_u32_e32 v53, vcc, s8, v39
	v_addc_co_u32_e32 v54, vcc, v18, v40, vcc
	global_load_dwordx4 v[39:42], v[53:54], off offset:16
	global_load_dwordx4 v[43:46], v[53:54], off
	v_add_co_u32_e32 v0, vcc, 64, v0
	v_addc_co_u32_e32 v1, vcc, 0, v1, vcc
	v_add_co_u32_e32 v14, vcc, 0x200, v14
	v_addc_co_u32_e32 v15, vcc, 0, v15, vcc
	v_cmp_ge_i64_e64 s[0:1], v[0:1], v[6:7]
	v_add_co_u32_e32 v12, vcc, 0x2000, v12
	v_addc_co_u32_e32 v13, vcc, 0, v13, vcc
	s_or_b64 s[10:11], s[0:1], s[10:11]
	s_waitcnt vmcnt(0)
	v_fma_f64 v[31:32], v[35:36], v[43:44], v[31:32]
	v_fma_f64 v[35:36], v[37:38], v[43:44], v[47:48]
	;; [unrolled: 1-line block ×8, first 2 shown]
	global_load_dwordx4 v[28:31], v[16:17], off offset:2160
	global_load_dwordx4 v[22:25], v[16:17], off offset:2144
	global_load_dwordx4 v[35:38], v[16:17], off offset:2128
	global_load_dwordx4 v[43:46], v[16:17], off offset:2112
	s_waitcnt vmcnt(1)
	v_fma_f64 v[19:20], v[35:36], v[39:40], v[19:20]
	s_waitcnt vmcnt(0)
	v_fma_f64 v[16:17], v[43:44], v[39:40], v[32:33]
	v_fma_f64 v[32:33], v[45:46], v[39:40], v[47:48]
	;; [unrolled: 1-line block ×7, first 2 shown]
	s_andn2_b64 exec, exec, s[10:11]
	s_cbranch_execnz .LBB47_35
; %bb.36:
	s_or_b64 exec, exec, s[10:11]
.LBB47_37:
	s_or_b64 exec, exec, s[6:7]
.LBB47_38:
	s_or_b64 exec, exec, s[2:3]
.LBB47_39:
	v_mov_b32_dpp v0, v22 row_shr:1 row_mask:0xf bank_mask:0xf
	v_mov_b32_dpp v1, v23 row_shr:1 row_mask:0xf bank_mask:0xf
	v_add_f64 v[0:1], v[22:23], v[0:1]
	v_mov_b32_dpp v4, v26 row_shr:1 row_mask:0xf bank_mask:0xf
	v_mov_b32_dpp v5, v27 row_shr:1 row_mask:0xf bank_mask:0xf
	;; [unrolled: 1-line block ×3, first 2 shown]
	v_add_f64 v[4:5], v[26:27], v[4:5]
	v_mov_b32_dpp v7, v25 row_shr:1 row_mask:0xf bank_mask:0xf
	v_add_f64 v[6:7], v[24:25], v[6:7]
	v_cmp_eq_u32_e32 vcc, 15, v34
	v_mov_b32_dpp v12, v0 row_shr:2 row_mask:0xf bank_mask:0xf
	v_mov_b32_dpp v13, v1 row_shr:2 row_mask:0xf bank_mask:0xf
	v_add_f64 v[0:1], v[0:1], v[12:13]
	v_mov_b32_dpp v12, v20 row_shr:1 row_mask:0xf bank_mask:0xf
	v_mov_b32_dpp v13, v21 row_shr:1 row_mask:0xf bank_mask:0xf
	v_add_f64 v[12:13], v[20:21], v[12:13]
	;; [unrolled: 3-line block ×4, first 2 shown]
	v_mov_b32_dpp v16, v0 row_shr:4 row_mask:0xf bank_mask:0xe
	v_mov_b32_dpp v14, v12 row_shr:2 row_mask:0xf bank_mask:0xf
	;; [unrolled: 1-line block ×3, first 2 shown]
	v_add_f64 v[12:13], v[12:13], v[14:15]
	v_mov_b32_dpp v14, v4 row_shr:4 row_mask:0xf bank_mask:0xe
	v_mov_b32_dpp v15, v5 row_shr:4 row_mask:0xf bank_mask:0xe
	v_add_f64 v[4:5], v[4:5], v[14:15]
	v_mov_b32_dpp v14, v6 row_shr:4 row_mask:0xf bank_mask:0xe
	v_mov_b32_dpp v15, v7 row_shr:4 row_mask:0xf bank_mask:0xe
	;; [unrolled: 1-line block ×3, first 2 shown]
	v_add_f64 v[6:7], v[6:7], v[14:15]
	v_mov_b32_dpp v14, v12 row_shr:4 row_mask:0xf bank_mask:0xe
	v_mov_b32_dpp v15, v13 row_shr:4 row_mask:0xf bank_mask:0xe
	v_add_f64 v[0:1], v[0:1], v[16:17]
	v_add_f64 v[12:13], v[12:13], v[14:15]
	v_mov_b32_dpp v18, v4 row_shr:8 row_mask:0xf bank_mask:0xc
	v_mov_b32_dpp v19, v5 row_shr:8 row_mask:0xf bank_mask:0xc
	;; [unrolled: 1-line block ×8, first 2 shown]
	s_and_b64 exec, exec, vcc
	s_cbranch_execz .LBB47_10
; %bb.40:
	v_add_f64 v[0:1], v[0:1], v[20:21]
	v_add_f64 v[18:19], v[4:5], v[18:19]
	v_add_f64 v[16:17], v[6:7], v[16:17]
	v_add_f64 v[12:13], v[12:13], v[14:15]
	v_cmp_eq_f64_e32 vcc, 0, v[8:9]
	s_load_dwordx2 s[0:1], s[4:5], 0x58
	v_lshlrev_b64 v[10:11], 5, v[10:11]
	v_mul_f64 v[4:5], v[2:3], v[0:1]
	v_mul_f64 v[6:7], v[2:3], v[18:19]
	;; [unrolled: 1-line block ×4, first 2 shown]
	s_and_saveexec_b64 s[2:3], vcc
	s_xor_b64 s[2:3], exec, s[2:3]
	s_cbranch_execz .LBB47_42
; %bb.41:
	s_waitcnt lgkmcnt(0)
	v_mov_b32_e32 v9, s1
	v_add_co_u32_e32 v8, vcc, s0, v10
	v_addc_co_u32_e32 v9, vcc, v9, v11, vcc
	global_store_dwordx4 v[8:9], v[4:7], off
	global_store_dwordx4 v[8:9], v[0:3], off offset:16
                                        ; implicit-def: $vgpr10_vgpr11
                                        ; implicit-def: $vgpr8_vgpr9
                                        ; implicit-def: $vgpr4_vgpr5
                                        ; implicit-def: $vgpr0_vgpr1
.LBB47_42:
	s_andn2_saveexec_b64 s[2:3], s[2:3]
	s_cbranch_execz .LBB47_10
; %bb.43:
	s_waitcnt lgkmcnt(0)
	v_mov_b32_e32 v12, s1
	v_add_co_u32_e32 v18, vcc, s0, v10
	v_addc_co_u32_e32 v19, vcc, v12, v11, vcc
	global_load_dwordx4 v[10:13], v[18:19], off
	global_load_dwordx4 v[14:17], v[18:19], off offset:16
	s_waitcnt vmcnt(1)
	v_fma_f64 v[4:5], v[8:9], v[10:11], v[4:5]
	v_fma_f64 v[6:7], v[8:9], v[12:13], v[6:7]
	s_waitcnt vmcnt(0)
	v_fma_f64 v[0:1], v[8:9], v[14:15], v[0:1]
	v_fma_f64 v[2:3], v[8:9], v[16:17], v[2:3]
	global_store_dwordx4 v[18:19], v[4:7], off
	global_store_dwordx4 v[18:19], v[0:3], off offset:16
	s_endpgm
	.section	.rodata,"a",@progbits
	.p2align	6, 0x0
	.amdhsa_kernel _ZN9rocsparseL18bsrxmvn_4x4_kernelILj128ELj16EdlldddEEvT3_20rocsparse_direction_NS_24const_host_device_scalarIT1_EES1_PKS1_PKT2_SA_S7_PKT4_PKT5_S5_PT6_21rocsparse_index_base_b
		.amdhsa_group_segment_fixed_size 0
		.amdhsa_private_segment_fixed_size 0
		.amdhsa_kernarg_size 104
		.amdhsa_user_sgpr_count 6
		.amdhsa_user_sgpr_private_segment_buffer 1
		.amdhsa_user_sgpr_dispatch_ptr 0
		.amdhsa_user_sgpr_queue_ptr 0
		.amdhsa_user_sgpr_kernarg_segment_ptr 1
		.amdhsa_user_sgpr_dispatch_id 0
		.amdhsa_user_sgpr_flat_scratch_init 0
		.amdhsa_user_sgpr_private_segment_size 0
		.amdhsa_uses_dynamic_stack 0
		.amdhsa_system_sgpr_private_segment_wavefront_offset 0
		.amdhsa_system_sgpr_workgroup_id_x 1
		.amdhsa_system_sgpr_workgroup_id_y 0
		.amdhsa_system_sgpr_workgroup_id_z 0
		.amdhsa_system_sgpr_workgroup_info 0
		.amdhsa_system_vgpr_workitem_id 0
		.amdhsa_next_free_vgpr 63
		.amdhsa_next_free_sgpr 19
		.amdhsa_reserve_vcc 1
		.amdhsa_reserve_flat_scratch 0
		.amdhsa_float_round_mode_32 0
		.amdhsa_float_round_mode_16_64 0
		.amdhsa_float_denorm_mode_32 3
		.amdhsa_float_denorm_mode_16_64 3
		.amdhsa_dx10_clamp 1
		.amdhsa_ieee_mode 1
		.amdhsa_fp16_overflow 0
		.amdhsa_exception_fp_ieee_invalid_op 0
		.amdhsa_exception_fp_denorm_src 0
		.amdhsa_exception_fp_ieee_div_zero 0
		.amdhsa_exception_fp_ieee_overflow 0
		.amdhsa_exception_fp_ieee_underflow 0
		.amdhsa_exception_fp_ieee_inexact 0
		.amdhsa_exception_int_div_zero 0
	.end_amdhsa_kernel
	.section	.text._ZN9rocsparseL18bsrxmvn_4x4_kernelILj128ELj16EdlldddEEvT3_20rocsparse_direction_NS_24const_host_device_scalarIT1_EES1_PKS1_PKT2_SA_S7_PKT4_PKT5_S5_PT6_21rocsparse_index_base_b,"axG",@progbits,_ZN9rocsparseL18bsrxmvn_4x4_kernelILj128ELj16EdlldddEEvT3_20rocsparse_direction_NS_24const_host_device_scalarIT1_EES1_PKS1_PKT2_SA_S7_PKT4_PKT5_S5_PT6_21rocsparse_index_base_b,comdat
.Lfunc_end47:
	.size	_ZN9rocsparseL18bsrxmvn_4x4_kernelILj128ELj16EdlldddEEvT3_20rocsparse_direction_NS_24const_host_device_scalarIT1_EES1_PKS1_PKT2_SA_S7_PKT4_PKT5_S5_PT6_21rocsparse_index_base_b, .Lfunc_end47-_ZN9rocsparseL18bsrxmvn_4x4_kernelILj128ELj16EdlldddEEvT3_20rocsparse_direction_NS_24const_host_device_scalarIT1_EES1_PKS1_PKT2_SA_S7_PKT4_PKT5_S5_PT6_21rocsparse_index_base_b
                                        ; -- End function
	.set _ZN9rocsparseL18bsrxmvn_4x4_kernelILj128ELj16EdlldddEEvT3_20rocsparse_direction_NS_24const_host_device_scalarIT1_EES1_PKS1_PKT2_SA_S7_PKT4_PKT5_S5_PT6_21rocsparse_index_base_b.num_vgpr, 63
	.set _ZN9rocsparseL18bsrxmvn_4x4_kernelILj128ELj16EdlldddEEvT3_20rocsparse_direction_NS_24const_host_device_scalarIT1_EES1_PKS1_PKT2_SA_S7_PKT4_PKT5_S5_PT6_21rocsparse_index_base_b.num_agpr, 0
	.set _ZN9rocsparseL18bsrxmvn_4x4_kernelILj128ELj16EdlldddEEvT3_20rocsparse_direction_NS_24const_host_device_scalarIT1_EES1_PKS1_PKT2_SA_S7_PKT4_PKT5_S5_PT6_21rocsparse_index_base_b.numbered_sgpr, 19
	.set _ZN9rocsparseL18bsrxmvn_4x4_kernelILj128ELj16EdlldddEEvT3_20rocsparse_direction_NS_24const_host_device_scalarIT1_EES1_PKS1_PKT2_SA_S7_PKT4_PKT5_S5_PT6_21rocsparse_index_base_b.num_named_barrier, 0
	.set _ZN9rocsparseL18bsrxmvn_4x4_kernelILj128ELj16EdlldddEEvT3_20rocsparse_direction_NS_24const_host_device_scalarIT1_EES1_PKS1_PKT2_SA_S7_PKT4_PKT5_S5_PT6_21rocsparse_index_base_b.private_seg_size, 0
	.set _ZN9rocsparseL18bsrxmvn_4x4_kernelILj128ELj16EdlldddEEvT3_20rocsparse_direction_NS_24const_host_device_scalarIT1_EES1_PKS1_PKT2_SA_S7_PKT4_PKT5_S5_PT6_21rocsparse_index_base_b.uses_vcc, 1
	.set _ZN9rocsparseL18bsrxmvn_4x4_kernelILj128ELj16EdlldddEEvT3_20rocsparse_direction_NS_24const_host_device_scalarIT1_EES1_PKS1_PKT2_SA_S7_PKT4_PKT5_S5_PT6_21rocsparse_index_base_b.uses_flat_scratch, 0
	.set _ZN9rocsparseL18bsrxmvn_4x4_kernelILj128ELj16EdlldddEEvT3_20rocsparse_direction_NS_24const_host_device_scalarIT1_EES1_PKS1_PKT2_SA_S7_PKT4_PKT5_S5_PT6_21rocsparse_index_base_b.has_dyn_sized_stack, 0
	.set _ZN9rocsparseL18bsrxmvn_4x4_kernelILj128ELj16EdlldddEEvT3_20rocsparse_direction_NS_24const_host_device_scalarIT1_EES1_PKS1_PKT2_SA_S7_PKT4_PKT5_S5_PT6_21rocsparse_index_base_b.has_recursion, 0
	.set _ZN9rocsparseL18bsrxmvn_4x4_kernelILj128ELj16EdlldddEEvT3_20rocsparse_direction_NS_24const_host_device_scalarIT1_EES1_PKS1_PKT2_SA_S7_PKT4_PKT5_S5_PT6_21rocsparse_index_base_b.has_indirect_call, 0
	.section	.AMDGPU.csdata,"",@progbits
; Kernel info:
; codeLenInByte = 4580
; TotalNumSgprs: 23
; NumVgprs: 63
; ScratchSize: 0
; MemoryBound: 1
; FloatMode: 240
; IeeeMode: 1
; LDSByteSize: 0 bytes/workgroup (compile time only)
; SGPRBlocks: 2
; VGPRBlocks: 15
; NumSGPRsForWavesPerEU: 23
; NumVGPRsForWavesPerEU: 63
; Occupancy: 4
; WaveLimiterHint : 1
; COMPUTE_PGM_RSRC2:SCRATCH_EN: 0
; COMPUTE_PGM_RSRC2:USER_SGPR: 6
; COMPUTE_PGM_RSRC2:TRAP_HANDLER: 0
; COMPUTE_PGM_RSRC2:TGID_X_EN: 1
; COMPUTE_PGM_RSRC2:TGID_Y_EN: 0
; COMPUTE_PGM_RSRC2:TGID_Z_EN: 0
; COMPUTE_PGM_RSRC2:TIDIG_COMP_CNT: 0
	.section	.text._ZN9rocsparseL18bsrxmvn_4x4_kernelILj128ELj32EdlldddEEvT3_20rocsparse_direction_NS_24const_host_device_scalarIT1_EES1_PKS1_PKT2_SA_S7_PKT4_PKT5_S5_PT6_21rocsparse_index_base_b,"axG",@progbits,_ZN9rocsparseL18bsrxmvn_4x4_kernelILj128ELj32EdlldddEEvT3_20rocsparse_direction_NS_24const_host_device_scalarIT1_EES1_PKS1_PKT2_SA_S7_PKT4_PKT5_S5_PT6_21rocsparse_index_base_b,comdat
	.globl	_ZN9rocsparseL18bsrxmvn_4x4_kernelILj128ELj32EdlldddEEvT3_20rocsparse_direction_NS_24const_host_device_scalarIT1_EES1_PKS1_PKT2_SA_S7_PKT4_PKT5_S5_PT6_21rocsparse_index_base_b ; -- Begin function _ZN9rocsparseL18bsrxmvn_4x4_kernelILj128ELj32EdlldddEEvT3_20rocsparse_direction_NS_24const_host_device_scalarIT1_EES1_PKS1_PKT2_SA_S7_PKT4_PKT5_S5_PT6_21rocsparse_index_base_b
	.p2align	8
	.type	_ZN9rocsparseL18bsrxmvn_4x4_kernelILj128ELj32EdlldddEEvT3_20rocsparse_direction_NS_24const_host_device_scalarIT1_EES1_PKS1_PKT2_SA_S7_PKT4_PKT5_S5_PT6_21rocsparse_index_base_b,@function
_ZN9rocsparseL18bsrxmvn_4x4_kernelILj128ELj32EdlldddEEvT3_20rocsparse_direction_NS_24const_host_device_scalarIT1_EES1_PKS1_PKT2_SA_S7_PKT4_PKT5_S5_PT6_21rocsparse_index_base_b: ; @_ZN9rocsparseL18bsrxmvn_4x4_kernelILj128ELj32EdlldddEEvT3_20rocsparse_direction_NS_24const_host_device_scalarIT1_EES1_PKS1_PKT2_SA_S7_PKT4_PKT5_S5_PT6_21rocsparse_index_base_b
; %bb.0:
	s_load_dwordx2 s[8:9], s[4:5], 0x60
	s_load_dwordx4 s[0:3], s[4:5], 0x10
	s_load_dwordx2 s[10:11], s[4:5], 0x50
	s_waitcnt lgkmcnt(0)
	s_bitcmp1_b32 s9, 0
	s_cselect_b64 s[14:15], -1, 0
	v_mov_b32_e32 v3, s1
	s_xor_b64 s[12:13], s[14:15], -1
	s_and_b64 vcc, exec, s[14:15]
	v_mov_b32_e32 v2, s0
	s_cbranch_vccnz .LBB48_2
; %bb.1:
	v_mov_b32_e32 v2, s1
	v_mov_b32_e32 v1, s0
	flat_load_dwordx2 v[2:3], v[1:2]
.LBB48_2:
	v_mov_b32_e32 v8, s10
	s_andn2_b64 vcc, exec, s[12:13]
	v_mov_b32_e32 v9, s11
	s_cbranch_vccnz .LBB48_4
; %bb.3:
	v_mov_b32_e32 v4, s10
	v_mov_b32_e32 v5, s11
	flat_load_dwordx2 v[8:9], v[4:5]
.LBB48_4:
	s_waitcnt vmcnt(0) lgkmcnt(0)
	v_cmp_neq_f64_e32 vcc, 0, v[2:3]
	v_cmp_neq_f64_e64 s[0:1], 1.0, v[8:9]
	s_mov_b64 s[10:11], 0
	s_or_b64 s[0:1], vcc, s[0:1]
	s_and_saveexec_b64 s[12:13], s[0:1]
	s_cbranch_execz .LBB48_10
; %bb.5:
	s_load_dwordx2 s[12:13], s[4:5], 0x20
	v_lshrrev_b32_e32 v1, 5, v0
	v_lshl_or_b32 v6, s6, 2, v1
	v_mov_b32_e32 v7, 0
	s_mov_b64 s[0:1], 0
	s_waitcnt lgkmcnt(0)
	s_cmp_lg_u64 s[12:13], 0
	s_cbranch_scc0 .LBB48_11
; %bb.6:
	v_cmp_gt_i64_e32 vcc, s[2:3], v[6:7]
                                        ; implicit-def: $vgpr10_vgpr11
                                        ; implicit-def: $vgpr4_vgpr5
	s_and_saveexec_b64 s[2:3], vcc
	s_xor_b64 s[2:3], exec, s[2:3]
	s_cbranch_execz .LBB48_8
; %bb.7:
	v_lshlrev_b64 v[4:5], 3, v[6:7]
	v_mov_b32_e32 v1, s13
	v_add_co_u32_e32 v4, vcc, s12, v4
	v_addc_co_u32_e32 v5, vcc, v1, v5, vcc
	global_load_dwordx2 v[4:5], v[4:5], off
	s_mov_b32 s9, 0
	s_mov_b64 s[0:1], exec
	s_waitcnt vmcnt(0)
	v_subrev_co_u32_e32 v10, vcc, s8, v4
	v_subbrev_co_u32_e32 v11, vcc, 0, v5, vcc
	v_mov_b32_e32 v4, s8
	v_mov_b32_e32 v5, s9
.LBB48_8:
	s_or_b64 exec, exec, s[2:3]
	s_mov_b64 s[10:11], s[0:1]
.LBB48_9:
	s_and_b64 exec, exec, s[10:11]
	s_cbranch_execnz .LBB48_15
.LBB48_10:
	s_endpgm
.LBB48_11:
                                        ; implicit-def: $vgpr10_vgpr11
                                        ; implicit-def: $vgpr4_vgpr5
	s_cbranch_execz .LBB48_9
; %bb.12:
	s_load_dwordx2 s[0:1], s[4:5], 0x0
	s_waitcnt lgkmcnt(0)
	v_cmp_gt_i64_e32 vcc, s[0:1], v[6:7]
	s_and_saveexec_b64 s[0:1], vcc
; %bb.13:
	s_mov_b32 s9, 0
	s_or_b64 s[10:11], s[10:11], exec
; %bb.14:
	s_or_b64 exec, exec, s[0:1]
	v_mov_b32_e32 v4, s8
	v_mov_b32_e32 v11, v7
	;; [unrolled: 1-line block ×4, first 2 shown]
	s_and_b64 exec, exec, s[10:11]
	s_cbranch_execz .LBB48_10
.LBB48_15:
	s_load_dwordx8 s[8:15], s[4:5], 0x28
	v_lshlrev_b64 v[6:7], 3, v[10:11]
	v_and_b32_e32 v34, 31, v0
	s_waitcnt lgkmcnt(0)
	v_mov_b32_e32 v1, s9
	v_add_co_u32_e32 v12, vcc, s8, v6
	v_addc_co_u32_e32 v13, vcc, v1, v7, vcc
	v_add_co_u32_e32 v1, vcc, 8, v12
	global_load_dwordx2 v[14:15], v[12:13], off
	v_addc_co_u32_e32 v12, vcc, 0, v13, vcc
	v_mov_b32_e32 v13, s11
	v_add_co_u32_e32 v6, vcc, s10, v6
	s_cmp_eq_u64 s[10:11], 0
	v_addc_co_u32_e32 v7, vcc, v13, v7, vcc
	s_cselect_b64 vcc, -1, 0
	v_cndmask_b32_e32 v7, v7, v12, vcc
	v_cndmask_b32_e32 v6, v6, v1, vcc
	global_load_dwordx2 v[6:7], v[6:7], off
	s_load_dword s0, s[4:5], 0x8
	s_load_dwordx2 s[8:9], s[4:5], 0x48
	v_mov_b32_e32 v16, s15
	s_waitcnt lgkmcnt(0)
	s_cmp_eq_u32 s0, 1
	s_waitcnt vmcnt(1)
	v_sub_co_u32_e32 v0, vcc, v14, v4
	v_subb_co_u32_e32 v1, vcc, v15, v5, vcc
	v_add_co_u32_e32 v0, vcc, v0, v34
	v_addc_co_u32_e32 v1, vcc, 0, v1, vcc
	v_lshlrev_b64 v[12:13], 7, v[0:1]
	s_waitcnt vmcnt(0)
	v_sub_co_u32_e32 v6, vcc, v6, v4
	v_subb_co_u32_e32 v7, vcc, v7, v5, vcc
	v_cmp_lt_i64_e64 s[0:1], v[0:1], v[6:7]
	v_add_co_u32_e32 v12, vcc, s14, v12
	v_addc_co_u32_e32 v13, vcc, v16, v13, vcc
	s_cbranch_scc1 .LBB48_27
; %bb.16:
	v_mov_b32_e32 v20, 0
	v_mov_b32_e32 v22, 0
	;; [unrolled: 1-line block ×8, first 2 shown]
	s_and_saveexec_b64 s[10:11], s[0:1]
	s_cbranch_execz .LBB48_26
; %bb.17:
	v_or_b32_e32 v16, 32, v34
	v_sub_co_u32_e32 v16, vcc, v16, v4
	v_subb_co_u32_e32 v17, vcc, 0, v5, vcc
	v_add_co_u32_e32 v16, vcc, v16, v14
	v_addc_co_u32_e32 v17, vcc, v17, v15, vcc
	v_cmp_gt_i64_e32 vcc, v[16:17], v[6:7]
	v_not_b32_e32 v19, v14
	v_cndmask_b32_e32 v17, v7, v17, vcc
	v_cndmask_b32_e32 v16, v6, v16, vcc
	v_sub_co_u32_e32 v20, vcc, v4, v34
	v_subbrev_co_u32_e32 v21, vcc, 0, v5, vcc
	v_not_b32_e32 v18, v15
	v_add_co_u32_e32 v19, vcc, v20, v19
	v_addc_co_u32_e32 v18, vcc, v21, v18, vcc
	v_add_co_u32_e32 v28, vcc, v19, v16
	v_addc_co_u32_e32 v29, vcc, v18, v17, vcc
	v_and_b32_e32 v16, 0x60, v28
	v_mov_b32_e32 v17, 0
	s_mov_b64 s[2:3], 0x60
	v_cmp_ne_u64_e32 vcc, s[2:3], v[16:17]
	v_mov_b32_e32 v24, 0
	v_mov_b32_e32 v26, 0
	;; [unrolled: 1-line block ×12, first 2 shown]
	s_and_saveexec_b64 s[14:15], vcc
	s_cbranch_execz .LBB48_21
; %bb.18:
	v_lshrrev_b32_e32 v16, 5, v28
	v_add_u32_e32 v16, 1, v16
	v_and_b32_e32 v18, 3, v16
	v_lshlrev_b64 v[16:17], 3, v[0:1]
	v_mov_b32_e32 v19, s13
	v_add_co_u32_e32 v30, vcc, s12, v16
	v_addc_co_u32_e32 v31, vcc, v19, v17, vcc
	v_sub_co_u32_e32 v32, vcc, 0, v18
	v_mov_b32_e32 v20, 0
	v_mov_b32_e32 v17, v13
	;; [unrolled: 1-line block ×6, first 2 shown]
	s_mov_b64 s[16:17], 0
	v_subb_co_u32_e64 v33, s[2:3], 0, 0, vcc
	v_mov_b32_e32 v21, 0
	s_movk_i32 s18, 0x1000
	v_mov_b32_e32 v16, v12
	v_mov_b32_e32 v23, 0
	;; [unrolled: 1-line block ×5, first 2 shown]
.LBB48_19:                              ; =>This Inner Loop Header: Depth=1
	global_load_dwordx2 v[47:48], v[30:31], off
	global_load_dwordx4 v[35:38], v[16:17], off offset:32
	global_load_dwordx4 v[39:42], v[16:17], off
	v_mov_b32_e32 v49, s9
	global_load_dwordx4 v[43:46], v[16:17], off offset:64
	v_add_co_u32_e64 v32, s[6:7], 1, v32
	s_waitcnt vmcnt(3)
	v_sub_co_u32_e32 v47, vcc, v47, v4
	v_subb_co_u32_e32 v48, vcc, v48, v5, vcc
	v_lshlrev_b64 v[47:48], 5, v[47:48]
	v_add_co_u32_e32 v51, vcc, s8, v47
	v_addc_co_u32_e32 v52, vcc, v49, v48, vcc
	global_load_dwordx4 v[47:50], v[51:52], off
	s_waitcnt vmcnt(0)
	v_fma_f64 v[24:25], v[39:40], v[47:48], v[24:25]
	v_fma_f64 v[53:54], v[41:42], v[49:50], v[24:25]
	global_load_dwordx4 v[39:42], v[16:17], off offset:96
	v_fma_f64 v[24:25], v[35:36], v[47:48], v[26:27]
	v_fma_f64 v[22:23], v[43:44], v[47:48], v[22:23]
	;; [unrolled: 1-line block ×3, first 2 shown]
	global_load_dwordx4 v[35:38], v[16:17], off offset:48
	v_fma_f64 v[55:56], v[45:46], v[49:50], v[22:23]
	global_load_dwordx4 v[22:25], v[16:17], off offset:16
	s_waitcnt vmcnt(2)
	v_fma_f64 v[20:21], v[39:40], v[47:48], v[20:21]
	v_fma_f64 v[20:21], v[41:42], v[49:50], v[20:21]
	global_load_dwordx4 v[39:42], v[16:17], off offset:80
	global_load_dwordx4 v[43:46], v[51:52], off offset:16
	;; [unrolled: 1-line block ×3, first 2 shown]
	v_add_co_u32_e32 v16, vcc, s18, v16
	s_mov_b64 s[2:3], vcc
	v_add_co_u32_e32 v18, vcc, 32, v18
	v_addc_co_u32_e32 v19, vcc, 0, v19, vcc
	v_addc_co_u32_e64 v33, vcc, 0, v33, s[6:7]
	v_cmp_eq_u64_e64 s[6:7], 0, v[32:33]
	v_add_co_u32_e32 v30, vcc, 0x100, v30
	v_addc_co_u32_e64 v17, s[2:3], 0, v17, s[2:3]
	s_or_b64 s[16:17], s[6:7], s[16:17]
	v_addc_co_u32_e32 v31, vcc, 0, v31, vcc
	s_waitcnt vmcnt(1)
	v_fma_f64 v[22:23], v[22:23], v[43:44], v[53:54]
	s_waitcnt vmcnt(0)
	v_fma_f64 v[20:21], v[47:48], v[43:44], v[20:21]
	v_fma_f64 v[24:25], v[24:25], v[45:46], v[22:23]
	;; [unrolled: 1-line block ×7, first 2 shown]
	s_andn2_b64 exec, exec, s[16:17]
	s_cbranch_execnz .LBB48_19
; %bb.20:
	s_or_b64 exec, exec, s[16:17]
.LBB48_21:
	s_or_b64 exec, exec, s[14:15]
	s_mov_b64 s[2:3], 0x5f
	v_cmp_lt_u64_e32 vcc, s[2:3], v[28:29]
	s_and_saveexec_b64 s[6:7], vcc
	s_cbranch_execz .LBB48_25
; %bb.22:
	v_lshlrev_b64 v[28:29], 3, v[18:19]
	v_mov_b32_e32 v30, s13
	v_add_co_u32_e32 v28, vcc, s12, v28
	v_addc_co_u32_e32 v29, vcc, v30, v29, vcc
	v_add_co_u32_e32 v28, vcc, 0x200, v28
	v_addc_co_u32_e32 v29, vcc, 0, v29, vcc
	s_mov_b64 s[14:15], 0
	v_mov_b32_e32 v30, s9
	s_movk_i32 s16, 0x1000
	s_movk_i32 s17, 0x2000
	;; [unrolled: 1-line block ×3, first 2 shown]
.LBB48_23:                              ; =>This Inner Loop Header: Depth=1
	global_load_dwordx2 v[31:32], v[28:29], off offset:-512
	global_load_dwordx4 v[35:38], v[16:17], off offset:48
	global_load_dwordx4 v[39:42], v[16:17], off offset:32
	;; [unrolled: 1-line block ×3, first 2 shown]
	global_load_dwordx4 v[47:50], v[16:17], off
	s_waitcnt vmcnt(4)
	v_sub_co_u32_e32 v31, vcc, v31, v4
	v_subb_co_u32_e32 v32, vcc, v32, v5, vcc
	v_lshlrev_b64 v[31:32], 5, v[31:32]
	v_add_co_u32_e32 v31, vcc, s8, v31
	v_addc_co_u32_e32 v32, vcc, v30, v32, vcc
	global_load_dwordx4 v[51:54], v[31:32], off offset:16
	global_load_dwordx4 v[55:58], v[31:32], off
	s_waitcnt vmcnt(0)
	v_fma_f64 v[24:25], v[47:48], v[55:56], v[24:25]
	v_fma_f64 v[24:25], v[49:50], v[57:58], v[24:25]
	;; [unrolled: 1-line block ×8, first 2 shown]
	global_load_dwordx4 v[24:27], v[16:17], off offset:112
	global_load_dwordx4 v[35:38], v[16:17], off offset:96
	global_load_dwordx4 v[39:42], v[16:17], off offset:80
	global_load_dwordx4 v[43:46], v[16:17], off offset:64
	s_waitcnt vmcnt(2)
	v_fma_f64 v[20:21], v[35:36], v[55:56], v[20:21]
	s_waitcnt vmcnt(0)
	v_fma_f64 v[22:23], v[43:44], v[55:56], v[22:23]
	v_fma_f64 v[20:21], v[37:38], v[57:58], v[20:21]
	;; [unrolled: 1-line block ×6, first 2 shown]
	global_load_dwordx2 v[20:21], v[28:29], off offset:-256
	v_fma_f64 v[61:62], v[41:42], v[53:54], v[22:23]
	v_add_co_u32_e32 v53, vcc, s16, v16
	v_addc_co_u32_e32 v54, vcc, 0, v17, vcc
	s_waitcnt vmcnt(0)
	v_sub_co_u32_e32 v43, vcc, v20, v4
	v_subb_co_u32_e32 v44, vcc, v21, v5, vcc
	v_add_co_u32_e32 v55, vcc, s17, v16
	v_lshlrev_b64 v[43:44], 5, v[43:44]
	v_addc_co_u32_e32 v56, vcc, 0, v17, vcc
	v_add_co_u32_e32 v57, vcc, s8, v43
	v_addc_co_u32_e32 v58, vcc, v30, v44, vcc
	global_load_dwordx4 v[20:23], v[55:56], off offset:-4096
	global_load_dwordx4 v[24:27], v[53:54], off offset:48
	global_load_dwordx4 v[35:38], v[53:54], off offset:32
	;; [unrolled: 1-line block ×4, first 2 shown]
	global_load_dwordx4 v[47:50], v[57:58], off
	s_waitcnt vmcnt(0)
	v_fma_f64 v[20:21], v[20:21], v[47:48], v[31:32]
	v_fma_f64 v[20:21], v[22:23], v[49:50], v[20:21]
	;; [unrolled: 1-line block ×8, first 2 shown]
	global_load_dwordx4 v[20:23], v[53:54], off offset:112
	global_load_dwordx4 v[24:27], v[53:54], off offset:96
	;; [unrolled: 1-line block ×4, first 2 shown]
	s_waitcnt vmcnt(2)
	v_fma_f64 v[24:25], v[24:25], v[47:48], v[51:52]
	s_waitcnt vmcnt(0)
	v_fma_f64 v[39:40], v[39:40], v[47:48], v[61:62]
	v_fma_f64 v[24:25], v[26:27], v[49:50], v[24:25]
	v_fma_f64 v[39:40], v[41:42], v[49:50], v[39:40]
	v_fma_f64 v[20:21], v[20:21], v[43:44], v[24:25]
	v_fma_f64 v[35:36], v[35:36], v[43:44], v[39:40]
	v_fma_f64 v[51:52], v[22:23], v[45:46], v[20:21]
	global_load_dwordx2 v[20:21], v[28:29], off
	v_fma_f64 v[53:54], v[37:38], v[45:46], v[35:36]
	s_waitcnt vmcnt(0)
	v_sub_co_u32_e32 v43, vcc, v20, v4
	v_subb_co_u32_e32 v44, vcc, v21, v5, vcc
	v_lshlrev_b64 v[43:44], 5, v[43:44]
	global_load_dwordx4 v[20:23], v[55:56], off
	global_load_dwordx4 v[24:27], v[55:56], off offset:48
	global_load_dwordx4 v[35:38], v[55:56], off offset:32
	global_load_dwordx4 v[39:42], v[55:56], off offset:16
	v_add_co_u32_e32 v59, vcc, s8, v43
	v_addc_co_u32_e32 v60, vcc, v30, v44, vcc
	global_load_dwordx4 v[43:46], v[59:60], off offset:16
	global_load_dwordx4 v[47:50], v[59:60], off
	s_waitcnt vmcnt(0)
	v_fma_f64 v[20:21], v[20:21], v[47:48], v[31:32]
	v_fma_f64 v[20:21], v[22:23], v[49:50], v[20:21]
	;; [unrolled: 1-line block ×8, first 2 shown]
	global_load_dwordx4 v[20:23], v[55:56], off offset:112
	global_load_dwordx4 v[24:27], v[55:56], off offset:96
	;; [unrolled: 1-line block ×4, first 2 shown]
	s_waitcnt vmcnt(2)
	v_fma_f64 v[24:25], v[24:25], v[47:48], v[51:52]
	s_waitcnt vmcnt(0)
	v_fma_f64 v[39:40], v[39:40], v[47:48], v[53:54]
	v_fma_f64 v[24:25], v[26:27], v[49:50], v[24:25]
	;; [unrolled: 1-line block ×6, first 2 shown]
	global_load_dwordx2 v[20:21], v[28:29], off offset:256
	v_fma_f64 v[55:56], v[37:38], v[45:46], v[35:36]
	s_waitcnt vmcnt(0)
	v_sub_co_u32_e32 v43, vcc, v20, v4
	v_subb_co_u32_e32 v44, vcc, v21, v5, vcc
	v_add_co_u32_e32 v61, vcc, s18, v16
	v_lshlrev_b64 v[43:44], 5, v[43:44]
	v_addc_co_u32_e32 v62, vcc, 0, v17, vcc
	v_add_co_u32_e32 v51, vcc, s8, v43
	v_addc_co_u32_e32 v52, vcc, v30, v44, vcc
	global_load_dwordx4 v[20:23], v[61:62], off
	global_load_dwordx4 v[35:38], v[61:62], off offset:48
	global_load_dwordx4 v[39:42], v[61:62], off offset:32
	;; [unrolled: 1-line block ×4, first 2 shown]
	global_load_dwordx4 v[47:50], v[51:52], off
	v_add_co_u32_e32 v18, vcc, 0x80, v18
	v_addc_co_u32_e32 v19, vcc, 0, v19, vcc
	v_add_co_u32_e32 v28, vcc, 0x400, v28
	v_addc_co_u32_e32 v29, vcc, 0, v29, vcc
	v_cmp_ge_i64_e64 s[2:3], v[18:19], v[6:7]
	v_add_co_u32_e32 v16, vcc, 0x4000, v16
	v_addc_co_u32_e32 v17, vcc, 0, v17, vcc
	s_or_b64 s[14:15], s[2:3], s[14:15]
	s_waitcnt vmcnt(0)
	v_fma_f64 v[20:21], v[20:21], v[47:48], v[31:32]
	v_fma_f64 v[20:21], v[22:23], v[49:50], v[20:21]
	;; [unrolled: 1-line block ×8, first 2 shown]
	global_load_dwordx4 v[35:38], v[61:62], off offset:112
	global_load_dwordx4 v[39:42], v[61:62], off offset:96
	;; [unrolled: 1-line block ×4, first 2 shown]
	s_waitcnt vmcnt(0)
	v_fma_f64 v[31:32], v[51:52], v[47:48], v[55:56]
	v_fma_f64 v[31:32], v[53:54], v[49:50], v[31:32]
	;; [unrolled: 1-line block ×8, first 2 shown]
	s_andn2_b64 exec, exec, s[14:15]
	s_cbranch_execnz .LBB48_23
; %bb.24:
	s_or_b64 exec, exec, s[14:15]
.LBB48_25:
	s_or_b64 exec, exec, s[6:7]
.LBB48_26:
	s_or_b64 exec, exec, s[10:11]
	s_cbranch_execz .LBB48_28
	s_branch .LBB48_39
.LBB48_27:
                                        ; implicit-def: $vgpr20_vgpr21
                                        ; implicit-def: $vgpr22_vgpr23
                                        ; implicit-def: $vgpr26_vgpr27
                                        ; implicit-def: $vgpr24_vgpr25
.LBB48_28:
	v_mov_b32_e32 v20, 0
	v_mov_b32_e32 v22, 0
	;; [unrolled: 1-line block ×8, first 2 shown]
	s_and_saveexec_b64 s[2:3], s[0:1]
	s_cbranch_execz .LBB48_38
; %bb.29:
	v_or_b32_e32 v16, 32, v34
	v_sub_co_u32_e32 v16, vcc, v16, v4
	v_subb_co_u32_e32 v17, vcc, 0, v5, vcc
	v_add_co_u32_e32 v16, vcc, v16, v14
	v_addc_co_u32_e32 v17, vcc, v17, v15, vcc
	v_cmp_gt_i64_e32 vcc, v[16:17], v[6:7]
	v_not_b32_e32 v14, v14
	v_cndmask_b32_e32 v17, v7, v17, vcc
	v_cndmask_b32_e32 v16, v6, v16, vcc
	v_sub_co_u32_e32 v18, vcc, v4, v34
	v_subbrev_co_u32_e32 v19, vcc, 0, v5, vcc
	v_not_b32_e32 v15, v15
	v_add_co_u32_e32 v14, vcc, v18, v14
	v_addc_co_u32_e32 v15, vcc, v19, v15, vcc
	v_add_co_u32_e32 v14, vcc, v14, v16
	v_addc_co_u32_e32 v15, vcc, v15, v17, vcc
	v_and_b32_e32 v16, 0x60, v14
	v_mov_b32_e32 v17, 0
	s_mov_b64 s[0:1], 0x60
	v_cmp_ne_u64_e32 vcc, s[0:1], v[16:17]
	v_mov_b32_e32 v24, 0
	v_mov_b32_e32 v26, 0
	;; [unrolled: 1-line block ×8, first 2 shown]
	s_and_saveexec_b64 s[0:1], vcc
	s_cbranch_execz .LBB48_33
; %bb.30:
	v_lshrrev_b32_e32 v16, 5, v14
	v_add_u32_e32 v16, 1, v16
	v_and_b32_e32 v18, 3, v16
	v_lshlrev_b64 v[16:17], 3, v[0:1]
	v_mov_b32_e32 v19, s13
	v_add_co_u32_e32 v16, vcc, s12, v16
	v_addc_co_u32_e32 v17, vcc, v19, v17, vcc
	v_sub_co_u32_e32 v18, vcc, 0, v18
	v_subb_co_u32_e64 v19, s[10:11], 0, 0, vcc
	v_mov_b32_e32 v20, 0
	v_mov_b32_e32 v22, 0
	;; [unrolled: 1-line block ×4, first 2 shown]
	s_mov_b64 s[6:7], 0
	v_mov_b32_e32 v21, 0
	v_mov_b32_e32 v23, 0
	;; [unrolled: 1-line block ×4, first 2 shown]
	s_movk_i32 s10, 0x1000
.LBB48_31:                              ; =>This Inner Loop Header: Depth=1
	global_load_dwordx2 v[28:29], v[16:17], off
	v_mov_b32_e32 v47, s9
	s_waitcnt vmcnt(0)
	v_sub_co_u32_e32 v32, vcc, v28, v4
	v_subb_co_u32_e32 v33, vcc, v29, v5, vcc
	v_lshlrev_b64 v[32:33], 5, v[32:33]
	global_load_dwordx4 v[28:31], v[12:13], off offset:48
	global_load_dwordx4 v[35:38], v[12:13], off offset:32
	global_load_dwordx4 v[39:42], v[12:13], off offset:16
	global_load_dwordx4 v[43:46], v[12:13], off
	v_add_co_u32_e32 v32, vcc, s8, v32
	v_addc_co_u32_e32 v33, vcc, v47, v33, vcc
	global_load_dwordx4 v[47:50], v[32:33], off offset:16
	global_load_dwordx4 v[51:54], v[32:33], off
	s_waitcnt vmcnt(0)
	v_fma_f64 v[24:25], v[43:44], v[51:52], v[24:25]
	v_fma_f64 v[26:27], v[45:46], v[51:52], v[26:27]
	;; [unrolled: 1-line block ×8, first 2 shown]
	global_load_dwordx4 v[28:31], v[12:13], off offset:112
	global_load_dwordx4 v[20:23], v[12:13], off offset:96
	;; [unrolled: 1-line block ×4, first 2 shown]
	v_add_co_u32_e32 v12, vcc, s10, v12
	v_addc_co_u32_e32 v13, vcc, 0, v13, vcc
	v_add_co_u32_e32 v0, vcc, 32, v0
	v_addc_co_u32_e32 v1, vcc, 0, v1, vcc
	;; [unrolled: 2-line block ×4, first 2 shown]
	v_cmp_eq_u64_e32 vcc, 0, v[18:19]
	s_or_b64 s[6:7], vcc, s[6:7]
	s_waitcnt vmcnt(0)
	v_fma_f64 v[32:33], v[35:36], v[47:48], v[32:33]
	v_fma_f64 v[35:36], v[37:38], v[47:48], v[39:40]
	;; [unrolled: 1-line block ×8, first 2 shown]
	s_andn2_b64 exec, exec, s[6:7]
	s_cbranch_execnz .LBB48_31
; %bb.32:
	s_or_b64 exec, exec, s[6:7]
.LBB48_33:
	s_or_b64 exec, exec, s[0:1]
	s_mov_b64 s[0:1], 0x5f
	v_cmp_lt_u64_e32 vcc, s[0:1], v[14:15]
	s_and_saveexec_b64 s[6:7], vcc
	s_cbranch_execz .LBB48_37
; %bb.34:
	v_lshlrev_b64 v[14:15], 3, v[0:1]
	v_mov_b32_e32 v16, s13
	v_add_co_u32_e32 v14, vcc, s12, v14
	v_addc_co_u32_e32 v15, vcc, v16, v15, vcc
	v_add_co_u32_e32 v14, vcc, 0x200, v14
	v_addc_co_u32_e32 v15, vcc, 0, v15, vcc
	s_mov_b64 s[10:11], 0
	v_mov_b32_e32 v16, s9
	s_movk_i32 s9, 0x1000
	s_movk_i32 s12, 0x2000
	;; [unrolled: 1-line block ×3, first 2 shown]
.LBB48_35:                              ; =>This Inner Loop Header: Depth=1
	global_load_dwordx2 v[17:18], v[14:15], off offset:-512
	global_load_dwordx4 v[28:31], v[12:13], off offset:48
	global_load_dwordx4 v[35:38], v[12:13], off offset:32
	;; [unrolled: 1-line block ×3, first 2 shown]
	global_load_dwordx4 v[43:46], v[12:13], off
	s_waitcnt vmcnt(4)
	v_sub_co_u32_e32 v17, vcc, v17, v4
	v_subb_co_u32_e32 v18, vcc, v18, v5, vcc
	v_lshlrev_b64 v[17:18], 5, v[17:18]
	v_add_co_u32_e32 v17, vcc, s8, v17
	v_addc_co_u32_e32 v18, vcc, v16, v18, vcc
	global_load_dwordx4 v[47:50], v[17:18], off offset:16
	global_load_dwordx4 v[51:54], v[17:18], off
	s_waitcnt vmcnt(0)
	v_fma_f64 v[17:18], v[43:44], v[51:52], v[24:25]
	v_fma_f64 v[24:25], v[45:46], v[51:52], v[26:27]
	;; [unrolled: 1-line block ×4, first 2 shown]
	v_add_co_u32_e32 v51, vcc, s9, v12
	v_addc_co_u32_e32 v52, vcc, 0, v13, vcc
	v_fma_f64 v[35:36], v[35:36], v[53:54], v[17:18]
	v_fma_f64 v[37:38], v[37:38], v[53:54], v[24:25]
	;; [unrolled: 1-line block ×4, first 2 shown]
	global_load_dwordx4 v[17:20], v[12:13], off offset:112
	global_load_dwordx4 v[21:24], v[12:13], off offset:96
	;; [unrolled: 1-line block ×4, first 2 shown]
	s_waitcnt vmcnt(1)
	v_fma_f64 v[25:26], v[25:26], v[47:48], v[39:40]
	s_waitcnt vmcnt(0)
	v_fma_f64 v[29:30], v[29:30], v[47:48], v[35:36]
	v_fma_f64 v[31:32], v[31:32], v[47:48], v[37:38]
	;; [unrolled: 1-line block ×4, first 2 shown]
	global_load_dwordx2 v[17:18], v[14:15], off offset:-256
	v_fma_f64 v[43:44], v[21:22], v[49:50], v[29:30]
	v_fma_f64 v[45:46], v[23:24], v[49:50], v[31:32]
	;; [unrolled: 1-line block ×3, first 2 shown]
	s_waitcnt vmcnt(0)
	v_sub_co_u32_e32 v35, vcc, v17, v4
	v_subb_co_u32_e32 v36, vcc, v18, v5, vcc
	v_add_co_u32_e32 v53, vcc, s12, v12
	v_lshlrev_b64 v[35:36], 5, v[35:36]
	v_addc_co_u32_e32 v54, vcc, 0, v13, vcc
	v_add_co_u32_e32 v55, vcc, s8, v35
	v_addc_co_u32_e32 v56, vcc, v16, v36, vcc
	global_load_dwordx4 v[17:20], v[53:54], off offset:-4096
	global_load_dwordx4 v[21:24], v[51:52], off offset:48
	global_load_dwordx4 v[25:28], v[51:52], off offset:32
	;; [unrolled: 1-line block ×4, first 2 shown]
	global_load_dwordx4 v[39:42], v[55:56], off
	s_waitcnt vmcnt(0)
	v_fma_f64 v[17:18], v[17:18], v[39:40], v[43:44]
	v_fma_f64 v[19:20], v[19:20], v[39:40], v[45:46]
	;; [unrolled: 1-line block ×8, first 2 shown]
	global_load_dwordx4 v[17:20], v[51:52], off offset:112
	global_load_dwordx4 v[21:24], v[51:52], off offset:96
	;; [unrolled: 1-line block ×4, first 2 shown]
	s_waitcnt vmcnt(1)
	v_fma_f64 v[25:26], v[25:26], v[35:36], v[45:46]
	s_waitcnt vmcnt(0)
	v_fma_f64 v[29:30], v[29:30], v[35:36], v[39:40]
	v_fma_f64 v[31:32], v[31:32], v[35:36], v[43:44]
	;; [unrolled: 1-line block ×4, first 2 shown]
	global_load_dwordx2 v[17:18], v[14:15], off
	v_fma_f64 v[43:44], v[21:22], v[37:38], v[29:30]
	v_fma_f64 v[45:46], v[23:24], v[37:38], v[31:32]
	;; [unrolled: 1-line block ×3, first 2 shown]
	s_waitcnt vmcnt(0)
	v_sub_co_u32_e32 v35, vcc, v17, v4
	v_subb_co_u32_e32 v36, vcc, v18, v5, vcc
	v_lshlrev_b64 v[35:36], 5, v[35:36]
	global_load_dwordx4 v[17:20], v[53:54], off
	global_load_dwordx4 v[21:24], v[53:54], off offset:48
	global_load_dwordx4 v[25:28], v[53:54], off offset:32
	;; [unrolled: 1-line block ×3, first 2 shown]
	v_add_co_u32_e32 v51, vcc, s8, v35
	v_addc_co_u32_e32 v52, vcc, v16, v36, vcc
	global_load_dwordx4 v[35:38], v[51:52], off offset:16
	global_load_dwordx4 v[39:42], v[51:52], off
	s_waitcnt vmcnt(0)
	v_fma_f64 v[17:18], v[17:18], v[39:40], v[43:44]
	v_fma_f64 v[19:20], v[19:20], v[39:40], v[45:46]
	;; [unrolled: 1-line block ×8, first 2 shown]
	global_load_dwordx4 v[17:20], v[53:54], off offset:112
	global_load_dwordx4 v[21:24], v[53:54], off offset:96
	;; [unrolled: 1-line block ×4, first 2 shown]
	s_waitcnt vmcnt(1)
	v_fma_f64 v[25:26], v[25:26], v[35:36], v[45:46]
	s_waitcnt vmcnt(0)
	v_fma_f64 v[29:30], v[29:30], v[35:36], v[39:40]
	v_fma_f64 v[31:32], v[31:32], v[35:36], v[43:44]
	;; [unrolled: 1-line block ×4, first 2 shown]
	global_load_dwordx2 v[17:18], v[14:15], off offset:256
	v_fma_f64 v[43:44], v[21:22], v[37:38], v[29:30]
	v_fma_f64 v[45:46], v[23:24], v[37:38], v[31:32]
	;; [unrolled: 1-line block ×3, first 2 shown]
	s_waitcnt vmcnt(0)
	v_sub_co_u32_e32 v35, vcc, v17, v4
	v_subb_co_u32_e32 v36, vcc, v18, v5, vcc
	v_add_co_u32_e32 v51, vcc, s13, v12
	v_lshlrev_b64 v[35:36], 5, v[35:36]
	v_addc_co_u32_e32 v52, vcc, 0, v13, vcc
	v_add_co_u32_e32 v53, vcc, s8, v35
	v_addc_co_u32_e32 v54, vcc, v16, v36, vcc
	global_load_dwordx4 v[17:20], v[51:52], off
	global_load_dwordx4 v[21:24], v[51:52], off offset:48
	global_load_dwordx4 v[25:28], v[51:52], off offset:32
	;; [unrolled: 1-line block ×4, first 2 shown]
	global_load_dwordx4 v[39:42], v[53:54], off
	v_add_co_u32_e32 v0, vcc, 0x80, v0
	v_addc_co_u32_e32 v1, vcc, 0, v1, vcc
	v_add_co_u32_e32 v14, vcc, 0x400, v14
	v_addc_co_u32_e32 v15, vcc, 0, v15, vcc
	v_cmp_ge_i64_e64 s[0:1], v[0:1], v[6:7]
	v_add_co_u32_e32 v12, vcc, 0x4000, v12
	v_addc_co_u32_e32 v13, vcc, 0, v13, vcc
	s_or_b64 s[10:11], s[0:1], s[10:11]
	s_waitcnt vmcnt(0)
	v_fma_f64 v[17:18], v[17:18], v[39:40], v[43:44]
	v_fma_f64 v[19:20], v[19:20], v[39:40], v[45:46]
	;; [unrolled: 1-line block ×8, first 2 shown]
	global_load_dwordx4 v[17:20], v[51:52], off offset:112
	global_load_dwordx4 v[24:27], v[51:52], off offset:96
	;; [unrolled: 1-line block ×4, first 2 shown]
	s_waitcnt vmcnt(1)
	v_fma_f64 v[21:22], v[28:29], v[35:36], v[21:22]
	s_waitcnt vmcnt(0)
	v_fma_f64 v[39:40], v[39:40], v[35:36], v[43:44]
	v_fma_f64 v[41:42], v[41:42], v[35:36], v[45:46]
	;; [unrolled: 1-line block ×7, first 2 shown]
	s_andn2_b64 exec, exec, s[10:11]
	s_cbranch_execnz .LBB48_35
; %bb.36:
	s_or_b64 exec, exec, s[10:11]
.LBB48_37:
	s_or_b64 exec, exec, s[6:7]
.LBB48_38:
	s_or_b64 exec, exec, s[2:3]
.LBB48_39:
	v_mov_b32_dpp v0, v24 row_shr:1 row_mask:0xf bank_mask:0xf
	v_mov_b32_dpp v1, v25 row_shr:1 row_mask:0xf bank_mask:0xf
	v_add_f64 v[0:1], v[24:25], v[0:1]
	v_mov_b32_dpp v4, v26 row_shr:1 row_mask:0xf bank_mask:0xf
	v_mov_b32_dpp v5, v27 row_shr:1 row_mask:0xf bank_mask:0xf
	;; [unrolled: 1-line block ×3, first 2 shown]
	v_add_f64 v[4:5], v[26:27], v[4:5]
	v_mov_b32_dpp v7, v23 row_shr:1 row_mask:0xf bank_mask:0xf
	v_add_f64 v[6:7], v[22:23], v[6:7]
	v_cmp_eq_u32_e32 vcc, 31, v34
	v_mov_b32_dpp v12, v0 row_shr:2 row_mask:0xf bank_mask:0xf
	v_mov_b32_dpp v13, v1 row_shr:2 row_mask:0xf bank_mask:0xf
	v_add_f64 v[0:1], v[0:1], v[12:13]
	v_mov_b32_dpp v12, v20 row_shr:1 row_mask:0xf bank_mask:0xf
	v_mov_b32_dpp v13, v21 row_shr:1 row_mask:0xf bank_mask:0xf
	v_add_f64 v[12:13], v[20:21], v[12:13]
	;; [unrolled: 3-line block ×4, first 2 shown]
	v_mov_b32_dpp v16, v6 row_shr:2 row_mask:0xf bank_mask:0xf
	v_mov_b32_dpp v17, v7 row_shr:2 row_mask:0xf bank_mask:0xf
	v_mov_b32_dpp v14, v12 row_shr:2 row_mask:0xf bank_mask:0xf
	v_add_f64 v[6:7], v[6:7], v[16:17]
	v_mov_b32_dpp v15, v13 row_shr:2 row_mask:0xf bank_mask:0xf
	v_add_f64 v[12:13], v[12:13], v[14:15]
	v_mov_b32_dpp v16, v4 row_shr:4 row_mask:0xf bank_mask:0xe
	v_mov_b32_dpp v17, v5 row_shr:4 row_mask:0xf bank_mask:0xe
	v_add_f64 v[4:5], v[4:5], v[16:17]
	v_mov_b32_dpp v14, v0 row_shr:8 row_mask:0xf bank_mask:0xc
	v_mov_b32_dpp v15, v1 row_shr:8 row_mask:0xf bank_mask:0xc
	;; [unrolled: 1-line block ×4, first 2 shown]
	v_add_f64 v[6:7], v[6:7], v[16:17]
	v_mov_b32_dpp v16, v12 row_shr:4 row_mask:0xf bank_mask:0xe
	v_mov_b32_dpp v17, v13 row_shr:4 row_mask:0xf bank_mask:0xe
	v_add_f64 v[12:13], v[12:13], v[16:17]
	v_add_f64 v[0:1], v[0:1], v[14:15]
	v_mov_b32_dpp v14, v4 row_shr:8 row_mask:0xf bank_mask:0xc
	v_mov_b32_dpp v15, v5 row_shr:8 row_mask:0xf bank_mask:0xc
	v_add_f64 v[4:5], v[4:5], v[14:15]
	v_mov_b32_dpp v14, v6 row_shr:8 row_mask:0xf bank_mask:0xc
	v_mov_b32_dpp v15, v7 row_shr:8 row_mask:0xf bank_mask:0xc
	;; [unrolled: 3-line block ×3, first 2 shown]
	v_add_f64 v[12:13], v[12:13], v[14:15]
	v_mov_b32_dpp v20, v0 row_bcast:15 row_mask:0xa bank_mask:0xf
	v_mov_b32_dpp v21, v1 row_bcast:15 row_mask:0xa bank_mask:0xf
	;; [unrolled: 1-line block ×8, first 2 shown]
	s_and_b64 exec, exec, vcc
	s_cbranch_execz .LBB48_10
; %bb.40:
	v_add_f64 v[0:1], v[0:1], v[20:21]
	v_add_f64 v[18:19], v[4:5], v[18:19]
	;; [unrolled: 1-line block ×4, first 2 shown]
	v_cmp_eq_f64_e32 vcc, 0, v[8:9]
	s_load_dwordx2 s[0:1], s[4:5], 0x58
	v_lshlrev_b64 v[10:11], 5, v[10:11]
	v_mul_f64 v[4:5], v[2:3], v[0:1]
	v_mul_f64 v[6:7], v[2:3], v[18:19]
	;; [unrolled: 1-line block ×4, first 2 shown]
	s_and_saveexec_b64 s[2:3], vcc
	s_xor_b64 s[2:3], exec, s[2:3]
	s_cbranch_execz .LBB48_42
; %bb.41:
	s_waitcnt lgkmcnt(0)
	v_mov_b32_e32 v9, s1
	v_add_co_u32_e32 v8, vcc, s0, v10
	v_addc_co_u32_e32 v9, vcc, v9, v11, vcc
	global_store_dwordx4 v[8:9], v[4:7], off
	global_store_dwordx4 v[8:9], v[0:3], off offset:16
                                        ; implicit-def: $vgpr10_vgpr11
                                        ; implicit-def: $vgpr8_vgpr9
                                        ; implicit-def: $vgpr4_vgpr5
                                        ; implicit-def: $vgpr0_vgpr1
.LBB48_42:
	s_andn2_saveexec_b64 s[2:3], s[2:3]
	s_cbranch_execz .LBB48_10
; %bb.43:
	s_waitcnt lgkmcnt(0)
	v_mov_b32_e32 v12, s1
	v_add_co_u32_e32 v18, vcc, s0, v10
	v_addc_co_u32_e32 v19, vcc, v12, v11, vcc
	global_load_dwordx4 v[10:13], v[18:19], off
	global_load_dwordx4 v[14:17], v[18:19], off offset:16
	s_waitcnt vmcnt(1)
	v_fma_f64 v[4:5], v[8:9], v[10:11], v[4:5]
	v_fma_f64 v[6:7], v[8:9], v[12:13], v[6:7]
	s_waitcnt vmcnt(0)
	v_fma_f64 v[0:1], v[8:9], v[14:15], v[0:1]
	v_fma_f64 v[2:3], v[8:9], v[16:17], v[2:3]
	global_store_dwordx4 v[18:19], v[4:7], off
	global_store_dwordx4 v[18:19], v[0:3], off offset:16
	s_endpgm
	.section	.rodata,"a",@progbits
	.p2align	6, 0x0
	.amdhsa_kernel _ZN9rocsparseL18bsrxmvn_4x4_kernelILj128ELj32EdlldddEEvT3_20rocsparse_direction_NS_24const_host_device_scalarIT1_EES1_PKS1_PKT2_SA_S7_PKT4_PKT5_S5_PT6_21rocsparse_index_base_b
		.amdhsa_group_segment_fixed_size 0
		.amdhsa_private_segment_fixed_size 0
		.amdhsa_kernarg_size 104
		.amdhsa_user_sgpr_count 6
		.amdhsa_user_sgpr_private_segment_buffer 1
		.amdhsa_user_sgpr_dispatch_ptr 0
		.amdhsa_user_sgpr_queue_ptr 0
		.amdhsa_user_sgpr_kernarg_segment_ptr 1
		.amdhsa_user_sgpr_dispatch_id 0
		.amdhsa_user_sgpr_flat_scratch_init 0
		.amdhsa_user_sgpr_private_segment_size 0
		.amdhsa_uses_dynamic_stack 0
		.amdhsa_system_sgpr_private_segment_wavefront_offset 0
		.amdhsa_system_sgpr_workgroup_id_x 1
		.amdhsa_system_sgpr_workgroup_id_y 0
		.amdhsa_system_sgpr_workgroup_id_z 0
		.amdhsa_system_sgpr_workgroup_info 0
		.amdhsa_system_vgpr_workitem_id 0
		.amdhsa_next_free_vgpr 63
		.amdhsa_next_free_sgpr 19
		.amdhsa_reserve_vcc 1
		.amdhsa_reserve_flat_scratch 0
		.amdhsa_float_round_mode_32 0
		.amdhsa_float_round_mode_16_64 0
		.amdhsa_float_denorm_mode_32 3
		.amdhsa_float_denorm_mode_16_64 3
		.amdhsa_dx10_clamp 1
		.amdhsa_ieee_mode 1
		.amdhsa_fp16_overflow 0
		.amdhsa_exception_fp_ieee_invalid_op 0
		.amdhsa_exception_fp_denorm_src 0
		.amdhsa_exception_fp_ieee_div_zero 0
		.amdhsa_exception_fp_ieee_overflow 0
		.amdhsa_exception_fp_ieee_underflow 0
		.amdhsa_exception_fp_ieee_inexact 0
		.amdhsa_exception_int_div_zero 0
	.end_amdhsa_kernel
	.section	.text._ZN9rocsparseL18bsrxmvn_4x4_kernelILj128ELj32EdlldddEEvT3_20rocsparse_direction_NS_24const_host_device_scalarIT1_EES1_PKS1_PKT2_SA_S7_PKT4_PKT5_S5_PT6_21rocsparse_index_base_b,"axG",@progbits,_ZN9rocsparseL18bsrxmvn_4x4_kernelILj128ELj32EdlldddEEvT3_20rocsparse_direction_NS_24const_host_device_scalarIT1_EES1_PKS1_PKT2_SA_S7_PKT4_PKT5_S5_PT6_21rocsparse_index_base_b,comdat
.Lfunc_end48:
	.size	_ZN9rocsparseL18bsrxmvn_4x4_kernelILj128ELj32EdlldddEEvT3_20rocsparse_direction_NS_24const_host_device_scalarIT1_EES1_PKS1_PKT2_SA_S7_PKT4_PKT5_S5_PT6_21rocsparse_index_base_b, .Lfunc_end48-_ZN9rocsparseL18bsrxmvn_4x4_kernelILj128ELj32EdlldddEEvT3_20rocsparse_direction_NS_24const_host_device_scalarIT1_EES1_PKS1_PKT2_SA_S7_PKT4_PKT5_S5_PT6_21rocsparse_index_base_b
                                        ; -- End function
	.set _ZN9rocsparseL18bsrxmvn_4x4_kernelILj128ELj32EdlldddEEvT3_20rocsparse_direction_NS_24const_host_device_scalarIT1_EES1_PKS1_PKT2_SA_S7_PKT4_PKT5_S5_PT6_21rocsparse_index_base_b.num_vgpr, 63
	.set _ZN9rocsparseL18bsrxmvn_4x4_kernelILj128ELj32EdlldddEEvT3_20rocsparse_direction_NS_24const_host_device_scalarIT1_EES1_PKS1_PKT2_SA_S7_PKT4_PKT5_S5_PT6_21rocsparse_index_base_b.num_agpr, 0
	.set _ZN9rocsparseL18bsrxmvn_4x4_kernelILj128ELj32EdlldddEEvT3_20rocsparse_direction_NS_24const_host_device_scalarIT1_EES1_PKS1_PKT2_SA_S7_PKT4_PKT5_S5_PT6_21rocsparse_index_base_b.numbered_sgpr, 19
	.set _ZN9rocsparseL18bsrxmvn_4x4_kernelILj128ELj32EdlldddEEvT3_20rocsparse_direction_NS_24const_host_device_scalarIT1_EES1_PKS1_PKT2_SA_S7_PKT4_PKT5_S5_PT6_21rocsparse_index_base_b.num_named_barrier, 0
	.set _ZN9rocsparseL18bsrxmvn_4x4_kernelILj128ELj32EdlldddEEvT3_20rocsparse_direction_NS_24const_host_device_scalarIT1_EES1_PKS1_PKT2_SA_S7_PKT4_PKT5_S5_PT6_21rocsparse_index_base_b.private_seg_size, 0
	.set _ZN9rocsparseL18bsrxmvn_4x4_kernelILj128ELj32EdlldddEEvT3_20rocsparse_direction_NS_24const_host_device_scalarIT1_EES1_PKS1_PKT2_SA_S7_PKT4_PKT5_S5_PT6_21rocsparse_index_base_b.uses_vcc, 1
	.set _ZN9rocsparseL18bsrxmvn_4x4_kernelILj128ELj32EdlldddEEvT3_20rocsparse_direction_NS_24const_host_device_scalarIT1_EES1_PKS1_PKT2_SA_S7_PKT4_PKT5_S5_PT6_21rocsparse_index_base_b.uses_flat_scratch, 0
	.set _ZN9rocsparseL18bsrxmvn_4x4_kernelILj128ELj32EdlldddEEvT3_20rocsparse_direction_NS_24const_host_device_scalarIT1_EES1_PKS1_PKT2_SA_S7_PKT4_PKT5_S5_PT6_21rocsparse_index_base_b.has_dyn_sized_stack, 0
	.set _ZN9rocsparseL18bsrxmvn_4x4_kernelILj128ELj32EdlldddEEvT3_20rocsparse_direction_NS_24const_host_device_scalarIT1_EES1_PKS1_PKT2_SA_S7_PKT4_PKT5_S5_PT6_21rocsparse_index_base_b.has_recursion, 0
	.set _ZN9rocsparseL18bsrxmvn_4x4_kernelILj128ELj32EdlldddEEvT3_20rocsparse_direction_NS_24const_host_device_scalarIT1_EES1_PKS1_PKT2_SA_S7_PKT4_PKT5_S5_PT6_21rocsparse_index_base_b.has_indirect_call, 0
	.section	.AMDGPU.csdata,"",@progbits
; Kernel info:
; codeLenInByte = 4768
; TotalNumSgprs: 23
; NumVgprs: 63
; ScratchSize: 0
; MemoryBound: 1
; FloatMode: 240
; IeeeMode: 1
; LDSByteSize: 0 bytes/workgroup (compile time only)
; SGPRBlocks: 2
; VGPRBlocks: 15
; NumSGPRsForWavesPerEU: 23
; NumVGPRsForWavesPerEU: 63
; Occupancy: 4
; WaveLimiterHint : 1
; COMPUTE_PGM_RSRC2:SCRATCH_EN: 0
; COMPUTE_PGM_RSRC2:USER_SGPR: 6
; COMPUTE_PGM_RSRC2:TRAP_HANDLER: 0
; COMPUTE_PGM_RSRC2:TGID_X_EN: 1
; COMPUTE_PGM_RSRC2:TGID_Y_EN: 0
; COMPUTE_PGM_RSRC2:TGID_Z_EN: 0
; COMPUTE_PGM_RSRC2:TIDIG_COMP_CNT: 0
	.section	.text._ZN9rocsparseL18bsrxmvn_4x4_kernelILj128ELj64EdlldddEEvT3_20rocsparse_direction_NS_24const_host_device_scalarIT1_EES1_PKS1_PKT2_SA_S7_PKT4_PKT5_S5_PT6_21rocsparse_index_base_b,"axG",@progbits,_ZN9rocsparseL18bsrxmvn_4x4_kernelILj128ELj64EdlldddEEvT3_20rocsparse_direction_NS_24const_host_device_scalarIT1_EES1_PKS1_PKT2_SA_S7_PKT4_PKT5_S5_PT6_21rocsparse_index_base_b,comdat
	.globl	_ZN9rocsparseL18bsrxmvn_4x4_kernelILj128ELj64EdlldddEEvT3_20rocsparse_direction_NS_24const_host_device_scalarIT1_EES1_PKS1_PKT2_SA_S7_PKT4_PKT5_S5_PT6_21rocsparse_index_base_b ; -- Begin function _ZN9rocsparseL18bsrxmvn_4x4_kernelILj128ELj64EdlldddEEvT3_20rocsparse_direction_NS_24const_host_device_scalarIT1_EES1_PKS1_PKT2_SA_S7_PKT4_PKT5_S5_PT6_21rocsparse_index_base_b
	.p2align	8
	.type	_ZN9rocsparseL18bsrxmvn_4x4_kernelILj128ELj64EdlldddEEvT3_20rocsparse_direction_NS_24const_host_device_scalarIT1_EES1_PKS1_PKT2_SA_S7_PKT4_PKT5_S5_PT6_21rocsparse_index_base_b,@function
_ZN9rocsparseL18bsrxmvn_4x4_kernelILj128ELj64EdlldddEEvT3_20rocsparse_direction_NS_24const_host_device_scalarIT1_EES1_PKS1_PKT2_SA_S7_PKT4_PKT5_S5_PT6_21rocsparse_index_base_b: ; @_ZN9rocsparseL18bsrxmvn_4x4_kernelILj128ELj64EdlldddEEvT3_20rocsparse_direction_NS_24const_host_device_scalarIT1_EES1_PKS1_PKT2_SA_S7_PKT4_PKT5_S5_PT6_21rocsparse_index_base_b
; %bb.0:
	s_load_dwordx2 s[8:9], s[4:5], 0x60
	s_load_dwordx4 s[0:3], s[4:5], 0x10
	s_load_dwordx2 s[10:11], s[4:5], 0x50
	s_waitcnt lgkmcnt(0)
	s_bitcmp1_b32 s9, 0
	s_cselect_b64 s[14:15], -1, 0
	v_mov_b32_e32 v3, s1
	s_xor_b64 s[12:13], s[14:15], -1
	s_and_b64 vcc, exec, s[14:15]
	v_mov_b32_e32 v2, s0
	s_cbranch_vccnz .LBB49_2
; %bb.1:
	v_mov_b32_e32 v2, s1
	v_mov_b32_e32 v1, s0
	flat_load_dwordx2 v[2:3], v[1:2]
.LBB49_2:
	v_mov_b32_e32 v8, s10
	s_andn2_b64 vcc, exec, s[12:13]
	v_mov_b32_e32 v9, s11
	s_cbranch_vccnz .LBB49_4
; %bb.3:
	v_mov_b32_e32 v4, s10
	v_mov_b32_e32 v5, s11
	flat_load_dwordx2 v[8:9], v[4:5]
.LBB49_4:
	s_waitcnt vmcnt(0) lgkmcnt(0)
	v_cmp_neq_f64_e32 vcc, 0, v[2:3]
	v_cmp_neq_f64_e64 s[0:1], 1.0, v[8:9]
	s_mov_b64 s[10:11], 0
	s_or_b64 s[0:1], vcc, s[0:1]
	s_and_saveexec_b64 s[12:13], s[0:1]
	s_cbranch_execz .LBB49_10
; %bb.5:
	s_load_dwordx2 s[12:13], s[4:5], 0x20
	v_lshrrev_b32_e32 v1, 6, v0
	v_lshl_or_b32 v6, s6, 1, v1
	v_mov_b32_e32 v7, 0
	s_mov_b64 s[0:1], 0
	s_waitcnt lgkmcnt(0)
	s_cmp_lg_u64 s[12:13], 0
	s_cbranch_scc0 .LBB49_11
; %bb.6:
	v_cmp_gt_i64_e32 vcc, s[2:3], v[6:7]
                                        ; implicit-def: $vgpr10_vgpr11
                                        ; implicit-def: $vgpr4_vgpr5
	s_and_saveexec_b64 s[2:3], vcc
	s_xor_b64 s[2:3], exec, s[2:3]
	s_cbranch_execz .LBB49_8
; %bb.7:
	v_lshlrev_b64 v[4:5], 3, v[6:7]
	v_mov_b32_e32 v1, s13
	v_add_co_u32_e32 v4, vcc, s12, v4
	v_addc_co_u32_e32 v5, vcc, v1, v5, vcc
	global_load_dwordx2 v[4:5], v[4:5], off
	s_mov_b32 s9, 0
	s_mov_b64 s[0:1], exec
	s_waitcnt vmcnt(0)
	v_subrev_co_u32_e32 v10, vcc, s8, v4
	v_subbrev_co_u32_e32 v11, vcc, 0, v5, vcc
	v_mov_b32_e32 v4, s8
	v_mov_b32_e32 v5, s9
.LBB49_8:
	s_or_b64 exec, exec, s[2:3]
	s_mov_b64 s[10:11], s[0:1]
.LBB49_9:
	s_and_b64 exec, exec, s[10:11]
	s_cbranch_execnz .LBB49_15
.LBB49_10:
	s_endpgm
.LBB49_11:
                                        ; implicit-def: $vgpr10_vgpr11
                                        ; implicit-def: $vgpr4_vgpr5
	s_cbranch_execz .LBB49_9
; %bb.12:
	s_load_dwordx2 s[0:1], s[4:5], 0x0
	s_waitcnt lgkmcnt(0)
	v_cmp_gt_i64_e32 vcc, s[0:1], v[6:7]
	s_and_saveexec_b64 s[0:1], vcc
; %bb.13:
	s_mov_b32 s9, 0
	s_or_b64 s[10:11], s[10:11], exec
; %bb.14:
	s_or_b64 exec, exec, s[0:1]
	v_mov_b32_e32 v4, s8
	v_mov_b32_e32 v11, v7
	v_mov_b32_e32 v5, s9
	v_mov_b32_e32 v10, v6
	s_and_b64 exec, exec, s[10:11]
	s_cbranch_execz .LBB49_10
.LBB49_15:
	s_load_dwordx8 s[8:15], s[4:5], 0x28
	v_lshlrev_b64 v[6:7], 3, v[10:11]
	v_and_b32_e32 v34, 63, v0
	s_waitcnt lgkmcnt(0)
	v_mov_b32_e32 v1, s9
	v_add_co_u32_e32 v12, vcc, s8, v6
	v_addc_co_u32_e32 v13, vcc, v1, v7, vcc
	v_add_co_u32_e32 v1, vcc, 8, v12
	global_load_dwordx2 v[14:15], v[12:13], off
	v_addc_co_u32_e32 v12, vcc, 0, v13, vcc
	v_mov_b32_e32 v13, s11
	v_add_co_u32_e32 v6, vcc, s10, v6
	s_cmp_eq_u64 s[10:11], 0
	v_addc_co_u32_e32 v7, vcc, v13, v7, vcc
	s_cselect_b64 vcc, -1, 0
	v_cndmask_b32_e32 v7, v7, v12, vcc
	v_cndmask_b32_e32 v6, v6, v1, vcc
	global_load_dwordx2 v[6:7], v[6:7], off
	s_load_dword s0, s[4:5], 0x8
	s_load_dwordx2 s[8:9], s[4:5], 0x48
	v_mov_b32_e32 v16, s15
	s_waitcnt lgkmcnt(0)
	s_cmp_eq_u32 s0, 1
	s_waitcnt vmcnt(1)
	v_sub_co_u32_e32 v0, vcc, v14, v4
	v_subb_co_u32_e32 v1, vcc, v15, v5, vcc
	v_add_co_u32_e32 v0, vcc, v0, v34
	v_addc_co_u32_e32 v1, vcc, 0, v1, vcc
	v_lshlrev_b64 v[12:13], 7, v[0:1]
	s_waitcnt vmcnt(0)
	v_sub_co_u32_e32 v6, vcc, v6, v4
	v_subb_co_u32_e32 v7, vcc, v7, v5, vcc
	v_cmp_lt_i64_e64 s[0:1], v[0:1], v[6:7]
	v_add_co_u32_e32 v12, vcc, s14, v12
	v_addc_co_u32_e32 v13, vcc, v16, v13, vcc
	s_cbranch_scc1 .LBB49_27
; %bb.16:
	v_mov_b32_e32 v20, 0
	v_mov_b32_e32 v22, 0
	;; [unrolled: 1-line block ×8, first 2 shown]
	s_and_saveexec_b64 s[10:11], s[0:1]
	s_cbranch_execz .LBB49_26
; %bb.17:
	v_or_b32_e32 v16, 64, v34
	v_sub_co_u32_e32 v16, vcc, v16, v4
	v_subb_co_u32_e32 v17, vcc, 0, v5, vcc
	v_add_co_u32_e32 v16, vcc, v16, v14
	v_addc_co_u32_e32 v17, vcc, v17, v15, vcc
	v_cmp_gt_i64_e32 vcc, v[16:17], v[6:7]
	v_not_b32_e32 v19, v14
	v_cndmask_b32_e32 v17, v7, v17, vcc
	v_cndmask_b32_e32 v16, v6, v16, vcc
	v_sub_co_u32_e32 v20, vcc, v4, v34
	v_subbrev_co_u32_e32 v21, vcc, 0, v5, vcc
	v_not_b32_e32 v18, v15
	v_add_co_u32_e32 v19, vcc, v20, v19
	v_addc_co_u32_e32 v18, vcc, v21, v18, vcc
	v_add_co_u32_e32 v28, vcc, v19, v16
	v_addc_co_u32_e32 v29, vcc, v18, v17, vcc
	v_and_b32_e32 v16, 0xc0, v28
	v_mov_b32_e32 v17, 0
	s_mov_b64 s[2:3], 0xc0
	v_cmp_ne_u64_e32 vcc, s[2:3], v[16:17]
	v_mov_b32_e32 v24, 0
	v_mov_b32_e32 v26, 0
	;; [unrolled: 1-line block ×12, first 2 shown]
	s_and_saveexec_b64 s[14:15], vcc
	s_cbranch_execz .LBB49_21
; %bb.18:
	v_lshrrev_b32_e32 v16, 6, v28
	v_add_u32_e32 v16, 1, v16
	v_and_b32_e32 v18, 3, v16
	v_lshlrev_b64 v[16:17], 3, v[0:1]
	v_mov_b32_e32 v19, s13
	v_add_co_u32_e32 v30, vcc, s12, v16
	v_addc_co_u32_e32 v31, vcc, v19, v17, vcc
	v_sub_co_u32_e32 v32, vcc, 0, v18
	v_mov_b32_e32 v20, 0
	v_mov_b32_e32 v17, v13
	;; [unrolled: 1-line block ×6, first 2 shown]
	s_mov_b64 s[16:17], 0
	v_subb_co_u32_e64 v33, s[2:3], 0, 0, vcc
	v_mov_b32_e32 v21, 0
	s_movk_i32 s18, 0x2000
	v_mov_b32_e32 v16, v12
	v_mov_b32_e32 v23, 0
	;; [unrolled: 1-line block ×5, first 2 shown]
.LBB49_19:                              ; =>This Inner Loop Header: Depth=1
	global_load_dwordx2 v[47:48], v[30:31], off
	global_load_dwordx4 v[35:38], v[16:17], off offset:32
	global_load_dwordx4 v[39:42], v[16:17], off
	v_mov_b32_e32 v49, s9
	global_load_dwordx4 v[43:46], v[16:17], off offset:64
	v_add_co_u32_e64 v32, s[6:7], 1, v32
	s_waitcnt vmcnt(3)
	v_sub_co_u32_e32 v47, vcc, v47, v4
	v_subb_co_u32_e32 v48, vcc, v48, v5, vcc
	v_lshlrev_b64 v[47:48], 5, v[47:48]
	v_add_co_u32_e32 v51, vcc, s8, v47
	v_addc_co_u32_e32 v52, vcc, v49, v48, vcc
	global_load_dwordx4 v[47:50], v[51:52], off
	s_waitcnt vmcnt(0)
	v_fma_f64 v[24:25], v[39:40], v[47:48], v[24:25]
	v_fma_f64 v[53:54], v[41:42], v[49:50], v[24:25]
	global_load_dwordx4 v[39:42], v[16:17], off offset:96
	v_fma_f64 v[24:25], v[35:36], v[47:48], v[26:27]
	v_fma_f64 v[22:23], v[43:44], v[47:48], v[22:23]
	;; [unrolled: 1-line block ×3, first 2 shown]
	global_load_dwordx4 v[35:38], v[16:17], off offset:48
	v_fma_f64 v[55:56], v[45:46], v[49:50], v[22:23]
	global_load_dwordx4 v[22:25], v[16:17], off offset:16
	s_waitcnt vmcnt(2)
	v_fma_f64 v[20:21], v[39:40], v[47:48], v[20:21]
	v_fma_f64 v[20:21], v[41:42], v[49:50], v[20:21]
	global_load_dwordx4 v[39:42], v[16:17], off offset:80
	global_load_dwordx4 v[43:46], v[51:52], off offset:16
	;; [unrolled: 1-line block ×3, first 2 shown]
	v_add_co_u32_e32 v16, vcc, s18, v16
	s_mov_b64 s[2:3], vcc
	v_add_co_u32_e32 v18, vcc, 64, v18
	v_addc_co_u32_e32 v19, vcc, 0, v19, vcc
	v_addc_co_u32_e64 v33, vcc, 0, v33, s[6:7]
	v_cmp_eq_u64_e64 s[6:7], 0, v[32:33]
	v_add_co_u32_e32 v30, vcc, 0x200, v30
	v_addc_co_u32_e64 v17, s[2:3], 0, v17, s[2:3]
	s_or_b64 s[16:17], s[6:7], s[16:17]
	v_addc_co_u32_e32 v31, vcc, 0, v31, vcc
	s_waitcnt vmcnt(1)
	v_fma_f64 v[22:23], v[22:23], v[43:44], v[53:54]
	s_waitcnt vmcnt(0)
	v_fma_f64 v[20:21], v[47:48], v[43:44], v[20:21]
	v_fma_f64 v[24:25], v[24:25], v[45:46], v[22:23]
	;; [unrolled: 1-line block ×7, first 2 shown]
	s_andn2_b64 exec, exec, s[16:17]
	s_cbranch_execnz .LBB49_19
; %bb.20:
	s_or_b64 exec, exec, s[16:17]
.LBB49_21:
	s_or_b64 exec, exec, s[14:15]
	s_mov_b64 s[2:3], 0xbf
	v_cmp_lt_u64_e32 vcc, s[2:3], v[28:29]
	s_and_saveexec_b64 s[6:7], vcc
	s_cbranch_execz .LBB49_25
; %bb.22:
	v_lshlrev_b64 v[28:29], 3, v[18:19]
	v_mov_b32_e32 v30, s13
	v_add_co_u32_e32 v28, vcc, s12, v28
	v_addc_co_u32_e32 v29, vcc, v30, v29, vcc
	v_add_co_u32_e32 v28, vcc, 0x400, v28
	v_addc_co_u32_e32 v29, vcc, 0, v29, vcc
	s_mov_b64 s[14:15], 0
	v_mov_b32_e32 v30, s9
	s_movk_i32 s16, 0x2000
	s_movk_i32 s17, 0x4000
	;; [unrolled: 1-line block ×3, first 2 shown]
.LBB49_23:                              ; =>This Inner Loop Header: Depth=1
	global_load_dwordx2 v[31:32], v[28:29], off offset:-1024
	global_load_dwordx4 v[35:38], v[16:17], off offset:48
	global_load_dwordx4 v[39:42], v[16:17], off offset:32
	;; [unrolled: 1-line block ×3, first 2 shown]
	global_load_dwordx4 v[47:50], v[16:17], off
	s_waitcnt vmcnt(4)
	v_sub_co_u32_e32 v31, vcc, v31, v4
	v_subb_co_u32_e32 v32, vcc, v32, v5, vcc
	v_lshlrev_b64 v[31:32], 5, v[31:32]
	v_add_co_u32_e32 v31, vcc, s8, v31
	v_addc_co_u32_e32 v32, vcc, v30, v32, vcc
	global_load_dwordx4 v[51:54], v[31:32], off offset:16
	global_load_dwordx4 v[55:58], v[31:32], off
	s_waitcnt vmcnt(0)
	v_fma_f64 v[24:25], v[47:48], v[55:56], v[24:25]
	v_fma_f64 v[24:25], v[49:50], v[57:58], v[24:25]
	;; [unrolled: 1-line block ×8, first 2 shown]
	global_load_dwordx4 v[24:27], v[16:17], off offset:112
	global_load_dwordx4 v[35:38], v[16:17], off offset:96
	;; [unrolled: 1-line block ×4, first 2 shown]
	s_waitcnt vmcnt(2)
	v_fma_f64 v[20:21], v[35:36], v[55:56], v[20:21]
	s_waitcnt vmcnt(0)
	v_fma_f64 v[22:23], v[43:44], v[55:56], v[22:23]
	v_fma_f64 v[20:21], v[37:38], v[57:58], v[20:21]
	;; [unrolled: 1-line block ×6, first 2 shown]
	global_load_dwordx2 v[20:21], v[28:29], off offset:-512
	v_fma_f64 v[61:62], v[41:42], v[53:54], v[22:23]
	v_add_co_u32_e32 v53, vcc, s16, v16
	v_addc_co_u32_e32 v54, vcc, 0, v17, vcc
	s_waitcnt vmcnt(0)
	v_sub_co_u32_e32 v43, vcc, v20, v4
	v_subb_co_u32_e32 v44, vcc, v21, v5, vcc
	v_lshlrev_b64 v[43:44], 5, v[43:44]
	global_load_dwordx4 v[20:23], v[53:54], off
	global_load_dwordx4 v[24:27], v[53:54], off offset:48
	global_load_dwordx4 v[35:38], v[53:54], off offset:32
	;; [unrolled: 1-line block ×3, first 2 shown]
	v_add_co_u32_e32 v55, vcc, s8, v43
	v_addc_co_u32_e32 v56, vcc, v30, v44, vcc
	global_load_dwordx4 v[43:46], v[55:56], off offset:16
	global_load_dwordx4 v[47:50], v[55:56], off
	s_waitcnt vmcnt(0)
	v_fma_f64 v[20:21], v[20:21], v[47:48], v[31:32]
	v_fma_f64 v[20:21], v[22:23], v[49:50], v[20:21]
	;; [unrolled: 1-line block ×8, first 2 shown]
	global_load_dwordx4 v[20:23], v[53:54], off offset:112
	global_load_dwordx4 v[24:27], v[53:54], off offset:96
	;; [unrolled: 1-line block ×4, first 2 shown]
	s_waitcnt vmcnt(2)
	v_fma_f64 v[24:25], v[24:25], v[47:48], v[51:52]
	s_waitcnt vmcnt(0)
	v_fma_f64 v[39:40], v[39:40], v[47:48], v[61:62]
	v_fma_f64 v[24:25], v[26:27], v[49:50], v[24:25]
	v_fma_f64 v[39:40], v[41:42], v[49:50], v[39:40]
	v_fma_f64 v[20:21], v[20:21], v[43:44], v[24:25]
	v_fma_f64 v[35:36], v[35:36], v[43:44], v[39:40]
	v_fma_f64 v[51:52], v[22:23], v[45:46], v[20:21]
	global_load_dwordx2 v[20:21], v[28:29], off
	v_fma_f64 v[53:54], v[37:38], v[45:46], v[35:36]
	s_waitcnt vmcnt(0)
	v_sub_co_u32_e32 v43, vcc, v20, v4
	v_subb_co_u32_e32 v44, vcc, v21, v5, vcc
	v_add_co_u32_e32 v57, vcc, s17, v16
	v_lshlrev_b64 v[43:44], 5, v[43:44]
	v_addc_co_u32_e32 v58, vcc, 0, v17, vcc
	v_add_co_u32_e32 v59, vcc, s8, v43
	v_addc_co_u32_e32 v60, vcc, v30, v44, vcc
	global_load_dwordx4 v[20:23], v[57:58], off
	global_load_dwordx4 v[24:27], v[57:58], off offset:48
	global_load_dwordx4 v[35:38], v[57:58], off offset:32
	;; [unrolled: 1-line block ×4, first 2 shown]
	global_load_dwordx4 v[47:50], v[59:60], off
	s_waitcnt vmcnt(0)
	v_fma_f64 v[20:21], v[20:21], v[47:48], v[31:32]
	v_fma_f64 v[20:21], v[22:23], v[49:50], v[20:21]
	;; [unrolled: 1-line block ×8, first 2 shown]
	global_load_dwordx4 v[20:23], v[57:58], off offset:112
	global_load_dwordx4 v[24:27], v[57:58], off offset:96
	;; [unrolled: 1-line block ×4, first 2 shown]
	s_waitcnt vmcnt(2)
	v_fma_f64 v[24:25], v[24:25], v[47:48], v[51:52]
	s_waitcnt vmcnt(0)
	v_fma_f64 v[39:40], v[39:40], v[47:48], v[53:54]
	v_fma_f64 v[24:25], v[26:27], v[49:50], v[24:25]
	;; [unrolled: 1-line block ×6, first 2 shown]
	global_load_dwordx2 v[20:21], v[28:29], off offset:512
	v_fma_f64 v[57:58], v[37:38], v[45:46], v[35:36]
	s_waitcnt vmcnt(0)
	v_sub_co_u32_e32 v43, vcc, v20, v4
	v_subb_co_u32_e32 v44, vcc, v21, v5, vcc
	v_add_co_u32_e32 v61, vcc, s18, v16
	v_lshlrev_b64 v[43:44], 5, v[43:44]
	v_addc_co_u32_e32 v62, vcc, 0, v17, vcc
	v_add_co_u32_e32 v51, vcc, s8, v43
	v_addc_co_u32_e32 v52, vcc, v30, v44, vcc
	global_load_dwordx4 v[20:23], v[61:62], off
	global_load_dwordx4 v[35:38], v[61:62], off offset:48
	global_load_dwordx4 v[39:42], v[61:62], off offset:32
	;; [unrolled: 1-line block ×4, first 2 shown]
	global_load_dwordx4 v[47:50], v[51:52], off
	v_add_co_u32_e32 v18, vcc, 0x100, v18
	v_addc_co_u32_e32 v19, vcc, 0, v19, vcc
	v_add_co_u32_e32 v28, vcc, 0x800, v28
	v_addc_co_u32_e32 v29, vcc, 0, v29, vcc
	v_cmp_ge_i64_e64 s[2:3], v[18:19], v[6:7]
	v_add_co_u32_e32 v16, vcc, 0x8000, v16
	v_addc_co_u32_e32 v17, vcc, 0, v17, vcc
	s_or_b64 s[14:15], s[2:3], s[14:15]
	s_waitcnt vmcnt(0)
	v_fma_f64 v[20:21], v[20:21], v[47:48], v[31:32]
	v_fma_f64 v[20:21], v[22:23], v[49:50], v[20:21]
	;; [unrolled: 1-line block ×8, first 2 shown]
	global_load_dwordx4 v[35:38], v[61:62], off offset:112
	global_load_dwordx4 v[39:42], v[61:62], off offset:96
	;; [unrolled: 1-line block ×4, first 2 shown]
	s_waitcnt vmcnt(0)
	v_fma_f64 v[31:32], v[51:52], v[47:48], v[57:58]
	v_fma_f64 v[31:32], v[53:54], v[49:50], v[31:32]
	;; [unrolled: 1-line block ×8, first 2 shown]
	s_andn2_b64 exec, exec, s[14:15]
	s_cbranch_execnz .LBB49_23
; %bb.24:
	s_or_b64 exec, exec, s[14:15]
.LBB49_25:
	s_or_b64 exec, exec, s[6:7]
.LBB49_26:
	s_or_b64 exec, exec, s[10:11]
	s_cbranch_execz .LBB49_28
	s_branch .LBB49_39
.LBB49_27:
                                        ; implicit-def: $vgpr20_vgpr21
                                        ; implicit-def: $vgpr22_vgpr23
                                        ; implicit-def: $vgpr26_vgpr27
                                        ; implicit-def: $vgpr24_vgpr25
.LBB49_28:
	v_mov_b32_e32 v20, 0
	v_mov_b32_e32 v22, 0
	;; [unrolled: 1-line block ×8, first 2 shown]
	s_and_saveexec_b64 s[2:3], s[0:1]
	s_cbranch_execz .LBB49_38
; %bb.29:
	v_or_b32_e32 v16, 64, v34
	v_sub_co_u32_e32 v16, vcc, v16, v4
	v_subb_co_u32_e32 v17, vcc, 0, v5, vcc
	v_add_co_u32_e32 v16, vcc, v16, v14
	v_addc_co_u32_e32 v17, vcc, v17, v15, vcc
	v_cmp_gt_i64_e32 vcc, v[16:17], v[6:7]
	v_not_b32_e32 v14, v14
	v_cndmask_b32_e32 v17, v7, v17, vcc
	v_cndmask_b32_e32 v16, v6, v16, vcc
	v_sub_co_u32_e32 v18, vcc, v4, v34
	v_subbrev_co_u32_e32 v19, vcc, 0, v5, vcc
	v_not_b32_e32 v15, v15
	v_add_co_u32_e32 v14, vcc, v18, v14
	v_addc_co_u32_e32 v15, vcc, v19, v15, vcc
	v_add_co_u32_e32 v14, vcc, v14, v16
	v_addc_co_u32_e32 v15, vcc, v15, v17, vcc
	v_and_b32_e32 v16, 0xc0, v14
	v_mov_b32_e32 v17, 0
	s_mov_b64 s[0:1], 0xc0
	v_cmp_ne_u64_e32 vcc, s[0:1], v[16:17]
	v_mov_b32_e32 v24, 0
	v_mov_b32_e32 v26, 0
	;; [unrolled: 1-line block ×8, first 2 shown]
	s_and_saveexec_b64 s[0:1], vcc
	s_cbranch_execz .LBB49_33
; %bb.30:
	v_lshrrev_b32_e32 v16, 6, v14
	v_add_u32_e32 v16, 1, v16
	v_and_b32_e32 v18, 3, v16
	v_lshlrev_b64 v[16:17], 3, v[0:1]
	v_mov_b32_e32 v19, s13
	v_add_co_u32_e32 v16, vcc, s12, v16
	v_addc_co_u32_e32 v17, vcc, v19, v17, vcc
	v_sub_co_u32_e32 v18, vcc, 0, v18
	v_subb_co_u32_e64 v19, s[10:11], 0, 0, vcc
	v_mov_b32_e32 v20, 0
	v_mov_b32_e32 v22, 0
	;; [unrolled: 1-line block ×4, first 2 shown]
	s_mov_b64 s[6:7], 0
	v_mov_b32_e32 v21, 0
	v_mov_b32_e32 v23, 0
	v_mov_b32_e32 v27, 0
	v_mov_b32_e32 v25, 0
	s_movk_i32 s10, 0x2000
.LBB49_31:                              ; =>This Inner Loop Header: Depth=1
	global_load_dwordx2 v[28:29], v[16:17], off
	v_mov_b32_e32 v47, s9
	s_waitcnt vmcnt(0)
	v_sub_co_u32_e32 v32, vcc, v28, v4
	v_subb_co_u32_e32 v33, vcc, v29, v5, vcc
	v_lshlrev_b64 v[32:33], 5, v[32:33]
	global_load_dwordx4 v[28:31], v[12:13], off offset:48
	global_load_dwordx4 v[35:38], v[12:13], off offset:32
	;; [unrolled: 1-line block ×3, first 2 shown]
	global_load_dwordx4 v[43:46], v[12:13], off
	v_add_co_u32_e32 v32, vcc, s8, v32
	v_addc_co_u32_e32 v33, vcc, v47, v33, vcc
	global_load_dwordx4 v[47:50], v[32:33], off offset:16
	global_load_dwordx4 v[51:54], v[32:33], off
	s_waitcnt vmcnt(0)
	v_fma_f64 v[24:25], v[43:44], v[51:52], v[24:25]
	v_fma_f64 v[26:27], v[45:46], v[51:52], v[26:27]
	;; [unrolled: 1-line block ×8, first 2 shown]
	global_load_dwordx4 v[28:31], v[12:13], off offset:112
	global_load_dwordx4 v[20:23], v[12:13], off offset:96
	;; [unrolled: 1-line block ×4, first 2 shown]
	v_add_co_u32_e32 v12, vcc, s10, v12
	v_addc_co_u32_e32 v13, vcc, 0, v13, vcc
	v_add_co_u32_e32 v0, vcc, 64, v0
	v_addc_co_u32_e32 v1, vcc, 0, v1, vcc
	;; [unrolled: 2-line block ×4, first 2 shown]
	v_cmp_eq_u64_e32 vcc, 0, v[18:19]
	s_or_b64 s[6:7], vcc, s[6:7]
	s_waitcnt vmcnt(0)
	v_fma_f64 v[32:33], v[35:36], v[47:48], v[32:33]
	v_fma_f64 v[35:36], v[37:38], v[47:48], v[39:40]
	;; [unrolled: 1-line block ×8, first 2 shown]
	s_andn2_b64 exec, exec, s[6:7]
	s_cbranch_execnz .LBB49_31
; %bb.32:
	s_or_b64 exec, exec, s[6:7]
.LBB49_33:
	s_or_b64 exec, exec, s[0:1]
	s_mov_b64 s[0:1], 0xbf
	v_cmp_lt_u64_e32 vcc, s[0:1], v[14:15]
	s_and_saveexec_b64 s[6:7], vcc
	s_cbranch_execz .LBB49_37
; %bb.34:
	v_lshlrev_b64 v[14:15], 3, v[0:1]
	v_mov_b32_e32 v16, s13
	v_add_co_u32_e32 v14, vcc, s12, v14
	v_addc_co_u32_e32 v15, vcc, v16, v15, vcc
	v_add_co_u32_e32 v14, vcc, 0x400, v14
	v_addc_co_u32_e32 v15, vcc, 0, v15, vcc
	s_mov_b64 s[10:11], 0
	v_mov_b32_e32 v16, s9
	s_movk_i32 s9, 0x2000
	s_movk_i32 s12, 0x4000
	;; [unrolled: 1-line block ×3, first 2 shown]
.LBB49_35:                              ; =>This Inner Loop Header: Depth=1
	global_load_dwordx2 v[17:18], v[14:15], off offset:-1024
	global_load_dwordx4 v[28:31], v[12:13], off offset:48
	global_load_dwordx4 v[35:38], v[12:13], off offset:32
	;; [unrolled: 1-line block ×3, first 2 shown]
	global_load_dwordx4 v[43:46], v[12:13], off
	s_waitcnt vmcnt(4)
	v_sub_co_u32_e32 v17, vcc, v17, v4
	v_subb_co_u32_e32 v18, vcc, v18, v5, vcc
	v_lshlrev_b64 v[17:18], 5, v[17:18]
	v_add_co_u32_e32 v17, vcc, s8, v17
	v_addc_co_u32_e32 v18, vcc, v16, v18, vcc
	global_load_dwordx4 v[47:50], v[17:18], off offset:16
	global_load_dwordx4 v[51:54], v[17:18], off
	s_waitcnt vmcnt(0)
	v_fma_f64 v[17:18], v[43:44], v[51:52], v[24:25]
	v_fma_f64 v[24:25], v[45:46], v[51:52], v[26:27]
	;; [unrolled: 1-line block ×4, first 2 shown]
	v_add_co_u32_e32 v51, vcc, s9, v12
	v_addc_co_u32_e32 v52, vcc, 0, v13, vcc
	v_fma_f64 v[35:36], v[35:36], v[53:54], v[17:18]
	v_fma_f64 v[37:38], v[37:38], v[53:54], v[24:25]
	;; [unrolled: 1-line block ×4, first 2 shown]
	global_load_dwordx4 v[17:20], v[12:13], off offset:112
	global_load_dwordx4 v[21:24], v[12:13], off offset:96
	;; [unrolled: 1-line block ×4, first 2 shown]
	s_waitcnt vmcnt(1)
	v_fma_f64 v[25:26], v[25:26], v[47:48], v[39:40]
	s_waitcnt vmcnt(0)
	v_fma_f64 v[29:30], v[29:30], v[47:48], v[35:36]
	v_fma_f64 v[31:32], v[31:32], v[47:48], v[37:38]
	;; [unrolled: 1-line block ×4, first 2 shown]
	global_load_dwordx2 v[17:18], v[14:15], off offset:-512
	v_fma_f64 v[43:44], v[21:22], v[49:50], v[29:30]
	v_fma_f64 v[45:46], v[23:24], v[49:50], v[31:32]
	;; [unrolled: 1-line block ×3, first 2 shown]
	s_waitcnt vmcnt(0)
	v_sub_co_u32_e32 v35, vcc, v17, v4
	v_subb_co_u32_e32 v36, vcc, v18, v5, vcc
	v_lshlrev_b64 v[35:36], 5, v[35:36]
	global_load_dwordx4 v[17:20], v[51:52], off
	global_load_dwordx4 v[21:24], v[51:52], off offset:48
	global_load_dwordx4 v[25:28], v[51:52], off offset:32
	;; [unrolled: 1-line block ×3, first 2 shown]
	v_add_co_u32_e32 v53, vcc, s8, v35
	v_addc_co_u32_e32 v54, vcc, v16, v36, vcc
	global_load_dwordx4 v[35:38], v[53:54], off offset:16
	global_load_dwordx4 v[39:42], v[53:54], off
	s_waitcnt vmcnt(0)
	v_fma_f64 v[17:18], v[17:18], v[39:40], v[43:44]
	v_fma_f64 v[19:20], v[19:20], v[39:40], v[45:46]
	;; [unrolled: 1-line block ×8, first 2 shown]
	global_load_dwordx4 v[17:20], v[51:52], off offset:112
	global_load_dwordx4 v[21:24], v[51:52], off offset:96
	;; [unrolled: 1-line block ×4, first 2 shown]
	s_waitcnt vmcnt(1)
	v_fma_f64 v[25:26], v[25:26], v[35:36], v[45:46]
	s_waitcnt vmcnt(0)
	v_fma_f64 v[29:30], v[29:30], v[35:36], v[39:40]
	v_fma_f64 v[31:32], v[31:32], v[35:36], v[43:44]
	;; [unrolled: 1-line block ×4, first 2 shown]
	global_load_dwordx2 v[17:18], v[14:15], off
	v_fma_f64 v[43:44], v[21:22], v[37:38], v[29:30]
	v_fma_f64 v[45:46], v[23:24], v[37:38], v[31:32]
	;; [unrolled: 1-line block ×3, first 2 shown]
	s_waitcnt vmcnt(0)
	v_sub_co_u32_e32 v35, vcc, v17, v4
	v_subb_co_u32_e32 v36, vcc, v18, v5, vcc
	v_add_co_u32_e32 v51, vcc, s12, v12
	v_lshlrev_b64 v[35:36], 5, v[35:36]
	v_addc_co_u32_e32 v52, vcc, 0, v13, vcc
	v_add_co_u32_e32 v53, vcc, s8, v35
	v_addc_co_u32_e32 v54, vcc, v16, v36, vcc
	global_load_dwordx4 v[17:20], v[51:52], off
	global_load_dwordx4 v[21:24], v[51:52], off offset:48
	global_load_dwordx4 v[25:28], v[51:52], off offset:32
	;; [unrolled: 1-line block ×4, first 2 shown]
	global_load_dwordx4 v[39:42], v[53:54], off
	s_waitcnt vmcnt(0)
	v_fma_f64 v[17:18], v[17:18], v[39:40], v[43:44]
	v_fma_f64 v[19:20], v[19:20], v[39:40], v[45:46]
	;; [unrolled: 1-line block ×8, first 2 shown]
	global_load_dwordx4 v[17:20], v[51:52], off offset:112
	global_load_dwordx4 v[21:24], v[51:52], off offset:96
	;; [unrolled: 1-line block ×4, first 2 shown]
	s_waitcnt vmcnt(1)
	v_fma_f64 v[25:26], v[25:26], v[35:36], v[45:46]
	s_waitcnt vmcnt(0)
	v_fma_f64 v[29:30], v[29:30], v[35:36], v[39:40]
	v_fma_f64 v[31:32], v[31:32], v[35:36], v[43:44]
	;; [unrolled: 1-line block ×4, first 2 shown]
	global_load_dwordx2 v[17:18], v[14:15], off offset:512
	v_fma_f64 v[43:44], v[21:22], v[37:38], v[29:30]
	v_fma_f64 v[45:46], v[23:24], v[37:38], v[31:32]
	;; [unrolled: 1-line block ×3, first 2 shown]
	s_waitcnt vmcnt(0)
	v_sub_co_u32_e32 v35, vcc, v17, v4
	v_subb_co_u32_e32 v36, vcc, v18, v5, vcc
	v_add_co_u32_e32 v51, vcc, s13, v12
	v_lshlrev_b64 v[35:36], 5, v[35:36]
	v_addc_co_u32_e32 v52, vcc, 0, v13, vcc
	v_add_co_u32_e32 v53, vcc, s8, v35
	v_addc_co_u32_e32 v54, vcc, v16, v36, vcc
	global_load_dwordx4 v[17:20], v[51:52], off
	global_load_dwordx4 v[21:24], v[51:52], off offset:48
	global_load_dwordx4 v[25:28], v[51:52], off offset:32
	;; [unrolled: 1-line block ×4, first 2 shown]
	global_load_dwordx4 v[39:42], v[53:54], off
	v_add_co_u32_e32 v0, vcc, 0x100, v0
	v_addc_co_u32_e32 v1, vcc, 0, v1, vcc
	v_add_co_u32_e32 v14, vcc, 0x800, v14
	v_addc_co_u32_e32 v15, vcc, 0, v15, vcc
	v_cmp_ge_i64_e64 s[0:1], v[0:1], v[6:7]
	v_add_co_u32_e32 v12, vcc, 0x8000, v12
	v_addc_co_u32_e32 v13, vcc, 0, v13, vcc
	s_or_b64 s[10:11], s[0:1], s[10:11]
	s_waitcnt vmcnt(0)
	v_fma_f64 v[17:18], v[17:18], v[39:40], v[43:44]
	v_fma_f64 v[19:20], v[19:20], v[39:40], v[45:46]
	;; [unrolled: 1-line block ×8, first 2 shown]
	global_load_dwordx4 v[17:20], v[51:52], off offset:112
	global_load_dwordx4 v[24:27], v[51:52], off offset:96
	;; [unrolled: 1-line block ×4, first 2 shown]
	s_waitcnt vmcnt(1)
	v_fma_f64 v[21:22], v[28:29], v[35:36], v[21:22]
	s_waitcnt vmcnt(0)
	v_fma_f64 v[39:40], v[39:40], v[35:36], v[43:44]
	v_fma_f64 v[41:42], v[41:42], v[35:36], v[45:46]
	;; [unrolled: 1-line block ×7, first 2 shown]
	s_andn2_b64 exec, exec, s[10:11]
	s_cbranch_execnz .LBB49_35
; %bb.36:
	s_or_b64 exec, exec, s[10:11]
.LBB49_37:
	s_or_b64 exec, exec, s[6:7]
.LBB49_38:
	s_or_b64 exec, exec, s[2:3]
.LBB49_39:
	v_mov_b32_dpp v0, v24 row_shr:1 row_mask:0xf bank_mask:0xf
	v_mov_b32_dpp v1, v25 row_shr:1 row_mask:0xf bank_mask:0xf
	v_add_f64 v[0:1], v[24:25], v[0:1]
	v_mov_b32_dpp v4, v26 row_shr:1 row_mask:0xf bank_mask:0xf
	v_mov_b32_dpp v5, v27 row_shr:1 row_mask:0xf bank_mask:0xf
	v_add_f64 v[4:5], v[26:27], v[4:5]
	;; [unrolled: 3-line block ×3, first 2 shown]
	v_cmp_eq_u32_e32 vcc, 63, v34
	v_mov_b32_dpp v6, v0 row_shr:2 row_mask:0xf bank_mask:0xf
	v_mov_b32_dpp v7, v1 row_shr:2 row_mask:0xf bank_mask:0xf
	v_add_f64 v[0:1], v[0:1], v[6:7]
	v_mov_b32_dpp v6, v22 row_shr:1 row_mask:0xf bank_mask:0xf
	v_mov_b32_dpp v7, v23 row_shr:1 row_mask:0xf bank_mask:0xf
	v_add_f64 v[6:7], v[22:23], v[6:7]
	v_mov_b32_dpp v14, v4 row_shr:2 row_mask:0xf bank_mask:0xf
	v_mov_b32_dpp v15, v0 row_shr:4 row_mask:0xf bank_mask:0xe
	v_mov_b32_dpp v16, v1 row_shr:4 row_mask:0xf bank_mask:0xe
	v_add_f64 v[0:1], v[0:1], v[15:16]
	v_mov_b32_dpp v15, v5 row_shr:2 row_mask:0xf bank_mask:0xf
	;; [unrolled: 4-line block ×3, first 2 shown]
	v_add_f64 v[6:7], v[6:7], v[16:17]
	v_mov_b32_dpp v15, v13 row_shr:2 row_mask:0xf bank_mask:0xf
	v_add_f64 v[12:13], v[12:13], v[14:15]
	v_mov_b32_dpp v16, v0 row_shr:8 row_mask:0xf bank_mask:0xc
	v_mov_b32_dpp v17, v1 row_shr:8 row_mask:0xf bank_mask:0xc
	v_add_f64 v[0:1], v[0:1], v[16:17]
	v_mov_b32_dpp v14, v4 row_shr:4 row_mask:0xf bank_mask:0xe
	v_mov_b32_dpp v15, v5 row_shr:4 row_mask:0xf bank_mask:0xe
	;; [unrolled: 1-line block ×3, first 2 shown]
	v_add_f64 v[4:5], v[4:5], v[14:15]
	v_mov_b32_dpp v17, v7 row_shr:4 row_mask:0xf bank_mask:0xe
	v_add_f64 v[6:7], v[6:7], v[16:17]
	v_mov_b32_dpp v15, v12 row_shr:4 row_mask:0xf bank_mask:0xe
	v_mov_b32_dpp v16, v13 row_shr:4 row_mask:0xf bank_mask:0xe
	v_add_f64 v[12:13], v[12:13], v[15:16]
	v_mov_b32_dpp v14, v0 row_bcast:15 row_mask:0xa bank_mask:0xf
	v_mov_b32_dpp v15, v1 row_bcast:15 row_mask:0xa bank_mask:0xf
	v_mov_b32_dpp v16, v4 row_shr:8 row_mask:0xf bank_mask:0xc
	v_mov_b32_dpp v17, v5 row_shr:8 row_mask:0xf bank_mask:0xc
	v_add_f64 v[4:5], v[4:5], v[16:17]
	v_mov_b32_dpp v16, v6 row_shr:8 row_mask:0xf bank_mask:0xc
	v_mov_b32_dpp v17, v7 row_shr:8 row_mask:0xf bank_mask:0xc
	v_add_f64 v[6:7], v[6:7], v[16:17]
	;; [unrolled: 3-line block ×3, first 2 shown]
	v_add_f64 v[0:1], v[0:1], v[14:15]
	v_mov_b32_dpp v14, v4 row_bcast:15 row_mask:0xa bank_mask:0xf
	v_mov_b32_dpp v15, v5 row_bcast:15 row_mask:0xa bank_mask:0xf
	v_add_f64 v[4:5], v[4:5], v[14:15]
	v_mov_b32_dpp v14, v6 row_bcast:15 row_mask:0xa bank_mask:0xf
	v_mov_b32_dpp v15, v7 row_bcast:15 row_mask:0xa bank_mask:0xf
	;; [unrolled: 3-line block ×4, first 2 shown]
	v_mov_b32_dpp v18, v4 row_bcast:31 row_mask:0xc bank_mask:0xf
	v_mov_b32_dpp v19, v5 row_bcast:31 row_mask:0xc bank_mask:0xf
	;; [unrolled: 1-line block ×6, first 2 shown]
	s_and_b64 exec, exec, vcc
	s_cbranch_execz .LBB49_10
; %bb.40:
	v_add_f64 v[0:1], v[0:1], v[20:21]
	v_add_f64 v[18:19], v[4:5], v[18:19]
	;; [unrolled: 1-line block ×4, first 2 shown]
	v_cmp_eq_f64_e32 vcc, 0, v[8:9]
	s_load_dwordx2 s[0:1], s[4:5], 0x58
	v_lshlrev_b64 v[10:11], 5, v[10:11]
	v_mul_f64 v[4:5], v[2:3], v[0:1]
	v_mul_f64 v[6:7], v[2:3], v[18:19]
	;; [unrolled: 1-line block ×4, first 2 shown]
	s_and_saveexec_b64 s[2:3], vcc
	s_xor_b64 s[2:3], exec, s[2:3]
	s_cbranch_execz .LBB49_42
; %bb.41:
	s_waitcnt lgkmcnt(0)
	v_mov_b32_e32 v9, s1
	v_add_co_u32_e32 v8, vcc, s0, v10
	v_addc_co_u32_e32 v9, vcc, v9, v11, vcc
	global_store_dwordx4 v[8:9], v[4:7], off
	global_store_dwordx4 v[8:9], v[0:3], off offset:16
                                        ; implicit-def: $vgpr10_vgpr11
                                        ; implicit-def: $vgpr8_vgpr9
                                        ; implicit-def: $vgpr4_vgpr5
                                        ; implicit-def: $vgpr0_vgpr1
.LBB49_42:
	s_andn2_saveexec_b64 s[2:3], s[2:3]
	s_cbranch_execz .LBB49_10
; %bb.43:
	s_waitcnt lgkmcnt(0)
	v_mov_b32_e32 v12, s1
	v_add_co_u32_e32 v18, vcc, s0, v10
	v_addc_co_u32_e32 v19, vcc, v12, v11, vcc
	global_load_dwordx4 v[10:13], v[18:19], off
	global_load_dwordx4 v[14:17], v[18:19], off offset:16
	s_waitcnt vmcnt(1)
	v_fma_f64 v[4:5], v[8:9], v[10:11], v[4:5]
	v_fma_f64 v[6:7], v[8:9], v[12:13], v[6:7]
	s_waitcnt vmcnt(0)
	v_fma_f64 v[0:1], v[8:9], v[14:15], v[0:1]
	v_fma_f64 v[2:3], v[8:9], v[16:17], v[2:3]
	global_store_dwordx4 v[18:19], v[4:7], off
	global_store_dwordx4 v[18:19], v[0:3], off offset:16
	s_endpgm
	.section	.rodata,"a",@progbits
	.p2align	6, 0x0
	.amdhsa_kernel _ZN9rocsparseL18bsrxmvn_4x4_kernelILj128ELj64EdlldddEEvT3_20rocsparse_direction_NS_24const_host_device_scalarIT1_EES1_PKS1_PKT2_SA_S7_PKT4_PKT5_S5_PT6_21rocsparse_index_base_b
		.amdhsa_group_segment_fixed_size 0
		.amdhsa_private_segment_fixed_size 0
		.amdhsa_kernarg_size 104
		.amdhsa_user_sgpr_count 6
		.amdhsa_user_sgpr_private_segment_buffer 1
		.amdhsa_user_sgpr_dispatch_ptr 0
		.amdhsa_user_sgpr_queue_ptr 0
		.amdhsa_user_sgpr_kernarg_segment_ptr 1
		.amdhsa_user_sgpr_dispatch_id 0
		.amdhsa_user_sgpr_flat_scratch_init 0
		.amdhsa_user_sgpr_private_segment_size 0
		.amdhsa_uses_dynamic_stack 0
		.amdhsa_system_sgpr_private_segment_wavefront_offset 0
		.amdhsa_system_sgpr_workgroup_id_x 1
		.amdhsa_system_sgpr_workgroup_id_y 0
		.amdhsa_system_sgpr_workgroup_id_z 0
		.amdhsa_system_sgpr_workgroup_info 0
		.amdhsa_system_vgpr_workitem_id 0
		.amdhsa_next_free_vgpr 63
		.amdhsa_next_free_sgpr 19
		.amdhsa_reserve_vcc 1
		.amdhsa_reserve_flat_scratch 0
		.amdhsa_float_round_mode_32 0
		.amdhsa_float_round_mode_16_64 0
		.amdhsa_float_denorm_mode_32 3
		.amdhsa_float_denorm_mode_16_64 3
		.amdhsa_dx10_clamp 1
		.amdhsa_ieee_mode 1
		.amdhsa_fp16_overflow 0
		.amdhsa_exception_fp_ieee_invalid_op 0
		.amdhsa_exception_fp_denorm_src 0
		.amdhsa_exception_fp_ieee_div_zero 0
		.amdhsa_exception_fp_ieee_overflow 0
		.amdhsa_exception_fp_ieee_underflow 0
		.amdhsa_exception_fp_ieee_inexact 0
		.amdhsa_exception_int_div_zero 0
	.end_amdhsa_kernel
	.section	.text._ZN9rocsparseL18bsrxmvn_4x4_kernelILj128ELj64EdlldddEEvT3_20rocsparse_direction_NS_24const_host_device_scalarIT1_EES1_PKS1_PKT2_SA_S7_PKT4_PKT5_S5_PT6_21rocsparse_index_base_b,"axG",@progbits,_ZN9rocsparseL18bsrxmvn_4x4_kernelILj128ELj64EdlldddEEvT3_20rocsparse_direction_NS_24const_host_device_scalarIT1_EES1_PKS1_PKT2_SA_S7_PKT4_PKT5_S5_PT6_21rocsparse_index_base_b,comdat
.Lfunc_end49:
	.size	_ZN9rocsparseL18bsrxmvn_4x4_kernelILj128ELj64EdlldddEEvT3_20rocsparse_direction_NS_24const_host_device_scalarIT1_EES1_PKS1_PKT2_SA_S7_PKT4_PKT5_S5_PT6_21rocsparse_index_base_b, .Lfunc_end49-_ZN9rocsparseL18bsrxmvn_4x4_kernelILj128ELj64EdlldddEEvT3_20rocsparse_direction_NS_24const_host_device_scalarIT1_EES1_PKS1_PKT2_SA_S7_PKT4_PKT5_S5_PT6_21rocsparse_index_base_b
                                        ; -- End function
	.set _ZN9rocsparseL18bsrxmvn_4x4_kernelILj128ELj64EdlldddEEvT3_20rocsparse_direction_NS_24const_host_device_scalarIT1_EES1_PKS1_PKT2_SA_S7_PKT4_PKT5_S5_PT6_21rocsparse_index_base_b.num_vgpr, 63
	.set _ZN9rocsparseL18bsrxmvn_4x4_kernelILj128ELj64EdlldddEEvT3_20rocsparse_direction_NS_24const_host_device_scalarIT1_EES1_PKS1_PKT2_SA_S7_PKT4_PKT5_S5_PT6_21rocsparse_index_base_b.num_agpr, 0
	.set _ZN9rocsparseL18bsrxmvn_4x4_kernelILj128ELj64EdlldddEEvT3_20rocsparse_direction_NS_24const_host_device_scalarIT1_EES1_PKS1_PKT2_SA_S7_PKT4_PKT5_S5_PT6_21rocsparse_index_base_b.numbered_sgpr, 19
	.set _ZN9rocsparseL18bsrxmvn_4x4_kernelILj128ELj64EdlldddEEvT3_20rocsparse_direction_NS_24const_host_device_scalarIT1_EES1_PKS1_PKT2_SA_S7_PKT4_PKT5_S5_PT6_21rocsparse_index_base_b.num_named_barrier, 0
	.set _ZN9rocsparseL18bsrxmvn_4x4_kernelILj128ELj64EdlldddEEvT3_20rocsparse_direction_NS_24const_host_device_scalarIT1_EES1_PKS1_PKT2_SA_S7_PKT4_PKT5_S5_PT6_21rocsparse_index_base_b.private_seg_size, 0
	.set _ZN9rocsparseL18bsrxmvn_4x4_kernelILj128ELj64EdlldddEEvT3_20rocsparse_direction_NS_24const_host_device_scalarIT1_EES1_PKS1_PKT2_SA_S7_PKT4_PKT5_S5_PT6_21rocsparse_index_base_b.uses_vcc, 1
	.set _ZN9rocsparseL18bsrxmvn_4x4_kernelILj128ELj64EdlldddEEvT3_20rocsparse_direction_NS_24const_host_device_scalarIT1_EES1_PKS1_PKT2_SA_S7_PKT4_PKT5_S5_PT6_21rocsparse_index_base_b.uses_flat_scratch, 0
	.set _ZN9rocsparseL18bsrxmvn_4x4_kernelILj128ELj64EdlldddEEvT3_20rocsparse_direction_NS_24const_host_device_scalarIT1_EES1_PKS1_PKT2_SA_S7_PKT4_PKT5_S5_PT6_21rocsparse_index_base_b.has_dyn_sized_stack, 0
	.set _ZN9rocsparseL18bsrxmvn_4x4_kernelILj128ELj64EdlldddEEvT3_20rocsparse_direction_NS_24const_host_device_scalarIT1_EES1_PKS1_PKT2_SA_S7_PKT4_PKT5_S5_PT6_21rocsparse_index_base_b.has_recursion, 0
	.set _ZN9rocsparseL18bsrxmvn_4x4_kernelILj128ELj64EdlldddEEvT3_20rocsparse_direction_NS_24const_host_device_scalarIT1_EES1_PKS1_PKT2_SA_S7_PKT4_PKT5_S5_PT6_21rocsparse_index_base_b.has_indirect_call, 0
	.section	.AMDGPU.csdata,"",@progbits
; Kernel info:
; codeLenInByte = 4864
; TotalNumSgprs: 23
; NumVgprs: 63
; ScratchSize: 0
; MemoryBound: 1
; FloatMode: 240
; IeeeMode: 1
; LDSByteSize: 0 bytes/workgroup (compile time only)
; SGPRBlocks: 2
; VGPRBlocks: 15
; NumSGPRsForWavesPerEU: 23
; NumVGPRsForWavesPerEU: 63
; Occupancy: 4
; WaveLimiterHint : 1
; COMPUTE_PGM_RSRC2:SCRATCH_EN: 0
; COMPUTE_PGM_RSRC2:USER_SGPR: 6
; COMPUTE_PGM_RSRC2:TRAP_HANDLER: 0
; COMPUTE_PGM_RSRC2:TGID_X_EN: 1
; COMPUTE_PGM_RSRC2:TGID_Y_EN: 0
; COMPUTE_PGM_RSRC2:TGID_Z_EN: 0
; COMPUTE_PGM_RSRC2:TIDIG_COMP_CNT: 0
	.section	.text._ZN9rocsparseL18bsrxmvn_4x4_kernelILj128ELj4E21rocsparse_complex_numIfEllS2_S2_S2_EEvT3_20rocsparse_direction_NS_24const_host_device_scalarIT1_EES3_PKS3_PKT2_SC_S9_PKT4_PKT5_S7_PT6_21rocsparse_index_base_b,"axG",@progbits,_ZN9rocsparseL18bsrxmvn_4x4_kernelILj128ELj4E21rocsparse_complex_numIfEllS2_S2_S2_EEvT3_20rocsparse_direction_NS_24const_host_device_scalarIT1_EES3_PKS3_PKT2_SC_S9_PKT4_PKT5_S7_PT6_21rocsparse_index_base_b,comdat
	.globl	_ZN9rocsparseL18bsrxmvn_4x4_kernelILj128ELj4E21rocsparse_complex_numIfEllS2_S2_S2_EEvT3_20rocsparse_direction_NS_24const_host_device_scalarIT1_EES3_PKS3_PKT2_SC_S9_PKT4_PKT5_S7_PT6_21rocsparse_index_base_b ; -- Begin function _ZN9rocsparseL18bsrxmvn_4x4_kernelILj128ELj4E21rocsparse_complex_numIfEllS2_S2_S2_EEvT3_20rocsparse_direction_NS_24const_host_device_scalarIT1_EES3_PKS3_PKT2_SC_S9_PKT4_PKT5_S7_PT6_21rocsparse_index_base_b
	.p2align	8
	.type	_ZN9rocsparseL18bsrxmvn_4x4_kernelILj128ELj4E21rocsparse_complex_numIfEllS2_S2_S2_EEvT3_20rocsparse_direction_NS_24const_host_device_scalarIT1_EES3_PKS3_PKT2_SC_S9_PKT4_PKT5_S7_PT6_21rocsparse_index_base_b,@function
_ZN9rocsparseL18bsrxmvn_4x4_kernelILj128ELj4E21rocsparse_complex_numIfEllS2_S2_S2_EEvT3_20rocsparse_direction_NS_24const_host_device_scalarIT1_EES3_PKS3_PKT2_SC_S9_PKT4_PKT5_S7_PT6_21rocsparse_index_base_b: ; @_ZN9rocsparseL18bsrxmvn_4x4_kernelILj128ELj4E21rocsparse_complex_numIfEllS2_S2_S2_EEvT3_20rocsparse_direction_NS_24const_host_device_scalarIT1_EES3_PKS3_PKT2_SC_S9_PKT4_PKT5_S7_PT6_21rocsparse_index_base_b
; %bb.0:
	s_load_dwordx4 s[0:3], s[4:5], 0x10
	s_load_dwordx2 s[8:9], s[4:5], 0x60
	s_add_u32 s7, s4, 16
	s_addc_u32 s12, s5, 0
	s_add_u32 s13, s4, 0x50
	s_load_dwordx2 s[10:11], s[4:5], 0x50
	s_addc_u32 s14, s5, 0
	s_waitcnt lgkmcnt(0)
	s_bitcmp1_b32 s9, 0
	s_cselect_b32 s1, s12, s1
	s_cselect_b32 s0, s7, s0
	v_mov_b32_e32 v1, s0
	v_mov_b32_e32 v2, s1
	flat_load_dwordx2 v[10:11], v[1:2]
	s_cselect_b32 s0, s14, s11
	s_cselect_b32 s1, s13, s10
	v_mov_b32_e32 v1, s1
	v_mov_b32_e32 v2, s0
	flat_load_dwordx2 v[8:9], v[1:2]
	s_waitcnt vmcnt(0) lgkmcnt(0)
	v_cmp_eq_f32_e32 vcc, 0, v10
	v_cmp_eq_f32_e64 s[0:1], 0, v11
	s_and_b64 s[12:13], vcc, s[0:1]
	s_mov_b64 s[0:1], -1
	s_and_saveexec_b64 s[10:11], s[12:13]
; %bb.1:
	v_cmp_neq_f32_e32 vcc, 1.0, v8
	v_cmp_neq_f32_e64 s[0:1], 0, v9
	s_or_b64 s[0:1], vcc, s[0:1]
	s_orn2_b64 s[0:1], s[0:1], exec
; %bb.2:
	s_or_b64 exec, exec, s[10:11]
	s_and_saveexec_b64 s[10:11], s[0:1]
	s_cbranch_execz .LBB50_8
; %bb.3:
	s_load_dwordx2 s[10:11], s[4:5], 0x20
	v_lshrrev_b32_e32 v1, 2, v0
	v_lshl_or_b32 v3, s6, 5, v1
	v_mov_b32_e32 v4, 0
	s_mov_b64 s[0:1], 0
	s_waitcnt lgkmcnt(0)
	s_cmp_lg_u64 s[10:11], 0
	s_cbranch_scc0 .LBB50_9
; %bb.4:
	v_cmp_gt_i64_e32 vcc, s[2:3], v[3:4]
                                        ; implicit-def: $vgpr12_vgpr13
                                        ; implicit-def: $vgpr1_vgpr2
	s_and_saveexec_b64 s[2:3], vcc
	s_xor_b64 s[2:3], exec, s[2:3]
	s_cbranch_execz .LBB50_6
; %bb.5:
	v_lshlrev_b64 v[1:2], 3, v[3:4]
	v_mov_b32_e32 v5, s11
	v_add_co_u32_e32 v1, vcc, s10, v1
	v_addc_co_u32_e32 v2, vcc, v5, v2, vcc
	global_load_dwordx2 v[1:2], v[1:2], off
	s_mov_b32 s9, 0
	s_mov_b64 s[0:1], exec
	s_waitcnt vmcnt(0)
	v_subrev_co_u32_e32 v12, vcc, s8, v1
	v_subbrev_co_u32_e32 v13, vcc, 0, v2, vcc
	v_mov_b32_e32 v1, s8
	v_mov_b32_e32 v2, s9
.LBB50_6:
	s_or_b64 exec, exec, s[2:3]
.LBB50_7:
	s_and_b64 exec, exec, s[0:1]
	s_cbranch_execnz .LBB50_13
.LBB50_8:
	s_endpgm
.LBB50_9:
                                        ; implicit-def: $vgpr12_vgpr13
                                        ; implicit-def: $vgpr1_vgpr2
	s_cbranch_execz .LBB50_7
; %bb.10:
	s_load_dwordx2 s[2:3], s[4:5], 0x0
	s_waitcnt lgkmcnt(0)
	v_cmp_gt_i64_e32 vcc, s[2:3], v[3:4]
	s_and_saveexec_b64 s[2:3], vcc
; %bb.11:
	s_mov_b32 s9, 0
	s_or_b64 s[0:1], s[0:1], exec
; %bb.12:
	s_or_b64 exec, exec, s[2:3]
	v_mov_b32_e32 v1, s8
	v_mov_b32_e32 v13, v4
	;; [unrolled: 1-line block ×4, first 2 shown]
	s_and_b64 exec, exec, s[0:1]
	s_cbranch_execz .LBB50_8
.LBB50_13:
	s_load_dwordx8 s[8:15], s[4:5], 0x28
	v_lshlrev_b64 v[3:4], 3, v[12:13]
	v_and_b32_e32 v0, 3, v0
	s_waitcnt lgkmcnt(0)
	v_mov_b32_e32 v6, s9
	v_add_co_u32_e32 v5, vcc, s8, v3
	v_addc_co_u32_e32 v6, vcc, v6, v4, vcc
	global_load_dwordx2 v[18:19], v[5:6], off
	v_add_co_u32_e32 v5, vcc, 8, v5
	v_addc_co_u32_e32 v6, vcc, 0, v6, vcc
	v_mov_b32_e32 v7, s11
	v_add_co_u32_e32 v3, vcc, s10, v3
	s_cmp_eq_u64 s[10:11], 0
	v_addc_co_u32_e32 v4, vcc, v7, v4, vcc
	s_cselect_b64 vcc, -1, 0
	v_cndmask_b32_e32 v4, v4, v6, vcc
	v_cndmask_b32_e32 v3, v3, v5, vcc
	global_load_dwordx2 v[5:6], v[3:4], off
	s_load_dword s0, s[4:5], 0x8
	s_load_dwordx2 s[10:11], s[4:5], 0x48
	v_mov_b32_e32 v16, s15
	v_mov_b32_e32 v7, 0
	s_waitcnt lgkmcnt(0)
	s_cmp_eq_u32 s0, 1
	s_waitcnt vmcnt(1)
	v_sub_co_u32_e32 v3, vcc, v18, v1
	v_subb_co_u32_e32 v4, vcc, v19, v2, vcc
	v_add_co_u32_e32 v3, vcc, v3, v0
	v_addc_co_u32_e32 v4, vcc, 0, v4, vcc
	v_lshlrev_b64 v[14:15], 7, v[3:4]
	s_waitcnt vmcnt(0)
	v_sub_co_u32_e32 v5, vcc, v5, v1
	v_subb_co_u32_e32 v6, vcc, v6, v2, vcc
	v_cmp_lt_i64_e64 s[0:1], v[3:4], v[5:6]
	v_add_co_u32_e32 v14, vcc, s14, v14
	v_addc_co_u32_e32 v15, vcc, v16, v15, vcc
	s_cbranch_scc1 .LBB50_25
; %bb.14:
	v_mov_b32_e32 v31, 0
	v_mov_b32_e32 v32, 0
	;; [unrolled: 1-line block ×7, first 2 shown]
	s_and_saveexec_b64 s[14:15], s[0:1]
	s_cbranch_execz .LBB50_24
; %bb.15:
	v_or_b32_e32 v7, 4, v0
	v_sub_co_u32_e32 v7, vcc, v7, v1
	v_subb_co_u32_e32 v17, vcc, 0, v2, vcc
	v_add_co_u32_e32 v16, vcc, v7, v18
	v_addc_co_u32_e32 v17, vcc, v17, v19, vcc
	v_cmp_gt_i64_e32 vcc, v[16:17], v[5:6]
	v_not_b32_e32 v20, v18
	v_cndmask_b32_e32 v7, v6, v17, vcc
	v_cndmask_b32_e32 v16, v5, v16, vcc
	v_sub_co_u32_e32 v21, vcc, v1, v0
	v_subbrev_co_u32_e32 v22, vcc, 0, v2, vcc
	v_not_b32_e32 v17, v19
	v_add_co_u32_e32 v20, vcc, v21, v20
	v_addc_co_u32_e32 v17, vcc, v22, v17, vcc
	v_add_co_u32_e32 v24, vcc, v20, v16
	v_addc_co_u32_e32 v25, vcc, v17, v7, vcc
	v_and_b32_e32 v16, 12, v24
	v_mov_b32_e32 v17, 0
	v_cmp_ne_u64_e32 vcc, 12, v[16:17]
	v_mov_b32_e32 v21, v15
	v_mov_b32_e32 v23, v4
	;; [unrolled: 1-line block ×11, first 2 shown]
	s_and_saveexec_b64 s[16:17], vcc
	s_cbranch_execz .LBB50_19
; %bb.16:
	v_lshlrev_b64 v[16:17], 3, v[3:4]
	v_lshrrev_b32_e32 v7, 2, v24
	v_add_u32_e32 v7, 1, v7
	v_mov_b32_e32 v21, s13
	v_add_co_u32_e32 v26, vcc, s12, v16
	v_and_b32_e32 v20, 3, v7
	v_addc_co_u32_e32 v27, vcc, v21, v17, vcc
	v_sub_co_u32_e32 v28, vcc, 0, v20
	v_mov_b32_e32 v23, v4
	v_mov_b32_e32 v21, v15
	;; [unrolled: 1-line block ×3, first 2 shown]
	s_mov_b64 s[18:19], 0
	v_subb_co_u32_e64 v29, s[2:3], 0, 0, vcc
	s_movk_i32 s20, 0x200
	v_mov_b32_e32 v35, s11
	v_mov_b32_e32 v22, v3
	;; [unrolled: 1-line block ×10, first 2 shown]
.LBB50_17:                              ; =>This Inner Loop Header: Depth=1
	global_load_dwordx2 v[44:45], v[26:27], off
	global_load_dwordx4 v[36:39], v[20:21], off
	global_load_dwordx4 v[40:43], v[20:21], off offset:32
	v_add_co_u32_e64 v22, s[2:3], 4, v22
	v_add_co_u32_e64 v26, s[6:7], 32, v26
	v_add_co_u32_e64 v28, s[8:9], 1, v28
	v_addc_co_u32_e64 v23, s[2:3], 0, v23, s[2:3]
	v_addc_co_u32_e64 v27, s[2:3], 0, v27, s[6:7]
	v_addc_co_u32_e64 v29, s[2:3], 0, v29, s[8:9]
	v_cmp_eq_u64_e64 s[2:3], 0, v[28:29]
	s_or_b64 s[18:19], s[2:3], s[18:19]
	s_waitcnt vmcnt(2)
	v_sub_co_u32_e32 v44, vcc, v44, v1
	v_subb_co_u32_e32 v45, vcc, v45, v2, vcc
	v_lshlrev_b64 v[44:45], 5, v[44:45]
	v_add_co_u32_e32 v48, vcc, s10, v44
	v_addc_co_u32_e32 v49, vcc, v35, v45, vcc
	global_load_dwordx4 v[44:47], v[48:49], off
	s_waitcnt vmcnt(0)
	v_fmac_f32_e32 v31, v36, v44
	v_fmac_f32_e32 v7, v37, v44
	v_fma_f32 v31, -v37, v45, v31
	v_fmac_f32_e32 v7, v36, v45
	v_fmac_f32_e32 v31, v38, v46
	;; [unrolled: 1-line block ×3, first 2 shown]
	v_fma_f32 v50, -v39, v47, v31
	v_fmac_f32_e32 v7, v38, v47
	global_load_dwordx4 v[36:39], v[20:21], off offset:64
	v_fmac_f32_e32 v33, v40, v44
	v_fmac_f32_e32 v17, v41, v44
	v_fma_f32 v31, -v41, v45, v33
	v_fmac_f32_e32 v17, v40, v45
	v_fmac_f32_e32 v31, v42, v46
	;; [unrolled: 1-line block ×3, first 2 shown]
	v_fma_f32 v52, -v43, v47, v31
	v_fmac_f32_e32 v17, v42, v47
	global_load_dwordx4 v[40:43], v[20:21], off offset:96
	s_waitcnt vmcnt(1)
	v_fmac_f32_e32 v34, v36, v44
	v_fmac_f32_e32 v30, v37, v44
	v_fma_f32 v31, -v37, v45, v34
	v_fmac_f32_e32 v30, v36, v45
	v_fmac_f32_e32 v31, v38, v46
	;; [unrolled: 1-line block ×3, first 2 shown]
	v_fma_f32 v53, -v39, v47, v31
	v_fmac_f32_e32 v30, v38, v47
	global_load_dwordx4 v[36:39], v[20:21], off offset:48
	s_waitcnt vmcnt(1)
	v_fmac_f32_e32 v32, v40, v44
	v_fmac_f32_e32 v16, v41, v44
	v_fma_f32 v31, -v41, v45, v32
	v_fmac_f32_e32 v16, v40, v45
	v_fmac_f32_e32 v31, v42, v46
	;; [unrolled: 1-line block ×3, first 2 shown]
	v_fma_f32 v54, -v43, v47, v31
	v_fmac_f32_e32 v16, v42, v47
	global_load_dwordx4 v[31:34], v[20:21], off offset:16
	global_load_dwordx4 v[40:43], v[20:21], off offset:80
	;; [unrolled: 1-line block ×3, first 2 shown]
	s_waitcnt vmcnt(0)
	v_fmac_f32_e32 v50, v31, v44
	v_fmac_f32_e32 v7, v32, v44
	v_fma_f32 v32, -v32, v45, v50
	global_load_dwordx4 v[48:51], v[20:21], off offset:112
	v_fmac_f32_e32 v7, v31, v45
	v_fmac_f32_e32 v32, v33, v46
	;; [unrolled: 1-line block ×7, first 2 shown]
	v_fma_f32 v31, -v34, v47, v32
	v_fma_f32 v32, -v37, v45, v52
	v_fmac_f32_e32 v17, v36, v45
	v_fma_f32 v34, -v41, v45, v53
	v_fmac_f32_e32 v30, v40, v45
	v_add_co_u32_e32 v20, vcc, s20, v20
	v_fmac_f32_e32 v32, v38, v46
	v_fmac_f32_e32 v17, v39, v46
	;; [unrolled: 1-line block ×5, first 2 shown]
	v_addc_co_u32_e32 v21, vcc, 0, v21, vcc
	v_fma_f32 v33, -v39, v47, v32
	v_fmac_f32_e32 v17, v38, v47
	v_fma_f32 v34, -v43, v47, v34
	v_fmac_f32_e32 v30, v42, v47
	s_waitcnt vmcnt(0)
	v_fmac_f32_e32 v54, v48, v44
	v_fmac_f32_e32 v16, v49, v44
	v_fma_f32 v36, -v49, v45, v54
	v_fmac_f32_e32 v16, v48, v45
	v_fmac_f32_e32 v36, v50, v46
	;; [unrolled: 1-line block ×3, first 2 shown]
	v_fma_f32 v32, -v51, v47, v36
	v_fmac_f32_e32 v16, v50, v47
	s_andn2_b64 exec, exec, s[18:19]
	s_cbranch_execnz .LBB50_17
; %bb.18:
	s_or_b64 exec, exec, s[18:19]
.LBB50_19:
	s_or_b64 exec, exec, s[16:17]
	v_cmp_lt_u64_e32 vcc, 11, v[24:25]
	s_and_saveexec_b64 s[2:3], vcc
	s_cbranch_execz .LBB50_23
; %bb.20:
	v_lshlrev_b64 v[24:25], 3, v[22:23]
	v_mov_b32_e32 v26, s13
	v_add_co_u32_e32 v24, vcc, s12, v24
	v_addc_co_u32_e32 v25, vcc, v26, v25, vcc
	v_add_co_u32_e32 v24, vcc, 64, v24
	v_addc_co_u32_e32 v25, vcc, 0, v25, vcc
	s_mov_b64 s[6:7], 0
	v_mov_b32_e32 v26, s11
	s_movk_i32 s8, 0x800
.LBB50_21:                              ; =>This Inner Loop Header: Depth=1
	global_load_dwordx2 v[27:28], v[24:25], off offset:-64
	global_load_dwordx4 v[35:38], v[20:21], off offset:48
	global_load_dwordx4 v[39:42], v[20:21], off offset:32
	;; [unrolled: 1-line block ×3, first 2 shown]
	global_load_dwordx4 v[47:50], v[20:21], off
	s_waitcnt vmcnt(4)
	v_sub_co_u32_e32 v27, vcc, v27, v1
	v_subb_co_u32_e32 v28, vcc, v28, v2, vcc
	v_lshlrev_b64 v[27:28], 5, v[27:28]
	v_add_co_u32_e32 v27, vcc, s10, v27
	v_addc_co_u32_e32 v28, vcc, v26, v28, vcc
	global_load_dwordx4 v[51:54], v[27:28], off offset:16
	global_load_dwordx4 v[55:58], v[27:28], off
	s_waitcnt vmcnt(0)
	v_fmac_f32_e32 v31, v47, v55
	v_fma_f32 v27, -v48, v56, v31
	v_fmac_f32_e32 v27, v49, v57
	v_fma_f32 v27, -v50, v58, v27
	;; [unrolled: 2-line block ×3, first 2 shown]
	v_fmac_f32_e32 v7, v48, v55
	v_fmac_f32_e32 v27, v45, v53
	;; [unrolled: 1-line block ×5, first 2 shown]
	v_fma_f32 v29, -v46, v54, v27
	v_fma_f32 v27, -v40, v56, v33
	v_fmac_f32_e32 v17, v39, v56
	v_fmac_f32_e32 v7, v50, v57
	v_fmac_f32_e32 v27, v41, v57
	v_fmac_f32_e32 v17, v42, v57
	v_fmac_f32_e32 v7, v49, v58
	v_fma_f32 v27, -v42, v58, v27
	v_fmac_f32_e32 v17, v41, v58
	v_fmac_f32_e32 v7, v44, v51
	v_fmac_f32_e32 v27, v35, v51
	v_fmac_f32_e32 v17, v36, v51
	v_fmac_f32_e32 v7, v43, v52
	;; [unrolled: 6-line block ×3, first 2 shown]
	v_fma_f32 v59, -v38, v54, v27
	v_fmac_f32_e32 v17, v37, v54
	global_load_dwordx4 v[35:38], v[20:21], off offset:112
	global_load_dwordx4 v[39:42], v[20:21], off offset:96
	;; [unrolled: 1-line block ×4, first 2 shown]
	s_waitcnt vmcnt(2)
	v_fmac_f32_e32 v32, v39, v55
	v_fmac_f32_e32 v16, v40, v55
	s_waitcnt vmcnt(0)
	v_fmac_f32_e32 v34, v47, v55
	v_fma_f32 v27, -v48, v56, v34
	v_fmac_f32_e32 v27, v49, v57
	v_fma_f32 v27, -v50, v58, v27
	;; [unrolled: 2-line block ×4, first 2 shown]
	v_fma_f32 v27, -v40, v56, v32
	v_fmac_f32_e32 v27, v41, v57
	v_fma_f32 v27, -v42, v58, v27
	v_fmac_f32_e32 v27, v35, v51
	;; [unrolled: 2-line block ×3, first 2 shown]
	v_fmac_f32_e32 v30, v48, v55
	v_fma_f32 v55, -v38, v54, v27
	global_load_dwordx2 v[27:28], v[24:25], off offset:-32
	v_fmac_f32_e32 v30, v47, v56
	v_fmac_f32_e32 v16, v39, v56
	;; [unrolled: 1-line block ×14, first 2 shown]
	global_load_dwordx4 v[31:34], v[20:21], off offset:560
	global_load_dwordx4 v[35:38], v[20:21], off offset:544
	;; [unrolled: 1-line block ×4, first 2 shown]
	s_waitcnt vmcnt(4)
	v_sub_co_u32_e32 v27, vcc, v27, v1
	v_subb_co_u32_e32 v28, vcc, v28, v2, vcc
	v_lshlrev_b64 v[27:28], 5, v[27:28]
	v_add_co_u32_e32 v27, vcc, s10, v27
	v_addc_co_u32_e32 v28, vcc, v26, v28, vcc
	global_load_dwordx4 v[47:50], v[27:28], off offset:16
	global_load_dwordx4 v[51:54], v[27:28], off
	s_waitcnt vmcnt(0)
	v_fmac_f32_e32 v29, v43, v51
	v_fma_f32 v27, -v44, v52, v29
	v_fmac_f32_e32 v27, v45, v53
	v_fma_f32 v27, -v46, v54, v27
	;; [unrolled: 2-line block ×3, first 2 shown]
	v_fmac_f32_e32 v7, v44, v51
	v_fmac_f32_e32 v27, v41, v49
	;; [unrolled: 1-line block ×5, first 2 shown]
	v_fma_f32 v29, -v42, v50, v27
	v_fma_f32 v27, -v36, v52, v59
	v_fmac_f32_e32 v17, v35, v52
	v_fmac_f32_e32 v7, v46, v53
	v_fmac_f32_e32 v27, v37, v53
	v_fmac_f32_e32 v17, v38, v53
	v_fmac_f32_e32 v7, v45, v54
	v_fma_f32 v27, -v38, v54, v27
	v_fmac_f32_e32 v17, v37, v54
	v_fmac_f32_e32 v7, v40, v47
	v_fmac_f32_e32 v27, v31, v47
	v_fmac_f32_e32 v17, v32, v47
	v_fmac_f32_e32 v7, v39, v48
	;; [unrolled: 6-line block ×3, first 2 shown]
	v_fma_f32 v56, -v34, v50, v27
	v_fmac_f32_e32 v17, v33, v50
	global_load_dwordx4 v[31:34], v[20:21], off offset:624
	global_load_dwordx4 v[35:38], v[20:21], off offset:608
	;; [unrolled: 1-line block ×4, first 2 shown]
	s_waitcnt vmcnt(2)
	v_fmac_f32_e32 v55, v35, v51
	v_fmac_f32_e32 v16, v36, v51
	s_waitcnt vmcnt(0)
	v_fmac_f32_e32 v60, v43, v51
	v_fma_f32 v27, -v44, v52, v60
	v_fmac_f32_e32 v27, v45, v53
	v_fma_f32 v27, -v46, v54, v27
	;; [unrolled: 2-line block ×4, first 2 shown]
	v_fma_f32 v27, -v36, v52, v55
	v_fmac_f32_e32 v27, v37, v53
	v_fma_f32 v27, -v38, v54, v27
	v_fmac_f32_e32 v27, v31, v47
	v_fma_f32 v27, -v32, v48, v27
	v_fmac_f32_e32 v27, v33, v49
	v_fma_f32 v60, -v34, v50, v27
	global_load_dwordx2 v[27:28], v[24:25], off
	v_fmac_f32_e32 v30, v44, v51
	v_fmac_f32_e32 v30, v43, v52
	;; [unrolled: 1-line block ×15, first 2 shown]
	global_load_dwordx4 v[31:34], v[20:21], off offset:1072
	global_load_dwordx4 v[35:38], v[20:21], off offset:1056
	;; [unrolled: 1-line block ×4, first 2 shown]
	s_waitcnt vmcnt(4)
	v_sub_co_u32_e32 v27, vcc, v27, v1
	v_subb_co_u32_e32 v28, vcc, v28, v2, vcc
	v_lshlrev_b64 v[27:28], 5, v[27:28]
	v_add_co_u32_e32 v27, vcc, s10, v27
	v_addc_co_u32_e32 v28, vcc, v26, v28, vcc
	global_load_dwordx4 v[47:50], v[27:28], off offset:16
	global_load_dwordx4 v[51:54], v[27:28], off
	s_waitcnt vmcnt(0)
	v_fmac_f32_e32 v29, v43, v51
	v_fma_f32 v27, -v44, v52, v29
	v_fmac_f32_e32 v27, v45, v53
	v_fma_f32 v27, -v46, v54, v27
	;; [unrolled: 2-line block ×3, first 2 shown]
	v_fmac_f32_e32 v7, v44, v51
	v_fmac_f32_e32 v27, v41, v49
	v_fmac_f32_e32 v56, v35, v51
	v_fmac_f32_e32 v17, v36, v51
	v_fmac_f32_e32 v7, v43, v52
	v_fma_f32 v29, -v42, v50, v27
	v_fma_f32 v27, -v36, v52, v56
	v_fmac_f32_e32 v17, v35, v52
	v_fmac_f32_e32 v7, v46, v53
	v_fmac_f32_e32 v27, v37, v53
	v_fmac_f32_e32 v17, v38, v53
	v_fmac_f32_e32 v7, v45, v54
	v_fma_f32 v27, -v38, v54, v27
	v_fmac_f32_e32 v17, v37, v54
	v_fmac_f32_e32 v7, v40, v47
	v_fmac_f32_e32 v27, v31, v47
	v_fmac_f32_e32 v17, v32, v47
	v_fmac_f32_e32 v7, v39, v48
	;; [unrolled: 6-line block ×3, first 2 shown]
	v_fma_f32 v32, -v34, v50, v27
	v_fmac_f32_e32 v17, v33, v50
	global_load_dwordx4 v[33:36], v[20:21], off offset:1136
	global_load_dwordx4 v[37:40], v[20:21], off offset:1120
	;; [unrolled: 1-line block ×4, first 2 shown]
	s_waitcnt vmcnt(2)
	v_fmac_f32_e32 v60, v37, v51
	v_fmac_f32_e32 v16, v38, v51
	v_fma_f32 v28, -v38, v52, v60
	v_fmac_f32_e32 v16, v37, v52
	v_fmac_f32_e32 v28, v39, v53
	v_fmac_f32_e32 v16, v40, v53
	v_fma_f32 v28, -v40, v54, v28
	v_fmac_f32_e32 v16, v39, v54
	;; [unrolled: 4-line block ×3, first 2 shown]
	global_load_dwordx2 v[33:34], v[24:25], off offset:32
	s_waitcnt vmcnt(1)
	v_fmac_f32_e32 v59, v55, v51
	v_fmac_f32_e32 v30, v56, v51
	v_fma_f32 v27, -v56, v52, v59
	v_fmac_f32_e32 v30, v55, v52
	v_fmac_f32_e32 v27, v57, v53
	v_fmac_f32_e32 v30, v58, v53
	v_fma_f32 v27, -v58, v54, v27
	v_fmac_f32_e32 v30, v57, v54
	;; [unrolled: 4-line block ×3, first 2 shown]
	v_fmac_f32_e32 v27, v43, v49
	v_fmac_f32_e32 v30, v44, v49
	;; [unrolled: 1-line block ×4, first 2 shown]
	v_fma_f32 v27, -v44, v50, v27
	v_fmac_f32_e32 v30, v43, v50
	v_fma_f32 v28, -v36, v50, v28
	v_fmac_f32_e32 v16, v35, v50
	s_waitcnt vmcnt(0)
	v_sub_co_u32_e32 v49, vcc, v33, v1
	v_subb_co_u32_e32 v50, vcc, v34, v2, vcc
	v_lshlrev_b64 v[49:50], 5, v[49:50]
	global_load_dwordx4 v[33:36], v[20:21], off offset:1584
	global_load_dwordx4 v[37:40], v[20:21], off offset:1568
	global_load_dwordx4 v[41:44], v[20:21], off offset:1552
	global_load_dwordx4 v[45:48], v[20:21], off offset:1536
	v_add_co_u32_e32 v57, vcc, s10, v49
	v_addc_co_u32_e32 v58, vcc, v26, v50, vcc
	global_load_dwordx4 v[49:52], v[57:58], off offset:16
	global_load_dwordx4 v[53:56], v[57:58], off
	s_waitcnt vmcnt(0)
	v_fmac_f32_e32 v29, v45, v53
	v_fma_f32 v29, -v46, v54, v29
	v_fmac_f32_e32 v29, v47, v55
	v_fma_f32 v29, -v48, v56, v29
	;; [unrolled: 2-line block ×3, first 2 shown]
	v_fmac_f32_e32 v7, v46, v53
	v_fmac_f32_e32 v29, v43, v51
	;; [unrolled: 1-line block ×5, first 2 shown]
	v_fma_f32 v31, -v44, v52, v29
	v_fma_f32 v29, -v38, v54, v32
	v_fmac_f32_e32 v17, v37, v54
	v_fmac_f32_e32 v7, v48, v55
	v_fmac_f32_e32 v29, v39, v55
	v_fmac_f32_e32 v17, v40, v55
	v_fmac_f32_e32 v7, v47, v56
	v_fma_f32 v29, -v40, v56, v29
	v_fmac_f32_e32 v17, v39, v56
	v_fmac_f32_e32 v7, v42, v49
	v_fmac_f32_e32 v29, v33, v49
	v_fmac_f32_e32 v17, v34, v49
	v_fmac_f32_e32 v7, v41, v50
	;; [unrolled: 6-line block ×3, first 2 shown]
	v_fma_f32 v33, -v36, v52, v29
	v_fmac_f32_e32 v17, v35, v52
	global_load_dwordx4 v[35:38], v[20:21], off offset:1648
	global_load_dwordx4 v[39:42], v[20:21], off offset:1632
	;; [unrolled: 1-line block ×4, first 2 shown]
	v_add_co_u32_e32 v20, vcc, s8, v20
	v_addc_co_u32_e32 v21, vcc, 0, v21, vcc
	v_add_co_u32_e32 v22, vcc, 16, v22
	v_addc_co_u32_e32 v23, vcc, 0, v23, vcc
	;; [unrolled: 2-line block ×3, first 2 shown]
	v_cmp_ge_i64_e32 vcc, v[22:23], v[5:6]
	s_or_b64 s[6:7], vcc, s[6:7]
	s_waitcnt vmcnt(2)
	v_fmac_f32_e32 v28, v39, v53
	v_fmac_f32_e32 v16, v40, v53
	s_waitcnt vmcnt(0)
	v_fmac_f32_e32 v27, v57, v53
	v_fma_f32 v27, -v58, v54, v27
	v_fmac_f32_e32 v27, v59, v55
	v_fma_f32 v27, -v60, v56, v27
	;; [unrolled: 2-line block ×3, first 2 shown]
	v_fmac_f32_e32 v30, v58, v53
	v_fmac_f32_e32 v27, v45, v51
	;; [unrolled: 1-line block ×3, first 2 shown]
	v_fma_f32 v34, -v46, v52, v27
	v_fma_f32 v27, -v40, v54, v28
	v_fmac_f32_e32 v16, v39, v54
	v_fmac_f32_e32 v30, v60, v55
	v_fmac_f32_e32 v27, v41, v55
	v_fmac_f32_e32 v16, v42, v55
	v_fmac_f32_e32 v30, v59, v56
	v_fma_f32 v27, -v42, v56, v27
	v_fmac_f32_e32 v16, v41, v56
	v_fmac_f32_e32 v30, v44, v49
	v_fmac_f32_e32 v27, v35, v49
	v_fmac_f32_e32 v16, v36, v49
	v_fmac_f32_e32 v30, v43, v50
	;; [unrolled: 6-line block ×3, first 2 shown]
	v_fma_f32 v32, -v38, v52, v27
	v_fmac_f32_e32 v16, v37, v52
	s_andn2_b64 exec, exec, s[6:7]
	s_cbranch_execnz .LBB50_21
; %bb.22:
	s_or_b64 exec, exec, s[6:7]
.LBB50_23:
	s_or_b64 exec, exec, s[2:3]
.LBB50_24:
	s_or_b64 exec, exec, s[14:15]
	s_cbranch_execz .LBB50_26
	s_branch .LBB50_37
.LBB50_25:
                                        ; implicit-def: $vgpr7
                                        ; implicit-def: $vgpr31
                                        ; implicit-def: $vgpr32
                                        ; implicit-def: $vgpr16
                                        ; implicit-def: $vgpr34
                                        ; implicit-def: $vgpr30
                                        ; implicit-def: $vgpr33
                                        ; implicit-def: $vgpr17
.LBB50_26:
	v_mov_b32_e32 v7, 0
	v_mov_b32_e32 v31, 0
	;; [unrolled: 1-line block ×8, first 2 shown]
	s_and_saveexec_b64 s[2:3], s[0:1]
	s_cbranch_execz .LBB50_36
; %bb.27:
	v_or_b32_e32 v7, 4, v0
	v_sub_co_u32_e32 v7, vcc, v7, v1
	v_subb_co_u32_e32 v17, vcc, 0, v2, vcc
	v_add_co_u32_e32 v16, vcc, v7, v18
	v_addc_co_u32_e32 v17, vcc, v17, v19, vcc
	v_cmp_gt_i64_e32 vcc, v[16:17], v[5:6]
	v_not_b32_e32 v18, v18
	v_cndmask_b32_e32 v7, v6, v17, vcc
	v_cndmask_b32_e32 v16, v5, v16, vcc
	v_not_b32_e32 v17, v19
	v_sub_co_u32_e32 v19, vcc, v1, v0
	v_subbrev_co_u32_e32 v20, vcc, 0, v2, vcc
	v_add_co_u32_e32 v18, vcc, v19, v18
	v_addc_co_u32_e32 v17, vcc, v20, v17, vcc
	v_add_co_u32_e32 v18, vcc, v18, v16
	v_addc_co_u32_e32 v19, vcc, v17, v7, vcc
	v_and_b32_e32 v16, 12, v18
	v_mov_b32_e32 v17, 0
	v_cmp_ne_u64_e32 vcc, 12, v[16:17]
	v_mov_b32_e32 v33, v17
	v_mov_b32_e32 v30, v17
	v_mov_b32_e32 v34, v17
	v_mov_b32_e32 v16, v17
	v_mov_b32_e32 v32, v17
	v_mov_b32_e32 v31, v17
	v_mov_b32_e32 v7, v17
	s_and_saveexec_b64 s[0:1], vcc
	s_cbranch_execz .LBB50_31
; %bb.28:
	v_lshlrev_b64 v[16:17], 3, v[3:4]
	v_lshrrev_b32_e32 v7, 2, v18
	v_add_u32_e32 v7, 1, v7
	v_mov_b32_e32 v21, s13
	v_add_co_u32_e32 v20, vcc, s12, v16
	v_and_b32_e32 v22, 3, v7
	v_addc_co_u32_e32 v21, vcc, v21, v17, vcc
	v_sub_co_u32_e32 v22, vcc, 0, v22
	v_subb_co_u32_e64 v23, s[8:9], 0, 0, vcc
	v_mov_b32_e32 v7, 0
	s_mov_b64 s[6:7], 0
	s_movk_i32 s8, 0x200
	v_mov_b32_e32 v24, s11
	v_mov_b32_e32 v31, 0
	;; [unrolled: 1-line block ×8, first 2 shown]
.LBB50_29:                              ; =>This Inner Loop Header: Depth=1
	global_load_dwordx2 v[25:26], v[20:21], off
	s_waitcnt vmcnt(0)
	v_sub_co_u32_e32 v47, vcc, v25, v1
	v_subb_co_u32_e32 v48, vcc, v26, v2, vcc
	v_lshlrev_b64 v[47:48], 5, v[47:48]
	global_load_dwordx4 v[25:28], v[14:15], off offset:48
	global_load_dwordx4 v[35:38], v[14:15], off offset:32
	;; [unrolled: 1-line block ×3, first 2 shown]
	global_load_dwordx4 v[43:46], v[14:15], off
	v_add_co_u32_e32 v55, vcc, s10, v47
	v_addc_co_u32_e32 v56, vcc, v24, v48, vcc
	global_load_dwordx4 v[47:50], v[55:56], off offset:16
	global_load_dwordx4 v[51:54], v[55:56], off
	s_waitcnt vmcnt(0)
	v_fmac_f32_e32 v31, v43, v51
	v_fmac_f32_e32 v7, v44, v51
	;; [unrolled: 1-line block ×8, first 2 shown]
	v_fma_f32 v29, -v44, v52, v31
	v_fmac_f32_e32 v7, v43, v52
	v_fma_f32 v31, -v46, v52, v33
	v_fmac_f32_e32 v17, v45, v52
	;; [unrolled: 2-line block ×4, first 2 shown]
	v_fmac_f32_e32 v29, v35, v53
	v_fmac_f32_e32 v7, v36, v53
	;; [unrolled: 1-line block ×8, first 2 shown]
	v_fma_f32 v29, -v36, v54, v29
	v_fmac_f32_e32 v7, v35, v54
	v_fma_f32 v31, -v38, v54, v31
	v_fmac_f32_e32 v17, v37, v54
	;; [unrolled: 2-line block ×4, first 2 shown]
	global_load_dwordx4 v[25:28], v[14:15], off offset:112
	global_load_dwordx4 v[32:35], v[14:15], off offset:96
	global_load_dwordx4 v[36:39], v[14:15], off offset:80
	global_load_dwordx4 v[40:43], v[14:15], off offset:64
	v_add_co_u32_e32 v14, vcc, s8, v14
	v_addc_co_u32_e32 v15, vcc, 0, v15, vcc
	v_add_co_u32_e32 v3, vcc, 4, v3
	v_addc_co_u32_e32 v4, vcc, 0, v4, vcc
	;; [unrolled: 2-line block ×4, first 2 shown]
	v_cmp_eq_u64_e32 vcc, 0, v[22:23]
	s_or_b64 s[6:7], vcc, s[6:7]
	s_waitcnt vmcnt(1)
	v_fmac_f32_e32 v44, v36, v47
	s_waitcnt vmcnt(0)
	v_fmac_f32_e32 v29, v40, v47
	v_fmac_f32_e32 v7, v41, v47
	;; [unrolled: 1-line block ×7, first 2 shown]
	v_fma_f32 v29, -v41, v48, v29
	v_fmac_f32_e32 v7, v40, v48
	v_fma_f32 v40, -v43, v48, v31
	v_fmac_f32_e32 v17, v42, v48
	;; [unrolled: 2-line block ×4, first 2 shown]
	v_fmac_f32_e32 v29, v32, v49
	v_fmac_f32_e32 v7, v33, v49
	;; [unrolled: 1-line block ×8, first 2 shown]
	v_fma_f32 v31, -v33, v50, v29
	v_fmac_f32_e32 v7, v32, v50
	v_fma_f32 v33, -v35, v50, v40
	v_fmac_f32_e32 v17, v34, v50
	v_fma_f32 v34, -v26, v50, v41
	v_fmac_f32_e32 v30, v25, v50
	v_fma_f32 v32, -v28, v50, v36
	v_fmac_f32_e32 v16, v27, v50
	s_andn2_b64 exec, exec, s[6:7]
	s_cbranch_execnz .LBB50_29
; %bb.30:
	s_or_b64 exec, exec, s[6:7]
.LBB50_31:
	s_or_b64 exec, exec, s[0:1]
	v_cmp_lt_u64_e32 vcc, 11, v[18:19]
	s_and_saveexec_b64 s[0:1], vcc
	s_cbranch_execz .LBB50_35
; %bb.32:
	v_lshlrev_b64 v[18:19], 3, v[3:4]
	v_mov_b32_e32 v20, s13
	v_add_co_u32_e32 v18, vcc, s12, v18
	v_addc_co_u32_e32 v19, vcc, v20, v19, vcc
	v_add_co_u32_e32 v18, vcc, 64, v18
	v_addc_co_u32_e32 v19, vcc, 0, v19, vcc
	s_mov_b64 s[6:7], 0
	v_mov_b32_e32 v20, s11
	s_movk_i32 s8, 0x800
.LBB50_33:                              ; =>This Inner Loop Header: Depth=1
	global_load_dwordx2 v[21:22], v[18:19], off offset:-64
	s_waitcnt vmcnt(0)
	v_sub_co_u32_e32 v43, vcc, v21, v1
	v_subb_co_u32_e32 v44, vcc, v22, v2, vcc
	v_lshlrev_b64 v[43:44], 5, v[43:44]
	global_load_dwordx4 v[21:24], v[14:15], off offset:48
	global_load_dwordx4 v[25:28], v[14:15], off offset:32
	;; [unrolled: 1-line block ×3, first 2 shown]
	global_load_dwordx4 v[39:42], v[14:15], off
	v_add_co_u32_e32 v51, vcc, s10, v43
	v_addc_co_u32_e32 v52, vcc, v20, v44, vcc
	global_load_dwordx4 v[43:46], v[51:52], off offset:16
	global_load_dwordx4 v[47:50], v[51:52], off
	s_waitcnt vmcnt(0)
	v_fmac_f32_e32 v31, v39, v47
	v_fmac_f32_e32 v7, v40, v47
	;; [unrolled: 1-line block ×8, first 2 shown]
	v_fma_f32 v29, -v40, v48, v31
	v_fmac_f32_e32 v7, v39, v48
	v_fma_f32 v31, -v42, v48, v33
	v_fmac_f32_e32 v17, v41, v48
	;; [unrolled: 2-line block ×4, first 2 shown]
	v_fmac_f32_e32 v29, v25, v49
	v_fmac_f32_e32 v7, v26, v49
	;; [unrolled: 1-line block ×8, first 2 shown]
	v_fma_f32 v29, -v26, v50, v29
	v_fmac_f32_e32 v7, v25, v50
	v_fma_f32 v39, -v28, v50, v31
	v_fmac_f32_e32 v17, v27, v50
	;; [unrolled: 2-line block ×4, first 2 shown]
	global_load_dwordx4 v[21:24], v[14:15], off offset:112
	global_load_dwordx4 v[25:28], v[14:15], off offset:96
	;; [unrolled: 1-line block ×4, first 2 shown]
	s_waitcnt vmcnt(1)
	v_fmac_f32_e32 v40, v31, v43
	s_waitcnt vmcnt(0)
	v_fmac_f32_e32 v29, v35, v43
	v_fmac_f32_e32 v30, v32, v43
	v_fma_f32 v29, -v36, v44, v29
	v_fmac_f32_e32 v7, v36, v43
	v_fma_f32 v36, -v32, v44, v40
	v_fmac_f32_e32 v30, v31, v44
	v_fmac_f32_e32 v36, v21, v45
	;; [unrolled: 1-line block ×3, first 2 shown]
	v_fma_f32 v50, -v22, v46, v36
	v_fmac_f32_e32 v30, v21, v46
	global_load_dwordx2 v[21:22], v[18:19], off offset:-32
	v_fmac_f32_e32 v39, v37, v43
	v_fmac_f32_e32 v7, v35, v44
	v_fma_f32 v35, -v38, v44, v39
	v_fmac_f32_e32 v17, v38, v43
	v_fmac_f32_e32 v41, v33, v43
	;; [unrolled: 1-line block ×4, first 2 shown]
	v_fma_f32 v31, -v34, v44, v41
	v_fmac_f32_e32 v16, v33, v44
	v_fmac_f32_e32 v29, v25, v45
	;; [unrolled: 1-line block ×7, first 2 shown]
	v_fma_f32 v29, -v26, v46, v29
	v_fmac_f32_e32 v7, v25, v46
	v_fma_f32 v49, -v28, v46, v35
	v_fmac_f32_e32 v17, v27, v46
	;; [unrolled: 2-line block ×3, first 2 shown]
	s_waitcnt vmcnt(0)
	v_sub_co_u32_e32 v39, vcc, v21, v1
	v_subb_co_u32_e32 v40, vcc, v22, v2, vcc
	v_lshlrev_b64 v[39:40], 5, v[39:40]
	global_load_dwordx4 v[21:24], v[14:15], off offset:560
	global_load_dwordx4 v[25:28], v[14:15], off offset:544
	;; [unrolled: 1-line block ×4, first 2 shown]
	v_add_co_u32_e32 v47, vcc, s10, v39
	v_addc_co_u32_e32 v48, vcc, v20, v40, vcc
	global_load_dwordx4 v[39:42], v[47:48], off offset:16
	global_load_dwordx4 v[43:46], v[47:48], off
	s_waitcnt vmcnt(0)
	v_fmac_f32_e32 v29, v35, v43
	v_fmac_f32_e32 v7, v36, v43
	;; [unrolled: 1-line block ×8, first 2 shown]
	v_fma_f32 v29, -v36, v44, v29
	v_fmac_f32_e32 v7, v35, v44
	v_fma_f32 v35, -v38, v44, v49
	v_fmac_f32_e32 v17, v37, v44
	;; [unrolled: 2-line block ×4, first 2 shown]
	v_fmac_f32_e32 v29, v25, v45
	v_fmac_f32_e32 v7, v26, v45
	v_fmac_f32_e32 v35, v27, v45
	v_fmac_f32_e32 v17, v28, v45
	v_fmac_f32_e32 v36, v21, v45
	v_fmac_f32_e32 v30, v22, v45
	v_fmac_f32_e32 v31, v23, v45
	v_fmac_f32_e32 v16, v24, v45
	v_fma_f32 v29, -v26, v46, v29
	v_fmac_f32_e32 v7, v25, v46
	v_fma_f32 v43, -v28, v46, v35
	v_fmac_f32_e32 v17, v27, v46
	;; [unrolled: 2-line block ×4, first 2 shown]
	global_load_dwordx4 v[21:24], v[14:15], off offset:624
	global_load_dwordx4 v[25:28], v[14:15], off offset:608
	;; [unrolled: 1-line block ×4, first 2 shown]
	s_waitcnt vmcnt(1)
	v_fmac_f32_e32 v44, v31, v39
	s_waitcnt vmcnt(0)
	v_fmac_f32_e32 v29, v35, v39
	v_fmac_f32_e32 v30, v32, v39
	v_fma_f32 v29, -v36, v40, v29
	v_fmac_f32_e32 v7, v36, v39
	v_fma_f32 v36, -v32, v40, v44
	v_fmac_f32_e32 v30, v31, v40
	v_fmac_f32_e32 v36, v21, v41
	;; [unrolled: 1-line block ×3, first 2 shown]
	v_fma_f32 v50, -v22, v42, v36
	v_fmac_f32_e32 v30, v21, v42
	global_load_dwordx2 v[21:22], v[18:19], off
	v_fmac_f32_e32 v43, v37, v39
	v_fmac_f32_e32 v17, v38, v39
	v_fmac_f32_e32 v47, v33, v39
	v_fmac_f32_e32 v16, v34, v39
	v_fmac_f32_e32 v7, v35, v40
	v_fma_f32 v35, -v38, v40, v43
	v_fmac_f32_e32 v17, v37, v40
	v_fma_f32 v31, -v34, v40, v47
	v_fmac_f32_e32 v16, v33, v40
	v_fmac_f32_e32 v29, v25, v41
	v_fmac_f32_e32 v7, v26, v41
	v_fmac_f32_e32 v35, v27, v41
	v_fmac_f32_e32 v17, v28, v41
	v_fmac_f32_e32 v31, v23, v41
	v_fmac_f32_e32 v16, v24, v41
	v_fma_f32 v29, -v26, v42, v29
	v_fmac_f32_e32 v7, v25, v42
	v_fma_f32 v49, -v28, v42, v35
	v_fmac_f32_e32 v17, v27, v42
	;; [unrolled: 2-line block ×3, first 2 shown]
	s_waitcnt vmcnt(0)
	v_sub_co_u32_e32 v39, vcc, v21, v1
	v_subb_co_u32_e32 v40, vcc, v22, v2, vcc
	v_lshlrev_b64 v[39:40], 5, v[39:40]
	global_load_dwordx4 v[21:24], v[14:15], off offset:1072
	global_load_dwordx4 v[25:28], v[14:15], off offset:1056
	;; [unrolled: 1-line block ×4, first 2 shown]
	v_add_co_u32_e32 v47, vcc, s10, v39
	v_addc_co_u32_e32 v48, vcc, v20, v40, vcc
	global_load_dwordx4 v[39:42], v[47:48], off offset:16
	global_load_dwordx4 v[43:46], v[47:48], off
	s_waitcnt vmcnt(0)
	v_fmac_f32_e32 v29, v35, v43
	v_fmac_f32_e32 v7, v36, v43
	;; [unrolled: 1-line block ×8, first 2 shown]
	v_fma_f32 v29, -v36, v44, v29
	v_fmac_f32_e32 v7, v35, v44
	v_fma_f32 v35, -v38, v44, v49
	v_fmac_f32_e32 v17, v37, v44
	;; [unrolled: 2-line block ×4, first 2 shown]
	v_fmac_f32_e32 v29, v25, v45
	v_fmac_f32_e32 v7, v26, v45
	;; [unrolled: 1-line block ×8, first 2 shown]
	v_fma_f32 v29, -v26, v46, v29
	v_fmac_f32_e32 v7, v25, v46
	v_fma_f32 v47, -v28, v46, v35
	v_fmac_f32_e32 v17, v27, v46
	;; [unrolled: 2-line block ×4, first 2 shown]
	global_load_dwordx4 v[24:27], v[14:15], off offset:1136
	global_load_dwordx4 v[31:34], v[14:15], off offset:1120
	;; [unrolled: 1-line block ×4, first 2 shown]
	s_waitcnt vmcnt(1)
	v_fmac_f32_e32 v28, v35, v39
	s_waitcnt vmcnt(0)
	v_fmac_f32_e32 v29, v43, v39
	v_fmac_f32_e32 v47, v45, v39
	;; [unrolled: 1-line block ×3, first 2 shown]
	v_fma_f32 v22, -v44, v40, v29
	v_fma_f32 v23, -v46, v40, v47
	;; [unrolled: 1-line block ×3, first 2 shown]
	v_fmac_f32_e32 v30, v36, v39
	v_fmac_f32_e32 v21, v37, v39
	;; [unrolled: 1-line block ×4, first 2 shown]
	v_fma_f32 v29, -v38, v40, v21
	v_fmac_f32_e32 v22, v31, v41
	v_fmac_f32_e32 v23, v33, v41
	;; [unrolled: 1-line block ×4, first 2 shown]
	v_fma_f32 v21, -v32, v42, v22
	v_fma_f32 v22, -v34, v42, v23
	;; [unrolled: 1-line block ×3, first 2 shown]
	v_fmac_f32_e32 v30, v25, v41
	v_fmac_f32_e32 v29, v26, v41
	;; [unrolled: 1-line block ×3, first 2 shown]
	global_load_dwordx2 v[25:26], v[18:19], off offset:32
	v_fmac_f32_e32 v7, v44, v39
	v_fmac_f32_e32 v7, v43, v40
	;; [unrolled: 1-line block ×9, first 2 shown]
	v_fma_f32 v24, -v27, v42, v29
	s_waitcnt vmcnt(0)
	v_sub_co_u32_e32 v43, vcc, v25, v1
	v_subb_co_u32_e32 v44, vcc, v26, v2, vcc
	v_lshlrev_b64 v[43:44], 5, v[43:44]
	global_load_dwordx4 v[25:28], v[14:15], off offset:1584
	global_load_dwordx4 v[31:34], v[14:15], off offset:1568
	;; [unrolled: 1-line block ×4, first 2 shown]
	v_add_co_u32_e32 v51, vcc, s10, v43
	v_addc_co_u32_e32 v52, vcc, v20, v44, vcc
	global_load_dwordx4 v[43:46], v[51:52], off offset:16
	global_load_dwordx4 v[47:50], v[51:52], off
	s_waitcnt vmcnt(0)
	v_fmac_f32_e32 v21, v39, v47
	v_fmac_f32_e32 v7, v40, v47
	;; [unrolled: 1-line block ×8, first 2 shown]
	v_fma_f32 v21, -v40, v48, v21
	v_fmac_f32_e32 v7, v39, v48
	v_fma_f32 v22, -v42, v48, v22
	v_fmac_f32_e32 v17, v41, v48
	v_fma_f32 v23, -v36, v48, v23
	v_fmac_f32_e32 v30, v35, v48
	v_fma_f32 v24, -v38, v48, v24
	v_fmac_f32_e32 v16, v37, v48
	v_fmac_f32_e32 v21, v31, v49
	v_fmac_f32_e32 v7, v32, v49
	v_fmac_f32_e32 v22, v33, v49
	v_fmac_f32_e32 v17, v34, v49
	v_fmac_f32_e32 v23, v25, v49
	v_fmac_f32_e32 v30, v26, v49
	v_fmac_f32_e32 v24, v27, v49
	v_fmac_f32_e32 v16, v28, v49
	v_fma_f32 v29, -v32, v50, v21
	v_fmac_f32_e32 v7, v31, v50
	v_fma_f32 v39, -v34, v50, v22
	v_fmac_f32_e32 v17, v33, v50
	;; [unrolled: 2-line block ×4, first 2 shown]
	global_load_dwordx4 v[21:24], v[14:15], off offset:1648
	global_load_dwordx4 v[25:28], v[14:15], off offset:1632
	;; [unrolled: 1-line block ×4, first 2 shown]
	v_add_co_u32_e32 v14, vcc, s8, v14
	v_addc_co_u32_e32 v15, vcc, 0, v15, vcc
	v_add_co_u32_e32 v3, vcc, 16, v3
	v_addc_co_u32_e32 v4, vcc, 0, v4, vcc
	;; [unrolled: 2-line block ×3, first 2 shown]
	v_cmp_ge_i64_e32 vcc, v[3:4], v[5:6]
	s_or_b64 s[6:7], vcc, s[6:7]
	s_waitcnt vmcnt(1)
	v_fmac_f32_e32 v40, v31, v43
	s_waitcnt vmcnt(0)
	v_fmac_f32_e32 v29, v35, v43
	v_fmac_f32_e32 v7, v36, v43
	;; [unrolled: 1-line block ×7, first 2 shown]
	v_fma_f32 v29, -v36, v44, v29
	v_fmac_f32_e32 v7, v35, v44
	v_fma_f32 v35, -v38, v44, v39
	v_fmac_f32_e32 v17, v37, v44
	;; [unrolled: 2-line block ×4, first 2 shown]
	v_fmac_f32_e32 v29, v25, v45
	v_fmac_f32_e32 v7, v26, v45
	v_fmac_f32_e32 v35, v27, v45
	v_fmac_f32_e32 v17, v28, v45
	v_fmac_f32_e32 v36, v21, v45
	v_fmac_f32_e32 v30, v22, v45
	v_fmac_f32_e32 v32, v23, v45
	v_fmac_f32_e32 v16, v24, v45
	v_fma_f32 v31, -v26, v46, v29
	v_fmac_f32_e32 v7, v25, v46
	v_fma_f32 v33, -v28, v46, v35
	v_fmac_f32_e32 v17, v27, v46
	v_fma_f32 v34, -v22, v46, v36
	v_fmac_f32_e32 v30, v21, v46
	v_fma_f32 v32, -v24, v46, v32
	v_fmac_f32_e32 v16, v23, v46
	s_andn2_b64 exec, exec, s[6:7]
	s_cbranch_execnz .LBB50_33
; %bb.34:
	s_or_b64 exec, exec, s[6:7]
.LBB50_35:
	s_or_b64 exec, exec, s[0:1]
.LBB50_36:
	s_or_b64 exec, exec, s[2:3]
.LBB50_37:
	v_mov_b32_dpp v3, v7 row_shr:1 row_mask:0xf bank_mask:0xf
	v_mov_b32_dpp v1, v31 row_shr:1 row_mask:0xf bank_mask:0xf
	v_add_f32_e32 v3, v7, v3
	v_mov_b32_dpp v5, v33 row_shr:1 row_mask:0xf bank_mask:0xf
	v_mov_b32_dpp v7, v17 row_shr:1 row_mask:0xf bank_mask:0xf
	;; [unrolled: 1-line block ×6, first 2 shown]
	v_add_f32_e32 v1, v31, v1
	v_add_f32_e32 v5, v33, v5
	;; [unrolled: 1-line block ×7, first 2 shown]
	v_mov_b32_dpp v2, v1 row_shr:2 row_mask:0xf bank_mask:0xf
	v_mov_b32_dpp v4, v3 row_shr:2 row_mask:0xf bank_mask:0xf
	v_mov_b32_dpp v6, v5 row_shr:2 row_mask:0xf bank_mask:0xf
	v_mov_b32_dpp v14, v7 row_shr:2 row_mask:0xf bank_mask:0xf
	v_mov_b32_dpp v17, v15 row_shr:2 row_mask:0xf bank_mask:0xf
	v_mov_b32_dpp v19, v18 row_shr:2 row_mask:0xf bank_mask:0xf
	v_mov_b32_dpp v21, v20 row_shr:2 row_mask:0xf bank_mask:0xf
	v_mov_b32_dpp v22, v16 row_shr:2 row_mask:0xf bank_mask:0xf
	v_cmp_eq_u32_e32 vcc, 3, v0
	s_and_b64 exec, exec, vcc
	s_cbranch_execz .LBB50_8
; %bb.38:
	s_load_dwordx2 s[2:3], s[4:5], 0x58
	v_add_f32_e32 v23, v1, v2
	v_add_f32_e32 v0, v3, v4
	;; [unrolled: 1-line block ×8, first 2 shown]
	v_cmp_eq_f32_e32 vcc, 0, v8
	v_cmp_eq_f32_e64 s[0:1], 0, v9
	v_mul_f32_e64 v4, v0, -v11
	v_mul_f32_e32 v5, v10, v0
	v_mul_f32_e64 v6, v1, -v11
	v_mul_f32_e32 v7, v10, v1
	;; [unrolled: 2-line block ×4, first 2 shown]
	v_lshlrev_b64 v[12:13], 5, v[12:13]
	s_and_b64 s[0:1], vcc, s[0:1]
	v_fmac_f32_e32 v4, v10, v23
	v_fmac_f32_e32 v5, v11, v23
	;; [unrolled: 1-line block ×8, first 2 shown]
	s_and_saveexec_b64 s[4:5], s[0:1]
	s_xor_b64 s[0:1], exec, s[4:5]
	s_cbranch_execz .LBB50_40
; %bb.39:
	s_waitcnt lgkmcnt(0)
	v_mov_b32_e32 v9, s3
	v_add_co_u32_e32 v8, vcc, s2, v12
	v_addc_co_u32_e32 v9, vcc, v9, v13, vcc
	global_store_dwordx4 v[8:9], v[4:7], off
	global_store_dwordx4 v[8:9], v[0:3], off offset:16
                                        ; implicit-def: $vgpr8_vgpr9
                                        ; implicit-def: $vgpr4
                                        ; implicit-def: $vgpr12_vgpr13
                                        ; implicit-def: $vgpr0
.LBB50_40:
	s_andn2_saveexec_b64 s[0:1], s[0:1]
	s_cbranch_execz .LBB50_8
; %bb.41:
	s_waitcnt lgkmcnt(0)
	v_mov_b32_e32 v10, s3
	v_add_co_u32_e32 v18, vcc, s2, v12
	v_addc_co_u32_e32 v19, vcc, v10, v13, vcc
	global_load_dwordx4 v[10:13], v[18:19], off
	global_load_dwordx4 v[14:17], v[18:19], off offset:16
	s_waitcnt vmcnt(1)
	v_fmac_f32_e32 v4, v8, v10
	v_fmac_f32_e32 v5, v9, v10
	;; [unrolled: 1-line block ×4, first 2 shown]
	s_waitcnt vmcnt(0)
	v_fmac_f32_e32 v0, v8, v14
	v_fmac_f32_e32 v1, v9, v14
	;; [unrolled: 1-line block ×4, first 2 shown]
	v_fma_f32 v4, -v9, v11, v4
	v_fmac_f32_e32 v5, v8, v11
	v_fma_f32 v6, -v9, v13, v6
	v_fmac_f32_e32 v7, v8, v13
	;; [unrolled: 2-line block ×4, first 2 shown]
	global_store_dwordx4 v[18:19], v[4:7], off
	global_store_dwordx4 v[18:19], v[0:3], off offset:16
	s_endpgm
	.section	.rodata,"a",@progbits
	.p2align	6, 0x0
	.amdhsa_kernel _ZN9rocsparseL18bsrxmvn_4x4_kernelILj128ELj4E21rocsparse_complex_numIfEllS2_S2_S2_EEvT3_20rocsparse_direction_NS_24const_host_device_scalarIT1_EES3_PKS3_PKT2_SC_S9_PKT4_PKT5_S7_PT6_21rocsparse_index_base_b
		.amdhsa_group_segment_fixed_size 0
		.amdhsa_private_segment_fixed_size 0
		.amdhsa_kernarg_size 104
		.amdhsa_user_sgpr_count 6
		.amdhsa_user_sgpr_private_segment_buffer 1
		.amdhsa_user_sgpr_dispatch_ptr 0
		.amdhsa_user_sgpr_queue_ptr 0
		.amdhsa_user_sgpr_kernarg_segment_ptr 1
		.amdhsa_user_sgpr_dispatch_id 0
		.amdhsa_user_sgpr_flat_scratch_init 0
		.amdhsa_user_sgpr_private_segment_size 0
		.amdhsa_uses_dynamic_stack 0
		.amdhsa_system_sgpr_private_segment_wavefront_offset 0
		.amdhsa_system_sgpr_workgroup_id_x 1
		.amdhsa_system_sgpr_workgroup_id_y 0
		.amdhsa_system_sgpr_workgroup_id_z 0
		.amdhsa_system_sgpr_workgroup_info 0
		.amdhsa_system_vgpr_workitem_id 0
		.amdhsa_next_free_vgpr 61
		.amdhsa_next_free_sgpr 21
		.amdhsa_reserve_vcc 1
		.amdhsa_reserve_flat_scratch 0
		.amdhsa_float_round_mode_32 0
		.amdhsa_float_round_mode_16_64 0
		.amdhsa_float_denorm_mode_32 3
		.amdhsa_float_denorm_mode_16_64 3
		.amdhsa_dx10_clamp 1
		.amdhsa_ieee_mode 1
		.amdhsa_fp16_overflow 0
		.amdhsa_exception_fp_ieee_invalid_op 0
		.amdhsa_exception_fp_denorm_src 0
		.amdhsa_exception_fp_ieee_div_zero 0
		.amdhsa_exception_fp_ieee_overflow 0
		.amdhsa_exception_fp_ieee_underflow 0
		.amdhsa_exception_fp_ieee_inexact 0
		.amdhsa_exception_int_div_zero 0
	.end_amdhsa_kernel
	.section	.text._ZN9rocsparseL18bsrxmvn_4x4_kernelILj128ELj4E21rocsparse_complex_numIfEllS2_S2_S2_EEvT3_20rocsparse_direction_NS_24const_host_device_scalarIT1_EES3_PKS3_PKT2_SC_S9_PKT4_PKT5_S7_PT6_21rocsparse_index_base_b,"axG",@progbits,_ZN9rocsparseL18bsrxmvn_4x4_kernelILj128ELj4E21rocsparse_complex_numIfEllS2_S2_S2_EEvT3_20rocsparse_direction_NS_24const_host_device_scalarIT1_EES3_PKS3_PKT2_SC_S9_PKT4_PKT5_S7_PT6_21rocsparse_index_base_b,comdat
.Lfunc_end50:
	.size	_ZN9rocsparseL18bsrxmvn_4x4_kernelILj128ELj4E21rocsparse_complex_numIfEllS2_S2_S2_EEvT3_20rocsparse_direction_NS_24const_host_device_scalarIT1_EES3_PKS3_PKT2_SC_S9_PKT4_PKT5_S7_PT6_21rocsparse_index_base_b, .Lfunc_end50-_ZN9rocsparseL18bsrxmvn_4x4_kernelILj128ELj4E21rocsparse_complex_numIfEllS2_S2_S2_EEvT3_20rocsparse_direction_NS_24const_host_device_scalarIT1_EES3_PKS3_PKT2_SC_S9_PKT4_PKT5_S7_PT6_21rocsparse_index_base_b
                                        ; -- End function
	.set _ZN9rocsparseL18bsrxmvn_4x4_kernelILj128ELj4E21rocsparse_complex_numIfEllS2_S2_S2_EEvT3_20rocsparse_direction_NS_24const_host_device_scalarIT1_EES3_PKS3_PKT2_SC_S9_PKT4_PKT5_S7_PT6_21rocsparse_index_base_b.num_vgpr, 61
	.set _ZN9rocsparseL18bsrxmvn_4x4_kernelILj128ELj4E21rocsparse_complex_numIfEllS2_S2_S2_EEvT3_20rocsparse_direction_NS_24const_host_device_scalarIT1_EES3_PKS3_PKT2_SC_S9_PKT4_PKT5_S7_PT6_21rocsparse_index_base_b.num_agpr, 0
	.set _ZN9rocsparseL18bsrxmvn_4x4_kernelILj128ELj4E21rocsparse_complex_numIfEllS2_S2_S2_EEvT3_20rocsparse_direction_NS_24const_host_device_scalarIT1_EES3_PKS3_PKT2_SC_S9_PKT4_PKT5_S7_PT6_21rocsparse_index_base_b.numbered_sgpr, 21
	.set _ZN9rocsparseL18bsrxmvn_4x4_kernelILj128ELj4E21rocsparse_complex_numIfEllS2_S2_S2_EEvT3_20rocsparse_direction_NS_24const_host_device_scalarIT1_EES3_PKS3_PKT2_SC_S9_PKT4_PKT5_S7_PT6_21rocsparse_index_base_b.num_named_barrier, 0
	.set _ZN9rocsparseL18bsrxmvn_4x4_kernelILj128ELj4E21rocsparse_complex_numIfEllS2_S2_S2_EEvT3_20rocsparse_direction_NS_24const_host_device_scalarIT1_EES3_PKS3_PKT2_SC_S9_PKT4_PKT5_S7_PT6_21rocsparse_index_base_b.private_seg_size, 0
	.set _ZN9rocsparseL18bsrxmvn_4x4_kernelILj128ELj4E21rocsparse_complex_numIfEllS2_S2_S2_EEvT3_20rocsparse_direction_NS_24const_host_device_scalarIT1_EES3_PKS3_PKT2_SC_S9_PKT4_PKT5_S7_PT6_21rocsparse_index_base_b.uses_vcc, 1
	.set _ZN9rocsparseL18bsrxmvn_4x4_kernelILj128ELj4E21rocsparse_complex_numIfEllS2_S2_S2_EEvT3_20rocsparse_direction_NS_24const_host_device_scalarIT1_EES3_PKS3_PKT2_SC_S9_PKT4_PKT5_S7_PT6_21rocsparse_index_base_b.uses_flat_scratch, 0
	.set _ZN9rocsparseL18bsrxmvn_4x4_kernelILj128ELj4E21rocsparse_complex_numIfEllS2_S2_S2_EEvT3_20rocsparse_direction_NS_24const_host_device_scalarIT1_EES3_PKS3_PKT2_SC_S9_PKT4_PKT5_S7_PT6_21rocsparse_index_base_b.has_dyn_sized_stack, 0
	.set _ZN9rocsparseL18bsrxmvn_4x4_kernelILj128ELj4E21rocsparse_complex_numIfEllS2_S2_S2_EEvT3_20rocsparse_direction_NS_24const_host_device_scalarIT1_EES3_PKS3_PKT2_SC_S9_PKT4_PKT5_S7_PT6_21rocsparse_index_base_b.has_recursion, 0
	.set _ZN9rocsparseL18bsrxmvn_4x4_kernelILj128ELj4E21rocsparse_complex_numIfEllS2_S2_S2_EEvT3_20rocsparse_direction_NS_24const_host_device_scalarIT1_EES3_PKS3_PKT2_SC_S9_PKT4_PKT5_S7_PT6_21rocsparse_index_base_b.has_indirect_call, 0
	.section	.AMDGPU.csdata,"",@progbits
; Kernel info:
; codeLenInByte = 6396
; TotalNumSgprs: 25
; NumVgprs: 61
; ScratchSize: 0
; MemoryBound: 0
; FloatMode: 240
; IeeeMode: 1
; LDSByteSize: 0 bytes/workgroup (compile time only)
; SGPRBlocks: 3
; VGPRBlocks: 15
; NumSGPRsForWavesPerEU: 25
; NumVGPRsForWavesPerEU: 61
; Occupancy: 4
; WaveLimiterHint : 1
; COMPUTE_PGM_RSRC2:SCRATCH_EN: 0
; COMPUTE_PGM_RSRC2:USER_SGPR: 6
; COMPUTE_PGM_RSRC2:TRAP_HANDLER: 0
; COMPUTE_PGM_RSRC2:TGID_X_EN: 1
; COMPUTE_PGM_RSRC2:TGID_Y_EN: 0
; COMPUTE_PGM_RSRC2:TGID_Z_EN: 0
; COMPUTE_PGM_RSRC2:TIDIG_COMP_CNT: 0
	.section	.text._ZN9rocsparseL18bsrxmvn_4x4_kernelILj128ELj8E21rocsparse_complex_numIfEllS2_S2_S2_EEvT3_20rocsparse_direction_NS_24const_host_device_scalarIT1_EES3_PKS3_PKT2_SC_S9_PKT4_PKT5_S7_PT6_21rocsparse_index_base_b,"axG",@progbits,_ZN9rocsparseL18bsrxmvn_4x4_kernelILj128ELj8E21rocsparse_complex_numIfEllS2_S2_S2_EEvT3_20rocsparse_direction_NS_24const_host_device_scalarIT1_EES3_PKS3_PKT2_SC_S9_PKT4_PKT5_S7_PT6_21rocsparse_index_base_b,comdat
	.globl	_ZN9rocsparseL18bsrxmvn_4x4_kernelILj128ELj8E21rocsparse_complex_numIfEllS2_S2_S2_EEvT3_20rocsparse_direction_NS_24const_host_device_scalarIT1_EES3_PKS3_PKT2_SC_S9_PKT4_PKT5_S7_PT6_21rocsparse_index_base_b ; -- Begin function _ZN9rocsparseL18bsrxmvn_4x4_kernelILj128ELj8E21rocsparse_complex_numIfEllS2_S2_S2_EEvT3_20rocsparse_direction_NS_24const_host_device_scalarIT1_EES3_PKS3_PKT2_SC_S9_PKT4_PKT5_S7_PT6_21rocsparse_index_base_b
	.p2align	8
	.type	_ZN9rocsparseL18bsrxmvn_4x4_kernelILj128ELj8E21rocsparse_complex_numIfEllS2_S2_S2_EEvT3_20rocsparse_direction_NS_24const_host_device_scalarIT1_EES3_PKS3_PKT2_SC_S9_PKT4_PKT5_S7_PT6_21rocsparse_index_base_b,@function
_ZN9rocsparseL18bsrxmvn_4x4_kernelILj128ELj8E21rocsparse_complex_numIfEllS2_S2_S2_EEvT3_20rocsparse_direction_NS_24const_host_device_scalarIT1_EES3_PKS3_PKT2_SC_S9_PKT4_PKT5_S7_PT6_21rocsparse_index_base_b: ; @_ZN9rocsparseL18bsrxmvn_4x4_kernelILj128ELj8E21rocsparse_complex_numIfEllS2_S2_S2_EEvT3_20rocsparse_direction_NS_24const_host_device_scalarIT1_EES3_PKS3_PKT2_SC_S9_PKT4_PKT5_S7_PT6_21rocsparse_index_base_b
; %bb.0:
	s_load_dwordx4 s[0:3], s[4:5], 0x10
	s_load_dwordx2 s[8:9], s[4:5], 0x60
	s_add_u32 s7, s4, 16
	s_addc_u32 s12, s5, 0
	s_add_u32 s13, s4, 0x50
	s_load_dwordx2 s[10:11], s[4:5], 0x50
	s_addc_u32 s14, s5, 0
	s_waitcnt lgkmcnt(0)
	s_bitcmp1_b32 s9, 0
	s_cselect_b32 s1, s12, s1
	s_cselect_b32 s0, s7, s0
	v_mov_b32_e32 v1, s0
	v_mov_b32_e32 v2, s1
	flat_load_dwordx2 v[10:11], v[1:2]
	s_cselect_b32 s0, s14, s11
	s_cselect_b32 s1, s13, s10
	v_mov_b32_e32 v1, s1
	v_mov_b32_e32 v2, s0
	flat_load_dwordx2 v[8:9], v[1:2]
	s_waitcnt vmcnt(0) lgkmcnt(0)
	v_cmp_eq_f32_e32 vcc, 0, v10
	v_cmp_eq_f32_e64 s[0:1], 0, v11
	s_and_b64 s[12:13], vcc, s[0:1]
	s_mov_b64 s[0:1], -1
	s_and_saveexec_b64 s[10:11], s[12:13]
; %bb.1:
	v_cmp_neq_f32_e32 vcc, 1.0, v8
	v_cmp_neq_f32_e64 s[0:1], 0, v9
	s_or_b64 s[0:1], vcc, s[0:1]
	s_orn2_b64 s[0:1], s[0:1], exec
; %bb.2:
	s_or_b64 exec, exec, s[10:11]
	s_and_saveexec_b64 s[10:11], s[0:1]
	s_cbranch_execz .LBB51_8
; %bb.3:
	s_load_dwordx2 s[10:11], s[4:5], 0x20
	v_lshrrev_b32_e32 v1, 3, v0
	v_lshl_or_b32 v3, s6, 4, v1
	v_mov_b32_e32 v4, 0
	s_mov_b64 s[0:1], 0
	s_waitcnt lgkmcnt(0)
	s_cmp_lg_u64 s[10:11], 0
	s_cbranch_scc0 .LBB51_9
; %bb.4:
	v_cmp_gt_i64_e32 vcc, s[2:3], v[3:4]
                                        ; implicit-def: $vgpr12_vgpr13
                                        ; implicit-def: $vgpr1_vgpr2
	s_and_saveexec_b64 s[2:3], vcc
	s_xor_b64 s[2:3], exec, s[2:3]
	s_cbranch_execz .LBB51_6
; %bb.5:
	v_lshlrev_b64 v[1:2], 3, v[3:4]
	v_mov_b32_e32 v5, s11
	v_add_co_u32_e32 v1, vcc, s10, v1
	v_addc_co_u32_e32 v2, vcc, v5, v2, vcc
	global_load_dwordx2 v[1:2], v[1:2], off
	s_mov_b32 s9, 0
	s_mov_b64 s[0:1], exec
	s_waitcnt vmcnt(0)
	v_subrev_co_u32_e32 v12, vcc, s8, v1
	v_subbrev_co_u32_e32 v13, vcc, 0, v2, vcc
	v_mov_b32_e32 v1, s8
	v_mov_b32_e32 v2, s9
.LBB51_6:
	s_or_b64 exec, exec, s[2:3]
.LBB51_7:
	s_and_b64 exec, exec, s[0:1]
	s_cbranch_execnz .LBB51_13
.LBB51_8:
	s_endpgm
.LBB51_9:
                                        ; implicit-def: $vgpr12_vgpr13
                                        ; implicit-def: $vgpr1_vgpr2
	s_cbranch_execz .LBB51_7
; %bb.10:
	s_load_dwordx2 s[2:3], s[4:5], 0x0
	s_waitcnt lgkmcnt(0)
	v_cmp_gt_i64_e32 vcc, s[2:3], v[3:4]
	s_and_saveexec_b64 s[2:3], vcc
; %bb.11:
	s_mov_b32 s9, 0
	s_or_b64 s[0:1], s[0:1], exec
; %bb.12:
	s_or_b64 exec, exec, s[2:3]
	v_mov_b32_e32 v1, s8
	v_mov_b32_e32 v13, v4
	;; [unrolled: 1-line block ×4, first 2 shown]
	s_and_b64 exec, exec, s[0:1]
	s_cbranch_execz .LBB51_8
.LBB51_13:
	s_load_dwordx8 s[8:15], s[4:5], 0x28
	v_lshlrev_b64 v[3:4], 3, v[12:13]
	v_and_b32_e32 v0, 7, v0
	s_waitcnt lgkmcnt(0)
	v_mov_b32_e32 v6, s9
	v_add_co_u32_e32 v5, vcc, s8, v3
	v_addc_co_u32_e32 v6, vcc, v6, v4, vcc
	global_load_dwordx2 v[18:19], v[5:6], off
	v_add_co_u32_e32 v5, vcc, 8, v5
	v_addc_co_u32_e32 v6, vcc, 0, v6, vcc
	v_mov_b32_e32 v7, s11
	v_add_co_u32_e32 v3, vcc, s10, v3
	s_cmp_eq_u64 s[10:11], 0
	v_addc_co_u32_e32 v4, vcc, v7, v4, vcc
	s_cselect_b64 vcc, -1, 0
	v_cndmask_b32_e32 v4, v4, v6, vcc
	v_cndmask_b32_e32 v3, v3, v5, vcc
	global_load_dwordx2 v[5:6], v[3:4], off
	s_load_dword s0, s[4:5], 0x8
	s_load_dwordx2 s[10:11], s[4:5], 0x48
	v_mov_b32_e32 v16, s15
	v_mov_b32_e32 v7, 0
	s_waitcnt lgkmcnt(0)
	s_cmp_eq_u32 s0, 1
	s_waitcnt vmcnt(1)
	v_sub_co_u32_e32 v3, vcc, v18, v1
	v_subb_co_u32_e32 v4, vcc, v19, v2, vcc
	v_add_co_u32_e32 v3, vcc, v3, v0
	v_addc_co_u32_e32 v4, vcc, 0, v4, vcc
	v_lshlrev_b64 v[14:15], 7, v[3:4]
	s_waitcnt vmcnt(0)
	v_sub_co_u32_e32 v5, vcc, v5, v1
	v_subb_co_u32_e32 v6, vcc, v6, v2, vcc
	v_cmp_lt_i64_e64 s[0:1], v[3:4], v[5:6]
	v_add_co_u32_e32 v14, vcc, s14, v14
	v_addc_co_u32_e32 v15, vcc, v16, v15, vcc
	s_cbranch_scc1 .LBB51_25
; %bb.14:
	v_mov_b32_e32 v31, 0
	v_mov_b32_e32 v32, 0
	;; [unrolled: 1-line block ×7, first 2 shown]
	s_and_saveexec_b64 s[14:15], s[0:1]
	s_cbranch_execz .LBB51_24
; %bb.15:
	v_or_b32_e32 v7, 8, v0
	v_sub_co_u32_e32 v7, vcc, v7, v1
	v_subb_co_u32_e32 v17, vcc, 0, v2, vcc
	v_add_co_u32_e32 v16, vcc, v7, v18
	v_addc_co_u32_e32 v17, vcc, v17, v19, vcc
	v_cmp_gt_i64_e32 vcc, v[16:17], v[5:6]
	v_not_b32_e32 v20, v18
	v_cndmask_b32_e32 v7, v6, v17, vcc
	v_cndmask_b32_e32 v16, v5, v16, vcc
	v_sub_co_u32_e32 v21, vcc, v1, v0
	v_subbrev_co_u32_e32 v22, vcc, 0, v2, vcc
	v_not_b32_e32 v17, v19
	v_add_co_u32_e32 v20, vcc, v21, v20
	v_addc_co_u32_e32 v17, vcc, v22, v17, vcc
	v_add_co_u32_e32 v24, vcc, v20, v16
	v_addc_co_u32_e32 v25, vcc, v17, v7, vcc
	v_and_b32_e32 v16, 24, v24
	v_mov_b32_e32 v17, 0
	v_cmp_ne_u64_e32 vcc, 24, v[16:17]
	v_mov_b32_e32 v21, v15
	v_mov_b32_e32 v23, v4
	;; [unrolled: 1-line block ×11, first 2 shown]
	s_and_saveexec_b64 s[16:17], vcc
	s_cbranch_execz .LBB51_19
; %bb.16:
	v_lshlrev_b64 v[16:17], 3, v[3:4]
	v_lshrrev_b32_e32 v7, 3, v24
	v_add_u32_e32 v7, 1, v7
	v_mov_b32_e32 v21, s13
	v_add_co_u32_e32 v26, vcc, s12, v16
	v_and_b32_e32 v20, 3, v7
	v_addc_co_u32_e32 v27, vcc, v21, v17, vcc
	v_sub_co_u32_e32 v28, vcc, 0, v20
	v_mov_b32_e32 v23, v4
	v_mov_b32_e32 v21, v15
	;; [unrolled: 1-line block ×3, first 2 shown]
	s_mov_b64 s[18:19], 0
	v_subb_co_u32_e64 v29, s[2:3], 0, 0, vcc
	s_movk_i32 s20, 0x400
	v_mov_b32_e32 v35, s11
	v_mov_b32_e32 v22, v3
	;; [unrolled: 1-line block ×10, first 2 shown]
.LBB51_17:                              ; =>This Inner Loop Header: Depth=1
	global_load_dwordx2 v[44:45], v[26:27], off
	global_load_dwordx4 v[36:39], v[20:21], off
	global_load_dwordx4 v[40:43], v[20:21], off offset:32
	v_add_co_u32_e64 v22, s[2:3], 8, v22
	v_add_co_u32_e64 v26, s[6:7], 64, v26
	;; [unrolled: 1-line block ×3, first 2 shown]
	v_addc_co_u32_e64 v23, s[2:3], 0, v23, s[2:3]
	v_addc_co_u32_e64 v27, s[2:3], 0, v27, s[6:7]
	;; [unrolled: 1-line block ×3, first 2 shown]
	v_cmp_eq_u64_e64 s[2:3], 0, v[28:29]
	s_or_b64 s[18:19], s[2:3], s[18:19]
	s_waitcnt vmcnt(2)
	v_sub_co_u32_e32 v44, vcc, v44, v1
	v_subb_co_u32_e32 v45, vcc, v45, v2, vcc
	v_lshlrev_b64 v[44:45], 5, v[44:45]
	v_add_co_u32_e32 v48, vcc, s10, v44
	v_addc_co_u32_e32 v49, vcc, v35, v45, vcc
	global_load_dwordx4 v[44:47], v[48:49], off
	s_waitcnt vmcnt(0)
	v_fmac_f32_e32 v31, v36, v44
	v_fmac_f32_e32 v7, v37, v44
	v_fma_f32 v31, -v37, v45, v31
	v_fmac_f32_e32 v7, v36, v45
	v_fmac_f32_e32 v31, v38, v46
	;; [unrolled: 1-line block ×3, first 2 shown]
	v_fma_f32 v50, -v39, v47, v31
	v_fmac_f32_e32 v7, v38, v47
	global_load_dwordx4 v[36:39], v[20:21], off offset:64
	v_fmac_f32_e32 v33, v40, v44
	v_fmac_f32_e32 v17, v41, v44
	v_fma_f32 v31, -v41, v45, v33
	v_fmac_f32_e32 v17, v40, v45
	v_fmac_f32_e32 v31, v42, v46
	;; [unrolled: 1-line block ×3, first 2 shown]
	v_fma_f32 v52, -v43, v47, v31
	v_fmac_f32_e32 v17, v42, v47
	global_load_dwordx4 v[40:43], v[20:21], off offset:96
	s_waitcnt vmcnt(1)
	v_fmac_f32_e32 v34, v36, v44
	v_fmac_f32_e32 v30, v37, v44
	v_fma_f32 v31, -v37, v45, v34
	v_fmac_f32_e32 v30, v36, v45
	v_fmac_f32_e32 v31, v38, v46
	;; [unrolled: 1-line block ×3, first 2 shown]
	v_fma_f32 v53, -v39, v47, v31
	v_fmac_f32_e32 v30, v38, v47
	global_load_dwordx4 v[36:39], v[20:21], off offset:48
	s_waitcnt vmcnt(1)
	v_fmac_f32_e32 v32, v40, v44
	v_fmac_f32_e32 v16, v41, v44
	v_fma_f32 v31, -v41, v45, v32
	v_fmac_f32_e32 v16, v40, v45
	v_fmac_f32_e32 v31, v42, v46
	;; [unrolled: 1-line block ×3, first 2 shown]
	v_fma_f32 v54, -v43, v47, v31
	v_fmac_f32_e32 v16, v42, v47
	global_load_dwordx4 v[31:34], v[20:21], off offset:16
	global_load_dwordx4 v[40:43], v[20:21], off offset:80
	;; [unrolled: 1-line block ×3, first 2 shown]
	s_waitcnt vmcnt(0)
	v_fmac_f32_e32 v50, v31, v44
	v_fmac_f32_e32 v7, v32, v44
	v_fma_f32 v32, -v32, v45, v50
	global_load_dwordx4 v[48:51], v[20:21], off offset:112
	v_fmac_f32_e32 v7, v31, v45
	v_fmac_f32_e32 v32, v33, v46
	v_fmac_f32_e32 v52, v36, v44
	v_fmac_f32_e32 v17, v37, v44
	v_fmac_f32_e32 v53, v40, v44
	v_fmac_f32_e32 v30, v41, v44
	v_fmac_f32_e32 v7, v34, v46
	v_fma_f32 v31, -v34, v47, v32
	v_fma_f32 v32, -v37, v45, v52
	v_fmac_f32_e32 v17, v36, v45
	v_fma_f32 v34, -v41, v45, v53
	v_fmac_f32_e32 v30, v40, v45
	v_add_co_u32_e32 v20, vcc, s20, v20
	v_fmac_f32_e32 v32, v38, v46
	v_fmac_f32_e32 v17, v39, v46
	;; [unrolled: 1-line block ×5, first 2 shown]
	v_addc_co_u32_e32 v21, vcc, 0, v21, vcc
	v_fma_f32 v33, -v39, v47, v32
	v_fmac_f32_e32 v17, v38, v47
	v_fma_f32 v34, -v43, v47, v34
	v_fmac_f32_e32 v30, v42, v47
	s_waitcnt vmcnt(0)
	v_fmac_f32_e32 v54, v48, v44
	v_fmac_f32_e32 v16, v49, v44
	v_fma_f32 v36, -v49, v45, v54
	v_fmac_f32_e32 v16, v48, v45
	v_fmac_f32_e32 v36, v50, v46
	;; [unrolled: 1-line block ×3, first 2 shown]
	v_fma_f32 v32, -v51, v47, v36
	v_fmac_f32_e32 v16, v50, v47
	s_andn2_b64 exec, exec, s[18:19]
	s_cbranch_execnz .LBB51_17
; %bb.18:
	s_or_b64 exec, exec, s[18:19]
.LBB51_19:
	s_or_b64 exec, exec, s[16:17]
	v_cmp_lt_u64_e32 vcc, 23, v[24:25]
	s_and_saveexec_b64 s[2:3], vcc
	s_cbranch_execz .LBB51_23
; %bb.20:
	v_lshlrev_b64 v[24:25], 3, v[22:23]
	v_mov_b32_e32 v26, s13
	v_add_co_u32_e32 v24, vcc, s12, v24
	v_addc_co_u32_e32 v25, vcc, v26, v25, vcc
	v_add_co_u32_e32 v24, vcc, 0x80, v24
	v_addc_co_u32_e32 v25, vcc, 0, v25, vcc
	s_mov_b64 s[6:7], 0
	v_mov_b32_e32 v26, s11
	s_movk_i32 s8, 0x1000
.LBB51_21:                              ; =>This Inner Loop Header: Depth=1
	global_load_dwordx2 v[27:28], v[24:25], off offset:-128
	global_load_dwordx4 v[35:38], v[20:21], off offset:48
	global_load_dwordx4 v[39:42], v[20:21], off offset:32
	;; [unrolled: 1-line block ×3, first 2 shown]
	global_load_dwordx4 v[47:50], v[20:21], off
	s_waitcnt vmcnt(4)
	v_sub_co_u32_e32 v27, vcc, v27, v1
	v_subb_co_u32_e32 v28, vcc, v28, v2, vcc
	v_lshlrev_b64 v[27:28], 5, v[27:28]
	v_add_co_u32_e32 v27, vcc, s10, v27
	v_addc_co_u32_e32 v28, vcc, v26, v28, vcc
	global_load_dwordx4 v[51:54], v[27:28], off offset:16
	global_load_dwordx4 v[55:58], v[27:28], off
	s_waitcnt vmcnt(0)
	v_fmac_f32_e32 v31, v47, v55
	v_fma_f32 v27, -v48, v56, v31
	v_fmac_f32_e32 v27, v49, v57
	v_fma_f32 v27, -v50, v58, v27
	;; [unrolled: 2-line block ×3, first 2 shown]
	v_fmac_f32_e32 v7, v48, v55
	v_fmac_f32_e32 v27, v45, v53
	;; [unrolled: 1-line block ×5, first 2 shown]
	v_fma_f32 v29, -v46, v54, v27
	v_fma_f32 v27, -v40, v56, v33
	v_fmac_f32_e32 v17, v39, v56
	v_fmac_f32_e32 v7, v50, v57
	v_fmac_f32_e32 v27, v41, v57
	v_fmac_f32_e32 v17, v42, v57
	v_fmac_f32_e32 v7, v49, v58
	v_fma_f32 v27, -v42, v58, v27
	v_fmac_f32_e32 v17, v41, v58
	v_fmac_f32_e32 v7, v44, v51
	v_fmac_f32_e32 v27, v35, v51
	v_fmac_f32_e32 v17, v36, v51
	v_fmac_f32_e32 v7, v43, v52
	;; [unrolled: 6-line block ×3, first 2 shown]
	v_fma_f32 v59, -v38, v54, v27
	v_fmac_f32_e32 v17, v37, v54
	global_load_dwordx4 v[35:38], v[20:21], off offset:112
	global_load_dwordx4 v[39:42], v[20:21], off offset:96
	;; [unrolled: 1-line block ×4, first 2 shown]
	s_waitcnt vmcnt(2)
	v_fmac_f32_e32 v32, v39, v55
	v_fmac_f32_e32 v16, v40, v55
	s_waitcnt vmcnt(0)
	v_fmac_f32_e32 v34, v47, v55
	v_fma_f32 v27, -v48, v56, v34
	v_fmac_f32_e32 v27, v49, v57
	v_fma_f32 v27, -v50, v58, v27
	;; [unrolled: 2-line block ×4, first 2 shown]
	v_fma_f32 v27, -v40, v56, v32
	v_fmac_f32_e32 v27, v41, v57
	v_fma_f32 v27, -v42, v58, v27
	v_fmac_f32_e32 v27, v35, v51
	;; [unrolled: 2-line block ×3, first 2 shown]
	v_fmac_f32_e32 v30, v48, v55
	v_fma_f32 v55, -v38, v54, v27
	global_load_dwordx2 v[27:28], v[24:25], off offset:-64
	v_fmac_f32_e32 v30, v47, v56
	v_fmac_f32_e32 v16, v39, v56
	;; [unrolled: 1-line block ×14, first 2 shown]
	global_load_dwordx4 v[31:34], v[20:21], off offset:1072
	global_load_dwordx4 v[35:38], v[20:21], off offset:1056
	;; [unrolled: 1-line block ×4, first 2 shown]
	s_waitcnt vmcnt(4)
	v_sub_co_u32_e32 v27, vcc, v27, v1
	v_subb_co_u32_e32 v28, vcc, v28, v2, vcc
	v_lshlrev_b64 v[27:28], 5, v[27:28]
	v_add_co_u32_e32 v27, vcc, s10, v27
	v_addc_co_u32_e32 v28, vcc, v26, v28, vcc
	global_load_dwordx4 v[47:50], v[27:28], off offset:16
	global_load_dwordx4 v[51:54], v[27:28], off
	s_waitcnt vmcnt(0)
	v_fmac_f32_e32 v29, v43, v51
	v_fma_f32 v27, -v44, v52, v29
	v_fmac_f32_e32 v27, v45, v53
	v_fma_f32 v27, -v46, v54, v27
	;; [unrolled: 2-line block ×3, first 2 shown]
	v_fmac_f32_e32 v7, v44, v51
	v_fmac_f32_e32 v27, v41, v49
	;; [unrolled: 1-line block ×5, first 2 shown]
	v_fma_f32 v29, -v42, v50, v27
	v_fma_f32 v27, -v36, v52, v59
	v_fmac_f32_e32 v17, v35, v52
	v_fmac_f32_e32 v7, v46, v53
	v_fmac_f32_e32 v27, v37, v53
	v_fmac_f32_e32 v17, v38, v53
	v_fmac_f32_e32 v7, v45, v54
	v_fma_f32 v27, -v38, v54, v27
	v_fmac_f32_e32 v17, v37, v54
	v_fmac_f32_e32 v7, v40, v47
	v_fmac_f32_e32 v27, v31, v47
	v_fmac_f32_e32 v17, v32, v47
	v_fmac_f32_e32 v7, v39, v48
	;; [unrolled: 6-line block ×3, first 2 shown]
	v_fma_f32 v56, -v34, v50, v27
	v_fmac_f32_e32 v17, v33, v50
	global_load_dwordx4 v[31:34], v[20:21], off offset:1136
	global_load_dwordx4 v[35:38], v[20:21], off offset:1120
	;; [unrolled: 1-line block ×4, first 2 shown]
	s_waitcnt vmcnt(2)
	v_fmac_f32_e32 v55, v35, v51
	v_fmac_f32_e32 v16, v36, v51
	s_waitcnt vmcnt(0)
	v_fmac_f32_e32 v60, v43, v51
	v_fma_f32 v27, -v44, v52, v60
	v_fmac_f32_e32 v27, v45, v53
	v_fma_f32 v27, -v46, v54, v27
	;; [unrolled: 2-line block ×4, first 2 shown]
	v_fma_f32 v27, -v36, v52, v55
	v_fmac_f32_e32 v27, v37, v53
	v_fma_f32 v27, -v38, v54, v27
	v_fmac_f32_e32 v27, v31, v47
	;; [unrolled: 2-line block ×3, first 2 shown]
	v_fma_f32 v60, -v34, v50, v27
	global_load_dwordx2 v[27:28], v[24:25], off
	v_fmac_f32_e32 v30, v44, v51
	v_fmac_f32_e32 v30, v43, v52
	;; [unrolled: 1-line block ×15, first 2 shown]
	global_load_dwordx4 v[31:34], v[20:21], off offset:2096
	global_load_dwordx4 v[35:38], v[20:21], off offset:2080
	;; [unrolled: 1-line block ×4, first 2 shown]
	s_waitcnt vmcnt(4)
	v_sub_co_u32_e32 v27, vcc, v27, v1
	v_subb_co_u32_e32 v28, vcc, v28, v2, vcc
	v_lshlrev_b64 v[27:28], 5, v[27:28]
	v_add_co_u32_e32 v27, vcc, s10, v27
	v_addc_co_u32_e32 v28, vcc, v26, v28, vcc
	global_load_dwordx4 v[47:50], v[27:28], off offset:16
	global_load_dwordx4 v[51:54], v[27:28], off
	s_waitcnt vmcnt(0)
	v_fmac_f32_e32 v29, v43, v51
	v_fma_f32 v27, -v44, v52, v29
	v_fmac_f32_e32 v27, v45, v53
	v_fma_f32 v27, -v46, v54, v27
	v_fmac_f32_e32 v27, v39, v47
	v_fma_f32 v27, -v40, v48, v27
	v_fmac_f32_e32 v7, v44, v51
	v_fmac_f32_e32 v27, v41, v49
	v_fmac_f32_e32 v56, v35, v51
	v_fmac_f32_e32 v17, v36, v51
	v_fmac_f32_e32 v7, v43, v52
	v_fma_f32 v29, -v42, v50, v27
	v_fma_f32 v27, -v36, v52, v56
	v_fmac_f32_e32 v17, v35, v52
	v_fmac_f32_e32 v7, v46, v53
	v_fmac_f32_e32 v27, v37, v53
	v_fmac_f32_e32 v17, v38, v53
	v_fmac_f32_e32 v7, v45, v54
	v_fma_f32 v27, -v38, v54, v27
	v_fmac_f32_e32 v17, v37, v54
	v_fmac_f32_e32 v7, v40, v47
	v_fmac_f32_e32 v27, v31, v47
	v_fmac_f32_e32 v17, v32, v47
	v_fmac_f32_e32 v7, v39, v48
	;; [unrolled: 6-line block ×3, first 2 shown]
	v_fma_f32 v32, -v34, v50, v27
	v_fmac_f32_e32 v17, v33, v50
	global_load_dwordx4 v[33:36], v[20:21], off offset:2160
	global_load_dwordx4 v[37:40], v[20:21], off offset:2144
	;; [unrolled: 1-line block ×4, first 2 shown]
	s_waitcnt vmcnt(2)
	v_fmac_f32_e32 v60, v37, v51
	v_fmac_f32_e32 v16, v38, v51
	v_fma_f32 v28, -v38, v52, v60
	v_fmac_f32_e32 v16, v37, v52
	v_fmac_f32_e32 v28, v39, v53
	v_fmac_f32_e32 v16, v40, v53
	v_fma_f32 v28, -v40, v54, v28
	v_fmac_f32_e32 v16, v39, v54
	;; [unrolled: 4-line block ×3, first 2 shown]
	global_load_dwordx2 v[33:34], v[24:25], off offset:64
	s_waitcnt vmcnt(1)
	v_fmac_f32_e32 v59, v55, v51
	v_fmac_f32_e32 v30, v56, v51
	v_fma_f32 v27, -v56, v52, v59
	v_fmac_f32_e32 v30, v55, v52
	v_fmac_f32_e32 v27, v57, v53
	v_fmac_f32_e32 v30, v58, v53
	v_fma_f32 v27, -v58, v54, v27
	v_fmac_f32_e32 v30, v57, v54
	;; [unrolled: 4-line block ×3, first 2 shown]
	v_fmac_f32_e32 v27, v43, v49
	v_fmac_f32_e32 v30, v44, v49
	;; [unrolled: 1-line block ×4, first 2 shown]
	v_fma_f32 v27, -v44, v50, v27
	v_fmac_f32_e32 v30, v43, v50
	v_fma_f32 v28, -v36, v50, v28
	v_fmac_f32_e32 v16, v35, v50
	s_waitcnt vmcnt(0)
	v_sub_co_u32_e32 v49, vcc, v33, v1
	v_subb_co_u32_e32 v50, vcc, v34, v2, vcc
	v_lshlrev_b64 v[49:50], 5, v[49:50]
	global_load_dwordx4 v[33:36], v[20:21], off offset:3120
	global_load_dwordx4 v[37:40], v[20:21], off offset:3104
	global_load_dwordx4 v[41:44], v[20:21], off offset:3088
	global_load_dwordx4 v[45:48], v[20:21], off offset:3072
	v_add_co_u32_e32 v57, vcc, s10, v49
	v_addc_co_u32_e32 v58, vcc, v26, v50, vcc
	global_load_dwordx4 v[49:52], v[57:58], off offset:16
	global_load_dwordx4 v[53:56], v[57:58], off
	s_waitcnt vmcnt(0)
	v_fmac_f32_e32 v29, v45, v53
	v_fma_f32 v29, -v46, v54, v29
	v_fmac_f32_e32 v29, v47, v55
	v_fma_f32 v29, -v48, v56, v29
	v_fmac_f32_e32 v29, v41, v49
	v_fma_f32 v29, -v42, v50, v29
	v_fmac_f32_e32 v7, v46, v53
	v_fmac_f32_e32 v29, v43, v51
	;; [unrolled: 1-line block ×5, first 2 shown]
	v_fma_f32 v31, -v44, v52, v29
	v_fma_f32 v29, -v38, v54, v32
	v_fmac_f32_e32 v17, v37, v54
	v_fmac_f32_e32 v7, v48, v55
	v_fmac_f32_e32 v29, v39, v55
	v_fmac_f32_e32 v17, v40, v55
	v_fmac_f32_e32 v7, v47, v56
	v_fma_f32 v29, -v40, v56, v29
	v_fmac_f32_e32 v17, v39, v56
	v_fmac_f32_e32 v7, v42, v49
	v_fmac_f32_e32 v29, v33, v49
	v_fmac_f32_e32 v17, v34, v49
	v_fmac_f32_e32 v7, v41, v50
	;; [unrolled: 6-line block ×3, first 2 shown]
	v_fma_f32 v33, -v36, v52, v29
	v_fmac_f32_e32 v17, v35, v52
	global_load_dwordx4 v[35:38], v[20:21], off offset:3184
	global_load_dwordx4 v[39:42], v[20:21], off offset:3168
	;; [unrolled: 1-line block ×4, first 2 shown]
	v_add_co_u32_e32 v20, vcc, s8, v20
	v_addc_co_u32_e32 v21, vcc, 0, v21, vcc
	v_add_co_u32_e32 v22, vcc, 32, v22
	v_addc_co_u32_e32 v23, vcc, 0, v23, vcc
	;; [unrolled: 2-line block ×3, first 2 shown]
	v_cmp_ge_i64_e32 vcc, v[22:23], v[5:6]
	s_or_b64 s[6:7], vcc, s[6:7]
	s_waitcnt vmcnt(2)
	v_fmac_f32_e32 v28, v39, v53
	v_fmac_f32_e32 v16, v40, v53
	s_waitcnt vmcnt(0)
	v_fmac_f32_e32 v27, v57, v53
	v_fma_f32 v27, -v58, v54, v27
	v_fmac_f32_e32 v27, v59, v55
	v_fma_f32 v27, -v60, v56, v27
	;; [unrolled: 2-line block ×3, first 2 shown]
	v_fmac_f32_e32 v30, v58, v53
	v_fmac_f32_e32 v27, v45, v51
	;; [unrolled: 1-line block ×3, first 2 shown]
	v_fma_f32 v34, -v46, v52, v27
	v_fma_f32 v27, -v40, v54, v28
	v_fmac_f32_e32 v16, v39, v54
	v_fmac_f32_e32 v30, v60, v55
	v_fmac_f32_e32 v27, v41, v55
	v_fmac_f32_e32 v16, v42, v55
	v_fmac_f32_e32 v30, v59, v56
	v_fma_f32 v27, -v42, v56, v27
	v_fmac_f32_e32 v16, v41, v56
	v_fmac_f32_e32 v30, v44, v49
	v_fmac_f32_e32 v27, v35, v49
	v_fmac_f32_e32 v16, v36, v49
	v_fmac_f32_e32 v30, v43, v50
	;; [unrolled: 6-line block ×3, first 2 shown]
	v_fma_f32 v32, -v38, v52, v27
	v_fmac_f32_e32 v16, v37, v52
	s_andn2_b64 exec, exec, s[6:7]
	s_cbranch_execnz .LBB51_21
; %bb.22:
	s_or_b64 exec, exec, s[6:7]
.LBB51_23:
	s_or_b64 exec, exec, s[2:3]
.LBB51_24:
	s_or_b64 exec, exec, s[14:15]
	s_cbranch_execz .LBB51_26
	s_branch .LBB51_37
.LBB51_25:
                                        ; implicit-def: $vgpr7
                                        ; implicit-def: $vgpr31
                                        ; implicit-def: $vgpr32
                                        ; implicit-def: $vgpr16
                                        ; implicit-def: $vgpr34
                                        ; implicit-def: $vgpr30
                                        ; implicit-def: $vgpr33
                                        ; implicit-def: $vgpr17
.LBB51_26:
	v_mov_b32_e32 v7, 0
	v_mov_b32_e32 v31, 0
	;; [unrolled: 1-line block ×8, first 2 shown]
	s_and_saveexec_b64 s[2:3], s[0:1]
	s_cbranch_execz .LBB51_36
; %bb.27:
	v_or_b32_e32 v7, 8, v0
	v_sub_co_u32_e32 v7, vcc, v7, v1
	v_subb_co_u32_e32 v17, vcc, 0, v2, vcc
	v_add_co_u32_e32 v16, vcc, v7, v18
	v_addc_co_u32_e32 v17, vcc, v17, v19, vcc
	v_cmp_gt_i64_e32 vcc, v[16:17], v[5:6]
	v_not_b32_e32 v18, v18
	v_cndmask_b32_e32 v7, v6, v17, vcc
	v_cndmask_b32_e32 v16, v5, v16, vcc
	v_not_b32_e32 v17, v19
	v_sub_co_u32_e32 v19, vcc, v1, v0
	v_subbrev_co_u32_e32 v20, vcc, 0, v2, vcc
	v_add_co_u32_e32 v18, vcc, v19, v18
	v_addc_co_u32_e32 v17, vcc, v20, v17, vcc
	v_add_co_u32_e32 v18, vcc, v18, v16
	v_addc_co_u32_e32 v19, vcc, v17, v7, vcc
	v_and_b32_e32 v16, 24, v18
	v_mov_b32_e32 v17, 0
	v_cmp_ne_u64_e32 vcc, 24, v[16:17]
	v_mov_b32_e32 v33, v17
	v_mov_b32_e32 v30, v17
	;; [unrolled: 1-line block ×7, first 2 shown]
	s_and_saveexec_b64 s[0:1], vcc
	s_cbranch_execz .LBB51_31
; %bb.28:
	v_lshlrev_b64 v[16:17], 3, v[3:4]
	v_lshrrev_b32_e32 v7, 3, v18
	v_add_u32_e32 v7, 1, v7
	v_mov_b32_e32 v21, s13
	v_add_co_u32_e32 v20, vcc, s12, v16
	v_and_b32_e32 v22, 3, v7
	v_addc_co_u32_e32 v21, vcc, v21, v17, vcc
	v_sub_co_u32_e32 v22, vcc, 0, v22
	v_subb_co_u32_e64 v23, s[8:9], 0, 0, vcc
	v_mov_b32_e32 v7, 0
	s_mov_b64 s[6:7], 0
	s_movk_i32 s8, 0x400
	v_mov_b32_e32 v24, s11
	v_mov_b32_e32 v31, 0
	;; [unrolled: 1-line block ×8, first 2 shown]
.LBB51_29:                              ; =>This Inner Loop Header: Depth=1
	global_load_dwordx2 v[25:26], v[20:21], off
	s_waitcnt vmcnt(0)
	v_sub_co_u32_e32 v47, vcc, v25, v1
	v_subb_co_u32_e32 v48, vcc, v26, v2, vcc
	v_lshlrev_b64 v[47:48], 5, v[47:48]
	global_load_dwordx4 v[25:28], v[14:15], off offset:48
	global_load_dwordx4 v[35:38], v[14:15], off offset:32
	global_load_dwordx4 v[39:42], v[14:15], off offset:16
	global_load_dwordx4 v[43:46], v[14:15], off
	v_add_co_u32_e32 v55, vcc, s10, v47
	v_addc_co_u32_e32 v56, vcc, v24, v48, vcc
	global_load_dwordx4 v[47:50], v[55:56], off offset:16
	global_load_dwordx4 v[51:54], v[55:56], off
	s_waitcnt vmcnt(0)
	v_fmac_f32_e32 v31, v43, v51
	v_fmac_f32_e32 v7, v44, v51
	;; [unrolled: 1-line block ×8, first 2 shown]
	v_fma_f32 v29, -v44, v52, v31
	v_fmac_f32_e32 v7, v43, v52
	v_fma_f32 v31, -v46, v52, v33
	v_fmac_f32_e32 v17, v45, v52
	;; [unrolled: 2-line block ×4, first 2 shown]
	v_fmac_f32_e32 v29, v35, v53
	v_fmac_f32_e32 v7, v36, v53
	;; [unrolled: 1-line block ×8, first 2 shown]
	v_fma_f32 v29, -v36, v54, v29
	v_fmac_f32_e32 v7, v35, v54
	v_fma_f32 v31, -v38, v54, v31
	v_fmac_f32_e32 v17, v37, v54
	;; [unrolled: 2-line block ×4, first 2 shown]
	global_load_dwordx4 v[25:28], v[14:15], off offset:112
	global_load_dwordx4 v[32:35], v[14:15], off offset:96
	;; [unrolled: 1-line block ×4, first 2 shown]
	v_add_co_u32_e32 v14, vcc, s8, v14
	v_addc_co_u32_e32 v15, vcc, 0, v15, vcc
	v_add_co_u32_e32 v3, vcc, 8, v3
	v_addc_co_u32_e32 v4, vcc, 0, v4, vcc
	v_add_co_u32_e32 v20, vcc, 64, v20
	v_addc_co_u32_e32 v21, vcc, 0, v21, vcc
	v_add_co_u32_e32 v22, vcc, 1, v22
	v_addc_co_u32_e32 v23, vcc, 0, v23, vcc
	v_cmp_eq_u64_e32 vcc, 0, v[22:23]
	s_or_b64 s[6:7], vcc, s[6:7]
	s_waitcnt vmcnt(1)
	v_fmac_f32_e32 v44, v36, v47
	s_waitcnt vmcnt(0)
	v_fmac_f32_e32 v29, v40, v47
	v_fmac_f32_e32 v7, v41, v47
	;; [unrolled: 1-line block ×7, first 2 shown]
	v_fma_f32 v29, -v41, v48, v29
	v_fmac_f32_e32 v7, v40, v48
	v_fma_f32 v40, -v43, v48, v31
	v_fmac_f32_e32 v17, v42, v48
	;; [unrolled: 2-line block ×4, first 2 shown]
	v_fmac_f32_e32 v29, v32, v49
	v_fmac_f32_e32 v7, v33, v49
	;; [unrolled: 1-line block ×8, first 2 shown]
	v_fma_f32 v31, -v33, v50, v29
	v_fmac_f32_e32 v7, v32, v50
	v_fma_f32 v33, -v35, v50, v40
	v_fmac_f32_e32 v17, v34, v50
	;; [unrolled: 2-line block ×4, first 2 shown]
	s_andn2_b64 exec, exec, s[6:7]
	s_cbranch_execnz .LBB51_29
; %bb.30:
	s_or_b64 exec, exec, s[6:7]
.LBB51_31:
	s_or_b64 exec, exec, s[0:1]
	v_cmp_lt_u64_e32 vcc, 23, v[18:19]
	s_and_saveexec_b64 s[0:1], vcc
	s_cbranch_execz .LBB51_35
; %bb.32:
	v_lshlrev_b64 v[18:19], 3, v[3:4]
	v_mov_b32_e32 v20, s13
	v_add_co_u32_e32 v18, vcc, s12, v18
	v_addc_co_u32_e32 v19, vcc, v20, v19, vcc
	v_add_co_u32_e32 v18, vcc, 0x80, v18
	v_addc_co_u32_e32 v19, vcc, 0, v19, vcc
	s_mov_b64 s[6:7], 0
	v_mov_b32_e32 v20, s11
	s_movk_i32 s8, 0x1000
.LBB51_33:                              ; =>This Inner Loop Header: Depth=1
	global_load_dwordx2 v[21:22], v[18:19], off offset:-128
	s_waitcnt vmcnt(0)
	v_sub_co_u32_e32 v43, vcc, v21, v1
	v_subb_co_u32_e32 v44, vcc, v22, v2, vcc
	v_lshlrev_b64 v[43:44], 5, v[43:44]
	global_load_dwordx4 v[21:24], v[14:15], off offset:48
	global_load_dwordx4 v[25:28], v[14:15], off offset:32
	;; [unrolled: 1-line block ×3, first 2 shown]
	global_load_dwordx4 v[39:42], v[14:15], off
	v_add_co_u32_e32 v51, vcc, s10, v43
	v_addc_co_u32_e32 v52, vcc, v20, v44, vcc
	global_load_dwordx4 v[43:46], v[51:52], off offset:16
	global_load_dwordx4 v[47:50], v[51:52], off
	s_waitcnt vmcnt(0)
	v_fmac_f32_e32 v31, v39, v47
	v_fmac_f32_e32 v7, v40, v47
	;; [unrolled: 1-line block ×8, first 2 shown]
	v_fma_f32 v29, -v40, v48, v31
	v_fmac_f32_e32 v7, v39, v48
	v_fma_f32 v31, -v42, v48, v33
	v_fmac_f32_e32 v17, v41, v48
	;; [unrolled: 2-line block ×4, first 2 shown]
	v_fmac_f32_e32 v29, v25, v49
	v_fmac_f32_e32 v7, v26, v49
	;; [unrolled: 1-line block ×8, first 2 shown]
	v_fma_f32 v29, -v26, v50, v29
	v_fmac_f32_e32 v7, v25, v50
	v_fma_f32 v39, -v28, v50, v31
	v_fmac_f32_e32 v17, v27, v50
	;; [unrolled: 2-line block ×4, first 2 shown]
	global_load_dwordx4 v[21:24], v[14:15], off offset:112
	global_load_dwordx4 v[25:28], v[14:15], off offset:96
	;; [unrolled: 1-line block ×4, first 2 shown]
	s_waitcnt vmcnt(1)
	v_fmac_f32_e32 v40, v31, v43
	s_waitcnt vmcnt(0)
	v_fmac_f32_e32 v29, v35, v43
	v_fmac_f32_e32 v30, v32, v43
	v_fma_f32 v29, -v36, v44, v29
	v_fmac_f32_e32 v7, v36, v43
	v_fma_f32 v36, -v32, v44, v40
	v_fmac_f32_e32 v30, v31, v44
	v_fmac_f32_e32 v36, v21, v45
	;; [unrolled: 1-line block ×3, first 2 shown]
	v_fma_f32 v50, -v22, v46, v36
	v_fmac_f32_e32 v30, v21, v46
	global_load_dwordx2 v[21:22], v[18:19], off offset:-64
	v_fmac_f32_e32 v39, v37, v43
	v_fmac_f32_e32 v7, v35, v44
	v_fma_f32 v35, -v38, v44, v39
	v_fmac_f32_e32 v17, v38, v43
	v_fmac_f32_e32 v41, v33, v43
	;; [unrolled: 1-line block ×4, first 2 shown]
	v_fma_f32 v31, -v34, v44, v41
	v_fmac_f32_e32 v16, v33, v44
	v_fmac_f32_e32 v29, v25, v45
	;; [unrolled: 1-line block ×7, first 2 shown]
	v_fma_f32 v29, -v26, v46, v29
	v_fmac_f32_e32 v7, v25, v46
	v_fma_f32 v49, -v28, v46, v35
	v_fmac_f32_e32 v17, v27, v46
	;; [unrolled: 2-line block ×3, first 2 shown]
	s_waitcnt vmcnt(0)
	v_sub_co_u32_e32 v39, vcc, v21, v1
	v_subb_co_u32_e32 v40, vcc, v22, v2, vcc
	v_lshlrev_b64 v[39:40], 5, v[39:40]
	global_load_dwordx4 v[21:24], v[14:15], off offset:1072
	global_load_dwordx4 v[25:28], v[14:15], off offset:1056
	;; [unrolled: 1-line block ×4, first 2 shown]
	v_add_co_u32_e32 v47, vcc, s10, v39
	v_addc_co_u32_e32 v48, vcc, v20, v40, vcc
	global_load_dwordx4 v[39:42], v[47:48], off offset:16
	global_load_dwordx4 v[43:46], v[47:48], off
	s_waitcnt vmcnt(0)
	v_fmac_f32_e32 v29, v35, v43
	v_fmac_f32_e32 v7, v36, v43
	v_fmac_f32_e32 v49, v37, v43
	v_fmac_f32_e32 v17, v38, v43
	v_fmac_f32_e32 v50, v31, v43
	v_fmac_f32_e32 v30, v32, v43
	v_fmac_f32_e32 v51, v33, v43
	v_fmac_f32_e32 v16, v34, v43
	v_fma_f32 v29, -v36, v44, v29
	v_fmac_f32_e32 v7, v35, v44
	v_fma_f32 v35, -v38, v44, v49
	v_fmac_f32_e32 v17, v37, v44
	;; [unrolled: 2-line block ×4, first 2 shown]
	v_fmac_f32_e32 v29, v25, v45
	v_fmac_f32_e32 v7, v26, v45
	;; [unrolled: 1-line block ×8, first 2 shown]
	v_fma_f32 v29, -v26, v46, v29
	v_fmac_f32_e32 v7, v25, v46
	v_fma_f32 v43, -v28, v46, v35
	v_fmac_f32_e32 v17, v27, v46
	v_fma_f32 v44, -v22, v46, v36
	v_fmac_f32_e32 v30, v21, v46
	v_fma_f32 v47, -v24, v46, v31
	v_fmac_f32_e32 v16, v23, v46
	global_load_dwordx4 v[21:24], v[14:15], off offset:1136
	global_load_dwordx4 v[25:28], v[14:15], off offset:1120
	;; [unrolled: 1-line block ×4, first 2 shown]
	s_waitcnt vmcnt(1)
	v_fmac_f32_e32 v44, v31, v39
	s_waitcnt vmcnt(0)
	v_fmac_f32_e32 v29, v35, v39
	v_fmac_f32_e32 v30, v32, v39
	v_fma_f32 v29, -v36, v40, v29
	v_fmac_f32_e32 v7, v36, v39
	v_fma_f32 v36, -v32, v40, v44
	v_fmac_f32_e32 v30, v31, v40
	v_fmac_f32_e32 v36, v21, v41
	;; [unrolled: 1-line block ×3, first 2 shown]
	v_fma_f32 v50, -v22, v42, v36
	v_fmac_f32_e32 v30, v21, v42
	global_load_dwordx2 v[21:22], v[18:19], off
	v_fmac_f32_e32 v43, v37, v39
	v_fmac_f32_e32 v17, v38, v39
	;; [unrolled: 1-line block ×5, first 2 shown]
	v_fma_f32 v35, -v38, v40, v43
	v_fmac_f32_e32 v17, v37, v40
	v_fma_f32 v31, -v34, v40, v47
	v_fmac_f32_e32 v16, v33, v40
	v_fmac_f32_e32 v29, v25, v41
	;; [unrolled: 1-line block ×7, first 2 shown]
	v_fma_f32 v29, -v26, v42, v29
	v_fmac_f32_e32 v7, v25, v42
	v_fma_f32 v49, -v28, v42, v35
	v_fmac_f32_e32 v17, v27, v42
	;; [unrolled: 2-line block ×3, first 2 shown]
	s_waitcnt vmcnt(0)
	v_sub_co_u32_e32 v39, vcc, v21, v1
	v_subb_co_u32_e32 v40, vcc, v22, v2, vcc
	v_lshlrev_b64 v[39:40], 5, v[39:40]
	global_load_dwordx4 v[21:24], v[14:15], off offset:2096
	global_load_dwordx4 v[25:28], v[14:15], off offset:2080
	;; [unrolled: 1-line block ×4, first 2 shown]
	v_add_co_u32_e32 v47, vcc, s10, v39
	v_addc_co_u32_e32 v48, vcc, v20, v40, vcc
	global_load_dwordx4 v[39:42], v[47:48], off offset:16
	global_load_dwordx4 v[43:46], v[47:48], off
	s_waitcnt vmcnt(0)
	v_fmac_f32_e32 v29, v35, v43
	v_fmac_f32_e32 v7, v36, v43
	;; [unrolled: 1-line block ×8, first 2 shown]
	v_fma_f32 v29, -v36, v44, v29
	v_fmac_f32_e32 v7, v35, v44
	v_fma_f32 v35, -v38, v44, v49
	v_fmac_f32_e32 v17, v37, v44
	;; [unrolled: 2-line block ×4, first 2 shown]
	v_fmac_f32_e32 v29, v25, v45
	v_fmac_f32_e32 v7, v26, v45
	v_fmac_f32_e32 v35, v27, v45
	v_fmac_f32_e32 v17, v28, v45
	v_fmac_f32_e32 v36, v21, v45
	v_fmac_f32_e32 v30, v22, v45
	v_fmac_f32_e32 v31, v23, v45
	v_fmac_f32_e32 v16, v24, v45
	v_fma_f32 v29, -v26, v46, v29
	v_fmac_f32_e32 v7, v25, v46
	v_fma_f32 v47, -v28, v46, v35
	v_fmac_f32_e32 v17, v27, v46
	;; [unrolled: 2-line block ×4, first 2 shown]
	global_load_dwordx4 v[24:27], v[14:15], off offset:2160
	global_load_dwordx4 v[31:34], v[14:15], off offset:2144
	;; [unrolled: 1-line block ×4, first 2 shown]
	s_waitcnt vmcnt(1)
	v_fmac_f32_e32 v28, v35, v39
	s_waitcnt vmcnt(0)
	v_fmac_f32_e32 v29, v43, v39
	v_fmac_f32_e32 v47, v45, v39
	;; [unrolled: 1-line block ×3, first 2 shown]
	v_fma_f32 v22, -v44, v40, v29
	v_fma_f32 v23, -v46, v40, v47
	;; [unrolled: 1-line block ×3, first 2 shown]
	v_fmac_f32_e32 v30, v36, v39
	v_fmac_f32_e32 v21, v37, v39
	;; [unrolled: 1-line block ×4, first 2 shown]
	v_fma_f32 v29, -v38, v40, v21
	v_fmac_f32_e32 v22, v31, v41
	v_fmac_f32_e32 v23, v33, v41
	;; [unrolled: 1-line block ×4, first 2 shown]
	v_fma_f32 v21, -v32, v42, v22
	v_fma_f32 v22, -v34, v42, v23
	;; [unrolled: 1-line block ×3, first 2 shown]
	v_fmac_f32_e32 v30, v25, v41
	v_fmac_f32_e32 v29, v26, v41
	;; [unrolled: 1-line block ×3, first 2 shown]
	global_load_dwordx2 v[25:26], v[18:19], off offset:64
	v_fmac_f32_e32 v7, v44, v39
	v_fmac_f32_e32 v7, v43, v40
	;; [unrolled: 1-line block ×9, first 2 shown]
	v_fma_f32 v24, -v27, v42, v29
	s_waitcnt vmcnt(0)
	v_sub_co_u32_e32 v43, vcc, v25, v1
	v_subb_co_u32_e32 v44, vcc, v26, v2, vcc
	v_lshlrev_b64 v[43:44], 5, v[43:44]
	global_load_dwordx4 v[25:28], v[14:15], off offset:3120
	global_load_dwordx4 v[31:34], v[14:15], off offset:3104
	global_load_dwordx4 v[35:38], v[14:15], off offset:3088
	global_load_dwordx4 v[39:42], v[14:15], off offset:3072
	v_add_co_u32_e32 v51, vcc, s10, v43
	v_addc_co_u32_e32 v52, vcc, v20, v44, vcc
	global_load_dwordx4 v[43:46], v[51:52], off offset:16
	global_load_dwordx4 v[47:50], v[51:52], off
	s_waitcnt vmcnt(0)
	v_fmac_f32_e32 v21, v39, v47
	v_fmac_f32_e32 v7, v40, v47
	;; [unrolled: 1-line block ×8, first 2 shown]
	v_fma_f32 v21, -v40, v48, v21
	v_fmac_f32_e32 v7, v39, v48
	v_fma_f32 v22, -v42, v48, v22
	v_fmac_f32_e32 v17, v41, v48
	v_fma_f32 v23, -v36, v48, v23
	v_fmac_f32_e32 v30, v35, v48
	v_fma_f32 v24, -v38, v48, v24
	v_fmac_f32_e32 v16, v37, v48
	v_fmac_f32_e32 v21, v31, v49
	v_fmac_f32_e32 v7, v32, v49
	v_fmac_f32_e32 v22, v33, v49
	v_fmac_f32_e32 v17, v34, v49
	v_fmac_f32_e32 v23, v25, v49
	v_fmac_f32_e32 v30, v26, v49
	v_fmac_f32_e32 v24, v27, v49
	v_fmac_f32_e32 v16, v28, v49
	v_fma_f32 v29, -v32, v50, v21
	v_fmac_f32_e32 v7, v31, v50
	v_fma_f32 v39, -v34, v50, v22
	v_fmac_f32_e32 v17, v33, v50
	v_fma_f32 v40, -v26, v50, v23
	v_fmac_f32_e32 v30, v25, v50
	v_fma_f32 v41, -v28, v50, v24
	v_fmac_f32_e32 v16, v27, v50
	global_load_dwordx4 v[21:24], v[14:15], off offset:3184
	global_load_dwordx4 v[25:28], v[14:15], off offset:3168
	;; [unrolled: 1-line block ×4, first 2 shown]
	v_add_co_u32_e32 v14, vcc, s8, v14
	v_addc_co_u32_e32 v15, vcc, 0, v15, vcc
	v_add_co_u32_e32 v3, vcc, 32, v3
	v_addc_co_u32_e32 v4, vcc, 0, v4, vcc
	;; [unrolled: 2-line block ×3, first 2 shown]
	v_cmp_ge_i64_e32 vcc, v[3:4], v[5:6]
	s_or_b64 s[6:7], vcc, s[6:7]
	s_waitcnt vmcnt(1)
	v_fmac_f32_e32 v40, v31, v43
	s_waitcnt vmcnt(0)
	v_fmac_f32_e32 v29, v35, v43
	v_fmac_f32_e32 v7, v36, v43
	;; [unrolled: 1-line block ×7, first 2 shown]
	v_fma_f32 v29, -v36, v44, v29
	v_fmac_f32_e32 v7, v35, v44
	v_fma_f32 v35, -v38, v44, v39
	v_fmac_f32_e32 v17, v37, v44
	;; [unrolled: 2-line block ×4, first 2 shown]
	v_fmac_f32_e32 v29, v25, v45
	v_fmac_f32_e32 v7, v26, v45
	;; [unrolled: 1-line block ×8, first 2 shown]
	v_fma_f32 v31, -v26, v46, v29
	v_fmac_f32_e32 v7, v25, v46
	v_fma_f32 v33, -v28, v46, v35
	v_fmac_f32_e32 v17, v27, v46
	;; [unrolled: 2-line block ×4, first 2 shown]
	s_andn2_b64 exec, exec, s[6:7]
	s_cbranch_execnz .LBB51_33
; %bb.34:
	s_or_b64 exec, exec, s[6:7]
.LBB51_35:
	s_or_b64 exec, exec, s[0:1]
.LBB51_36:
	s_or_b64 exec, exec, s[2:3]
.LBB51_37:
	v_mov_b32_dpp v3, v7 row_shr:1 row_mask:0xf bank_mask:0xf
	v_mov_b32_dpp v1, v31 row_shr:1 row_mask:0xf bank_mask:0xf
	v_add_f32_e32 v3, v7, v3
	v_mov_b32_dpp v5, v33 row_shr:1 row_mask:0xf bank_mask:0xf
	v_mov_b32_dpp v7, v17 row_shr:1 row_mask:0xf bank_mask:0xf
	;; [unrolled: 1-line block ×6, first 2 shown]
	v_add_f32_e32 v1, v31, v1
	v_add_f32_e32 v5, v33, v5
	;; [unrolled: 1-line block ×7, first 2 shown]
	v_mov_b32_dpp v2, v1 row_shr:2 row_mask:0xf bank_mask:0xf
	v_mov_b32_dpp v4, v3 row_shr:2 row_mask:0xf bank_mask:0xf
	;; [unrolled: 1-line block ×8, first 2 shown]
	v_add_f32_e32 v1, v1, v2
	v_add_f32_e32 v3, v3, v4
	;; [unrolled: 1-line block ×8, first 2 shown]
	v_mov_b32_dpp v2, v1 row_shr:4 row_mask:0xf bank_mask:0xe
	v_mov_b32_dpp v4, v3 row_shr:4 row_mask:0xf bank_mask:0xe
	;; [unrolled: 1-line block ×8, first 2 shown]
	v_cmp_eq_u32_e32 vcc, 7, v0
	s_and_b64 exec, exec, vcc
	s_cbranch_execz .LBB51_8
; %bb.38:
	s_load_dwordx2 s[2:3], s[4:5], 0x58
	v_add_f32_e32 v23, v1, v2
	v_add_f32_e32 v0, v3, v4
	;; [unrolled: 1-line block ×8, first 2 shown]
	v_cmp_eq_f32_e32 vcc, 0, v8
	v_cmp_eq_f32_e64 s[0:1], 0, v9
	v_mul_f32_e64 v4, v0, -v11
	v_mul_f32_e32 v5, v10, v0
	v_mul_f32_e64 v6, v1, -v11
	v_mul_f32_e32 v7, v10, v1
	;; [unrolled: 2-line block ×4, first 2 shown]
	v_lshlrev_b64 v[12:13], 5, v[12:13]
	s_and_b64 s[0:1], vcc, s[0:1]
	v_fmac_f32_e32 v4, v10, v23
	v_fmac_f32_e32 v5, v11, v23
	;; [unrolled: 1-line block ×8, first 2 shown]
	s_and_saveexec_b64 s[4:5], s[0:1]
	s_xor_b64 s[0:1], exec, s[4:5]
	s_cbranch_execz .LBB51_40
; %bb.39:
	s_waitcnt lgkmcnt(0)
	v_mov_b32_e32 v9, s3
	v_add_co_u32_e32 v8, vcc, s2, v12
	v_addc_co_u32_e32 v9, vcc, v9, v13, vcc
	global_store_dwordx4 v[8:9], v[4:7], off
	global_store_dwordx4 v[8:9], v[0:3], off offset:16
                                        ; implicit-def: $vgpr8_vgpr9
                                        ; implicit-def: $vgpr4
                                        ; implicit-def: $vgpr12_vgpr13
                                        ; implicit-def: $vgpr0
.LBB51_40:
	s_andn2_saveexec_b64 s[0:1], s[0:1]
	s_cbranch_execz .LBB51_8
; %bb.41:
	s_waitcnt lgkmcnt(0)
	v_mov_b32_e32 v10, s3
	v_add_co_u32_e32 v18, vcc, s2, v12
	v_addc_co_u32_e32 v19, vcc, v10, v13, vcc
	global_load_dwordx4 v[10:13], v[18:19], off
	global_load_dwordx4 v[14:17], v[18:19], off offset:16
	s_waitcnt vmcnt(1)
	v_fmac_f32_e32 v4, v8, v10
	v_fmac_f32_e32 v5, v9, v10
	;; [unrolled: 1-line block ×4, first 2 shown]
	s_waitcnt vmcnt(0)
	v_fmac_f32_e32 v0, v8, v14
	v_fmac_f32_e32 v1, v9, v14
	;; [unrolled: 1-line block ×4, first 2 shown]
	v_fma_f32 v4, -v9, v11, v4
	v_fmac_f32_e32 v5, v8, v11
	v_fma_f32 v6, -v9, v13, v6
	v_fmac_f32_e32 v7, v8, v13
	;; [unrolled: 2-line block ×4, first 2 shown]
	global_store_dwordx4 v[18:19], v[4:7], off
	global_store_dwordx4 v[18:19], v[0:3], off offset:16
	s_endpgm
	.section	.rodata,"a",@progbits
	.p2align	6, 0x0
	.amdhsa_kernel _ZN9rocsparseL18bsrxmvn_4x4_kernelILj128ELj8E21rocsparse_complex_numIfEllS2_S2_S2_EEvT3_20rocsparse_direction_NS_24const_host_device_scalarIT1_EES3_PKS3_PKT2_SC_S9_PKT4_PKT5_S7_PT6_21rocsparse_index_base_b
		.amdhsa_group_segment_fixed_size 0
		.amdhsa_private_segment_fixed_size 0
		.amdhsa_kernarg_size 104
		.amdhsa_user_sgpr_count 6
		.amdhsa_user_sgpr_private_segment_buffer 1
		.amdhsa_user_sgpr_dispatch_ptr 0
		.amdhsa_user_sgpr_queue_ptr 0
		.amdhsa_user_sgpr_kernarg_segment_ptr 1
		.amdhsa_user_sgpr_dispatch_id 0
		.amdhsa_user_sgpr_flat_scratch_init 0
		.amdhsa_user_sgpr_private_segment_size 0
		.amdhsa_uses_dynamic_stack 0
		.amdhsa_system_sgpr_private_segment_wavefront_offset 0
		.amdhsa_system_sgpr_workgroup_id_x 1
		.amdhsa_system_sgpr_workgroup_id_y 0
		.amdhsa_system_sgpr_workgroup_id_z 0
		.amdhsa_system_sgpr_workgroup_info 0
		.amdhsa_system_vgpr_workitem_id 0
		.amdhsa_next_free_vgpr 61
		.amdhsa_next_free_sgpr 21
		.amdhsa_reserve_vcc 1
		.amdhsa_reserve_flat_scratch 0
		.amdhsa_float_round_mode_32 0
		.amdhsa_float_round_mode_16_64 0
		.amdhsa_float_denorm_mode_32 3
		.amdhsa_float_denorm_mode_16_64 3
		.amdhsa_dx10_clamp 1
		.amdhsa_ieee_mode 1
		.amdhsa_fp16_overflow 0
		.amdhsa_exception_fp_ieee_invalid_op 0
		.amdhsa_exception_fp_denorm_src 0
		.amdhsa_exception_fp_ieee_div_zero 0
		.amdhsa_exception_fp_ieee_overflow 0
		.amdhsa_exception_fp_ieee_underflow 0
		.amdhsa_exception_fp_ieee_inexact 0
		.amdhsa_exception_int_div_zero 0
	.end_amdhsa_kernel
	.section	.text._ZN9rocsparseL18bsrxmvn_4x4_kernelILj128ELj8E21rocsparse_complex_numIfEllS2_S2_S2_EEvT3_20rocsparse_direction_NS_24const_host_device_scalarIT1_EES3_PKS3_PKT2_SC_S9_PKT4_PKT5_S7_PT6_21rocsparse_index_base_b,"axG",@progbits,_ZN9rocsparseL18bsrxmvn_4x4_kernelILj128ELj8E21rocsparse_complex_numIfEllS2_S2_S2_EEvT3_20rocsparse_direction_NS_24const_host_device_scalarIT1_EES3_PKS3_PKT2_SC_S9_PKT4_PKT5_S7_PT6_21rocsparse_index_base_b,comdat
.Lfunc_end51:
	.size	_ZN9rocsparseL18bsrxmvn_4x4_kernelILj128ELj8E21rocsparse_complex_numIfEllS2_S2_S2_EEvT3_20rocsparse_direction_NS_24const_host_device_scalarIT1_EES3_PKS3_PKT2_SC_S9_PKT4_PKT5_S7_PT6_21rocsparse_index_base_b, .Lfunc_end51-_ZN9rocsparseL18bsrxmvn_4x4_kernelILj128ELj8E21rocsparse_complex_numIfEllS2_S2_S2_EEvT3_20rocsparse_direction_NS_24const_host_device_scalarIT1_EES3_PKS3_PKT2_SC_S9_PKT4_PKT5_S7_PT6_21rocsparse_index_base_b
                                        ; -- End function
	.set _ZN9rocsparseL18bsrxmvn_4x4_kernelILj128ELj8E21rocsparse_complex_numIfEllS2_S2_S2_EEvT3_20rocsparse_direction_NS_24const_host_device_scalarIT1_EES3_PKS3_PKT2_SC_S9_PKT4_PKT5_S7_PT6_21rocsparse_index_base_b.num_vgpr, 61
	.set _ZN9rocsparseL18bsrxmvn_4x4_kernelILj128ELj8E21rocsparse_complex_numIfEllS2_S2_S2_EEvT3_20rocsparse_direction_NS_24const_host_device_scalarIT1_EES3_PKS3_PKT2_SC_S9_PKT4_PKT5_S7_PT6_21rocsparse_index_base_b.num_agpr, 0
	.set _ZN9rocsparseL18bsrxmvn_4x4_kernelILj128ELj8E21rocsparse_complex_numIfEllS2_S2_S2_EEvT3_20rocsparse_direction_NS_24const_host_device_scalarIT1_EES3_PKS3_PKT2_SC_S9_PKT4_PKT5_S7_PT6_21rocsparse_index_base_b.numbered_sgpr, 21
	.set _ZN9rocsparseL18bsrxmvn_4x4_kernelILj128ELj8E21rocsparse_complex_numIfEllS2_S2_S2_EEvT3_20rocsparse_direction_NS_24const_host_device_scalarIT1_EES3_PKS3_PKT2_SC_S9_PKT4_PKT5_S7_PT6_21rocsparse_index_base_b.num_named_barrier, 0
	.set _ZN9rocsparseL18bsrxmvn_4x4_kernelILj128ELj8E21rocsparse_complex_numIfEllS2_S2_S2_EEvT3_20rocsparse_direction_NS_24const_host_device_scalarIT1_EES3_PKS3_PKT2_SC_S9_PKT4_PKT5_S7_PT6_21rocsparse_index_base_b.private_seg_size, 0
	.set _ZN9rocsparseL18bsrxmvn_4x4_kernelILj128ELj8E21rocsparse_complex_numIfEllS2_S2_S2_EEvT3_20rocsparse_direction_NS_24const_host_device_scalarIT1_EES3_PKS3_PKT2_SC_S9_PKT4_PKT5_S7_PT6_21rocsparse_index_base_b.uses_vcc, 1
	.set _ZN9rocsparseL18bsrxmvn_4x4_kernelILj128ELj8E21rocsparse_complex_numIfEllS2_S2_S2_EEvT3_20rocsparse_direction_NS_24const_host_device_scalarIT1_EES3_PKS3_PKT2_SC_S9_PKT4_PKT5_S7_PT6_21rocsparse_index_base_b.uses_flat_scratch, 0
	.set _ZN9rocsparseL18bsrxmvn_4x4_kernelILj128ELj8E21rocsparse_complex_numIfEllS2_S2_S2_EEvT3_20rocsparse_direction_NS_24const_host_device_scalarIT1_EES3_PKS3_PKT2_SC_S9_PKT4_PKT5_S7_PT6_21rocsparse_index_base_b.has_dyn_sized_stack, 0
	.set _ZN9rocsparseL18bsrxmvn_4x4_kernelILj128ELj8E21rocsparse_complex_numIfEllS2_S2_S2_EEvT3_20rocsparse_direction_NS_24const_host_device_scalarIT1_EES3_PKS3_PKT2_SC_S9_PKT4_PKT5_S7_PT6_21rocsparse_index_base_b.has_recursion, 0
	.set _ZN9rocsparseL18bsrxmvn_4x4_kernelILj128ELj8E21rocsparse_complex_numIfEllS2_S2_S2_EEvT3_20rocsparse_direction_NS_24const_host_device_scalarIT1_EES3_PKS3_PKT2_SC_S9_PKT4_PKT5_S7_PT6_21rocsparse_index_base_b.has_indirect_call, 0
	.section	.AMDGPU.csdata,"",@progbits
; Kernel info:
; codeLenInByte = 6500
; TotalNumSgprs: 25
; NumVgprs: 61
; ScratchSize: 0
; MemoryBound: 0
; FloatMode: 240
; IeeeMode: 1
; LDSByteSize: 0 bytes/workgroup (compile time only)
; SGPRBlocks: 3
; VGPRBlocks: 15
; NumSGPRsForWavesPerEU: 25
; NumVGPRsForWavesPerEU: 61
; Occupancy: 4
; WaveLimiterHint : 1
; COMPUTE_PGM_RSRC2:SCRATCH_EN: 0
; COMPUTE_PGM_RSRC2:USER_SGPR: 6
; COMPUTE_PGM_RSRC2:TRAP_HANDLER: 0
; COMPUTE_PGM_RSRC2:TGID_X_EN: 1
; COMPUTE_PGM_RSRC2:TGID_Y_EN: 0
; COMPUTE_PGM_RSRC2:TGID_Z_EN: 0
; COMPUTE_PGM_RSRC2:TIDIG_COMP_CNT: 0
	.section	.text._ZN9rocsparseL18bsrxmvn_4x4_kernelILj128ELj16E21rocsparse_complex_numIfEllS2_S2_S2_EEvT3_20rocsparse_direction_NS_24const_host_device_scalarIT1_EES3_PKS3_PKT2_SC_S9_PKT4_PKT5_S7_PT6_21rocsparse_index_base_b,"axG",@progbits,_ZN9rocsparseL18bsrxmvn_4x4_kernelILj128ELj16E21rocsparse_complex_numIfEllS2_S2_S2_EEvT3_20rocsparse_direction_NS_24const_host_device_scalarIT1_EES3_PKS3_PKT2_SC_S9_PKT4_PKT5_S7_PT6_21rocsparse_index_base_b,comdat
	.globl	_ZN9rocsparseL18bsrxmvn_4x4_kernelILj128ELj16E21rocsparse_complex_numIfEllS2_S2_S2_EEvT3_20rocsparse_direction_NS_24const_host_device_scalarIT1_EES3_PKS3_PKT2_SC_S9_PKT4_PKT5_S7_PT6_21rocsparse_index_base_b ; -- Begin function _ZN9rocsparseL18bsrxmvn_4x4_kernelILj128ELj16E21rocsparse_complex_numIfEllS2_S2_S2_EEvT3_20rocsparse_direction_NS_24const_host_device_scalarIT1_EES3_PKS3_PKT2_SC_S9_PKT4_PKT5_S7_PT6_21rocsparse_index_base_b
	.p2align	8
	.type	_ZN9rocsparseL18bsrxmvn_4x4_kernelILj128ELj16E21rocsparse_complex_numIfEllS2_S2_S2_EEvT3_20rocsparse_direction_NS_24const_host_device_scalarIT1_EES3_PKS3_PKT2_SC_S9_PKT4_PKT5_S7_PT6_21rocsparse_index_base_b,@function
_ZN9rocsparseL18bsrxmvn_4x4_kernelILj128ELj16E21rocsparse_complex_numIfEllS2_S2_S2_EEvT3_20rocsparse_direction_NS_24const_host_device_scalarIT1_EES3_PKS3_PKT2_SC_S9_PKT4_PKT5_S7_PT6_21rocsparse_index_base_b: ; @_ZN9rocsparseL18bsrxmvn_4x4_kernelILj128ELj16E21rocsparse_complex_numIfEllS2_S2_S2_EEvT3_20rocsparse_direction_NS_24const_host_device_scalarIT1_EES3_PKS3_PKT2_SC_S9_PKT4_PKT5_S7_PT6_21rocsparse_index_base_b
; %bb.0:
	s_load_dwordx4 s[0:3], s[4:5], 0x10
	s_load_dwordx2 s[8:9], s[4:5], 0x60
	s_add_u32 s7, s4, 16
	s_addc_u32 s12, s5, 0
	s_add_u32 s13, s4, 0x50
	s_load_dwordx2 s[10:11], s[4:5], 0x50
	s_addc_u32 s14, s5, 0
	s_waitcnt lgkmcnt(0)
	s_bitcmp1_b32 s9, 0
	s_cselect_b32 s1, s12, s1
	s_cselect_b32 s0, s7, s0
	v_mov_b32_e32 v1, s0
	v_mov_b32_e32 v2, s1
	flat_load_dwordx2 v[10:11], v[1:2]
	s_cselect_b32 s0, s14, s11
	s_cselect_b32 s1, s13, s10
	v_mov_b32_e32 v1, s1
	v_mov_b32_e32 v2, s0
	flat_load_dwordx2 v[8:9], v[1:2]
	s_waitcnt vmcnt(0) lgkmcnt(0)
	v_cmp_eq_f32_e32 vcc, 0, v10
	v_cmp_eq_f32_e64 s[0:1], 0, v11
	s_and_b64 s[12:13], vcc, s[0:1]
	s_mov_b64 s[0:1], -1
	s_and_saveexec_b64 s[10:11], s[12:13]
; %bb.1:
	v_cmp_neq_f32_e32 vcc, 1.0, v8
	v_cmp_neq_f32_e64 s[0:1], 0, v9
	s_or_b64 s[0:1], vcc, s[0:1]
	s_orn2_b64 s[0:1], s[0:1], exec
; %bb.2:
	s_or_b64 exec, exec, s[10:11]
	s_and_saveexec_b64 s[10:11], s[0:1]
	s_cbranch_execz .LBB52_8
; %bb.3:
	s_load_dwordx2 s[10:11], s[4:5], 0x20
	v_lshrrev_b32_e32 v1, 4, v0
	v_lshl_or_b32 v3, s6, 3, v1
	v_mov_b32_e32 v4, 0
	s_mov_b64 s[0:1], 0
	s_waitcnt lgkmcnt(0)
	s_cmp_lg_u64 s[10:11], 0
	s_cbranch_scc0 .LBB52_9
; %bb.4:
	v_cmp_gt_i64_e32 vcc, s[2:3], v[3:4]
                                        ; implicit-def: $vgpr12_vgpr13
                                        ; implicit-def: $vgpr1_vgpr2
	s_and_saveexec_b64 s[2:3], vcc
	s_xor_b64 s[2:3], exec, s[2:3]
	s_cbranch_execz .LBB52_6
; %bb.5:
	v_lshlrev_b64 v[1:2], 3, v[3:4]
	v_mov_b32_e32 v5, s11
	v_add_co_u32_e32 v1, vcc, s10, v1
	v_addc_co_u32_e32 v2, vcc, v5, v2, vcc
	global_load_dwordx2 v[1:2], v[1:2], off
	s_mov_b32 s9, 0
	s_mov_b64 s[0:1], exec
	s_waitcnt vmcnt(0)
	v_subrev_co_u32_e32 v12, vcc, s8, v1
	v_subbrev_co_u32_e32 v13, vcc, 0, v2, vcc
	v_mov_b32_e32 v1, s8
	v_mov_b32_e32 v2, s9
.LBB52_6:
	s_or_b64 exec, exec, s[2:3]
.LBB52_7:
	s_and_b64 exec, exec, s[0:1]
	s_cbranch_execnz .LBB52_13
.LBB52_8:
	s_endpgm
.LBB52_9:
                                        ; implicit-def: $vgpr12_vgpr13
                                        ; implicit-def: $vgpr1_vgpr2
	s_cbranch_execz .LBB52_7
; %bb.10:
	s_load_dwordx2 s[2:3], s[4:5], 0x0
	s_waitcnt lgkmcnt(0)
	v_cmp_gt_i64_e32 vcc, s[2:3], v[3:4]
	s_and_saveexec_b64 s[2:3], vcc
; %bb.11:
	s_mov_b32 s9, 0
	s_or_b64 s[0:1], s[0:1], exec
; %bb.12:
	s_or_b64 exec, exec, s[2:3]
	v_mov_b32_e32 v1, s8
	v_mov_b32_e32 v13, v4
	;; [unrolled: 1-line block ×4, first 2 shown]
	s_and_b64 exec, exec, s[0:1]
	s_cbranch_execz .LBB52_8
.LBB52_13:
	s_load_dwordx8 s[8:15], s[4:5], 0x28
	v_lshlrev_b64 v[3:4], 3, v[12:13]
	v_and_b32_e32 v0, 15, v0
	s_waitcnt lgkmcnt(0)
	v_mov_b32_e32 v6, s9
	v_add_co_u32_e32 v5, vcc, s8, v3
	v_addc_co_u32_e32 v6, vcc, v6, v4, vcc
	global_load_dwordx2 v[18:19], v[5:6], off
	v_add_co_u32_e32 v5, vcc, 8, v5
	v_addc_co_u32_e32 v6, vcc, 0, v6, vcc
	v_mov_b32_e32 v7, s11
	v_add_co_u32_e32 v3, vcc, s10, v3
	s_cmp_eq_u64 s[10:11], 0
	v_addc_co_u32_e32 v4, vcc, v7, v4, vcc
	s_cselect_b64 vcc, -1, 0
	v_cndmask_b32_e32 v4, v4, v6, vcc
	v_cndmask_b32_e32 v3, v3, v5, vcc
	global_load_dwordx2 v[5:6], v[3:4], off
	s_load_dword s0, s[4:5], 0x8
	s_load_dwordx2 s[8:9], s[4:5], 0x48
	v_mov_b32_e32 v16, s15
	v_mov_b32_e32 v7, 0
	s_waitcnt lgkmcnt(0)
	s_cmp_eq_u32 s0, 1
	s_waitcnt vmcnt(1)
	v_sub_co_u32_e32 v3, vcc, v18, v1
	v_subb_co_u32_e32 v4, vcc, v19, v2, vcc
	v_add_co_u32_e32 v3, vcc, v3, v0
	v_addc_co_u32_e32 v4, vcc, 0, v4, vcc
	v_lshlrev_b64 v[14:15], 7, v[3:4]
	s_waitcnt vmcnt(0)
	v_sub_co_u32_e32 v5, vcc, v5, v1
	v_subb_co_u32_e32 v6, vcc, v6, v2, vcc
	v_cmp_lt_i64_e64 s[0:1], v[3:4], v[5:6]
	v_add_co_u32_e32 v14, vcc, s14, v14
	v_addc_co_u32_e32 v15, vcc, v16, v15, vcc
	s_cbranch_scc1 .LBB52_25
; %bb.14:
	v_mov_b32_e32 v31, 0
	v_mov_b32_e32 v32, 0
	;; [unrolled: 1-line block ×7, first 2 shown]
	s_and_saveexec_b64 s[10:11], s[0:1]
	s_cbranch_execz .LBB52_24
; %bb.15:
	v_or_b32_e32 v7, 16, v0
	v_sub_co_u32_e32 v7, vcc, v7, v1
	v_subb_co_u32_e32 v17, vcc, 0, v2, vcc
	v_add_co_u32_e32 v16, vcc, v7, v18
	v_addc_co_u32_e32 v17, vcc, v17, v19, vcc
	v_cmp_gt_i64_e32 vcc, v[16:17], v[5:6]
	v_not_b32_e32 v20, v18
	v_cndmask_b32_e32 v7, v6, v17, vcc
	v_cndmask_b32_e32 v16, v5, v16, vcc
	v_sub_co_u32_e32 v21, vcc, v1, v0
	v_subbrev_co_u32_e32 v22, vcc, 0, v2, vcc
	v_not_b32_e32 v17, v19
	v_add_co_u32_e32 v20, vcc, v21, v20
	v_addc_co_u32_e32 v17, vcc, v22, v17, vcc
	v_add_co_u32_e32 v24, vcc, v20, v16
	v_addc_co_u32_e32 v25, vcc, v17, v7, vcc
	v_and_b32_e32 v16, 48, v24
	v_mov_b32_e32 v17, 0
	v_cmp_ne_u64_e32 vcc, 48, v[16:17]
	v_mov_b32_e32 v21, v15
	v_mov_b32_e32 v23, v4
	;; [unrolled: 1-line block ×11, first 2 shown]
	s_and_saveexec_b64 s[14:15], vcc
	s_cbranch_execz .LBB52_19
; %bb.16:
	v_lshlrev_b64 v[16:17], 3, v[3:4]
	v_lshrrev_b32_e32 v7, 4, v24
	v_add_u32_e32 v7, 1, v7
	v_mov_b32_e32 v21, s13
	v_add_co_u32_e32 v26, vcc, s12, v16
	v_and_b32_e32 v20, 3, v7
	v_addc_co_u32_e32 v27, vcc, v21, v17, vcc
	v_sub_co_u32_e32 v28, vcc, 0, v20
	v_mov_b32_e32 v23, v4
	v_mov_b32_e32 v21, v15
	;; [unrolled: 1-line block ×3, first 2 shown]
	s_mov_b64 s[16:17], 0
	v_subb_co_u32_e64 v29, s[2:3], 0, 0, vcc
	s_movk_i32 s18, 0x800
	v_mov_b32_e32 v35, s9
	v_mov_b32_e32 v22, v3
	;; [unrolled: 1-line block ×10, first 2 shown]
.LBB52_17:                              ; =>This Inner Loop Header: Depth=1
	global_load_dwordx2 v[44:45], v[26:27], off
	global_load_dwordx4 v[36:39], v[20:21], off
	global_load_dwordx4 v[40:43], v[20:21], off offset:32
	v_add_co_u32_e64 v28, s[6:7], 1, v28
	s_waitcnt vmcnt(2)
	v_sub_co_u32_e32 v44, vcc, v44, v1
	v_subb_co_u32_e32 v45, vcc, v45, v2, vcc
	v_lshlrev_b64 v[44:45], 5, v[44:45]
	v_add_co_u32_e32 v48, vcc, s8, v44
	v_addc_co_u32_e32 v49, vcc, v35, v45, vcc
	global_load_dwordx4 v[44:47], v[48:49], off
	s_waitcnt vmcnt(0)
	v_fmac_f32_e32 v31, v36, v44
	v_fmac_f32_e32 v7, v37, v44
	v_fma_f32 v31, -v37, v45, v31
	v_fmac_f32_e32 v7, v36, v45
	v_fmac_f32_e32 v31, v38, v46
	;; [unrolled: 1-line block ×3, first 2 shown]
	v_fma_f32 v50, -v39, v47, v31
	v_fmac_f32_e32 v7, v38, v47
	global_load_dwordx4 v[36:39], v[20:21], off offset:64
	v_fmac_f32_e32 v33, v40, v44
	v_fmac_f32_e32 v17, v41, v44
	v_fma_f32 v31, -v41, v45, v33
	v_fmac_f32_e32 v17, v40, v45
	v_fmac_f32_e32 v31, v42, v46
	;; [unrolled: 1-line block ×3, first 2 shown]
	v_fma_f32 v52, -v43, v47, v31
	v_fmac_f32_e32 v17, v42, v47
	global_load_dwordx4 v[40:43], v[20:21], off offset:96
	s_waitcnt vmcnt(1)
	v_fmac_f32_e32 v34, v36, v44
	v_fmac_f32_e32 v30, v37, v44
	v_fma_f32 v31, -v37, v45, v34
	v_fmac_f32_e32 v30, v36, v45
	v_fmac_f32_e32 v31, v38, v46
	;; [unrolled: 1-line block ×3, first 2 shown]
	v_fma_f32 v53, -v39, v47, v31
	v_fmac_f32_e32 v30, v38, v47
	global_load_dwordx4 v[36:39], v[20:21], off offset:48
	s_waitcnt vmcnt(1)
	v_fmac_f32_e32 v32, v40, v44
	v_fmac_f32_e32 v16, v41, v44
	v_fma_f32 v31, -v41, v45, v32
	v_fmac_f32_e32 v16, v40, v45
	v_fmac_f32_e32 v31, v42, v46
	v_fmac_f32_e32 v16, v43, v46
	v_fma_f32 v54, -v43, v47, v31
	v_fmac_f32_e32 v16, v42, v47
	global_load_dwordx4 v[31:34], v[20:21], off offset:16
	global_load_dwordx4 v[40:43], v[20:21], off offset:80
	;; [unrolled: 1-line block ×3, first 2 shown]
	s_waitcnt vmcnt(0)
	v_fmac_f32_e32 v50, v31, v44
	v_fmac_f32_e32 v7, v32, v44
	v_fma_f32 v32, -v32, v45, v50
	global_load_dwordx4 v[48:51], v[20:21], off offset:112
	v_add_co_u32_e32 v20, vcc, s18, v20
	s_mov_b64 s[2:3], vcc
	v_add_co_u32_e32 v22, vcc, 16, v22
	v_fmac_f32_e32 v7, v31, v45
	v_fmac_f32_e32 v32, v33, v46
	v_addc_co_u32_e32 v23, vcc, 0, v23, vcc
	v_addc_co_u32_e64 v29, vcc, 0, v29, s[6:7]
	v_addc_co_u32_e64 v21, s[2:3], 0, v21, s[2:3]
	v_fmac_f32_e32 v52, v36, v44
	v_fmac_f32_e32 v17, v37, v44
	;; [unrolled: 1-line block ×5, first 2 shown]
	v_fma_f32 v31, -v34, v47, v32
	v_cmp_eq_u64_e64 s[2:3], 0, v[28:29]
	v_fma_f32 v32, -v37, v45, v52
	v_fmac_f32_e32 v17, v36, v45
	v_fma_f32 v34, -v41, v45, v53
	v_fmac_f32_e32 v30, v40, v45
	v_add_co_u32_e32 v26, vcc, 0x80, v26
	v_fmac_f32_e32 v32, v38, v46
	v_fmac_f32_e32 v17, v39, v46
	;; [unrolled: 1-line block ×5, first 2 shown]
	v_addc_co_u32_e32 v27, vcc, 0, v27, vcc
	s_or_b64 s[16:17], s[2:3], s[16:17]
	v_fma_f32 v33, -v39, v47, v32
	v_fmac_f32_e32 v17, v38, v47
	v_fma_f32 v34, -v43, v47, v34
	v_fmac_f32_e32 v30, v42, v47
	s_waitcnt vmcnt(0)
	v_fmac_f32_e32 v54, v48, v44
	v_fmac_f32_e32 v16, v49, v44
	v_fma_f32 v36, -v49, v45, v54
	v_fmac_f32_e32 v16, v48, v45
	v_fmac_f32_e32 v36, v50, v46
	;; [unrolled: 1-line block ×3, first 2 shown]
	v_fma_f32 v32, -v51, v47, v36
	v_fmac_f32_e32 v16, v50, v47
	s_andn2_b64 exec, exec, s[16:17]
	s_cbranch_execnz .LBB52_17
; %bb.18:
	s_or_b64 exec, exec, s[16:17]
.LBB52_19:
	s_or_b64 exec, exec, s[14:15]
	v_cmp_lt_u64_e32 vcc, 47, v[24:25]
	s_and_saveexec_b64 s[6:7], vcc
	s_cbranch_execz .LBB52_23
; %bb.20:
	v_lshlrev_b64 v[24:25], 3, v[22:23]
	v_mov_b32_e32 v26, s13
	v_add_co_u32_e32 v24, vcc, s12, v24
	v_addc_co_u32_e32 v25, vcc, v26, v25, vcc
	v_add_co_u32_e32 v24, vcc, 0x100, v24
	v_addc_co_u32_e32 v25, vcc, 0, v25, vcc
	s_mov_b64 s[14:15], 0
	v_mov_b32_e32 v28, s9
	s_movk_i32 s16, 0x1000
.LBB52_21:                              ; =>This Inner Loop Header: Depth=1
	global_load_dwordx2 v[26:27], v[24:25], off offset:-256
	global_load_dwordx4 v[35:38], v[20:21], off offset:48
	global_load_dwordx4 v[39:42], v[20:21], off offset:32
	;; [unrolled: 1-line block ×3, first 2 shown]
	global_load_dwordx4 v[47:50], v[20:21], off
	s_waitcnt vmcnt(4)
	v_sub_co_u32_e32 v26, vcc, v26, v1
	v_subb_co_u32_e32 v27, vcc, v27, v2, vcc
	v_lshlrev_b64 v[26:27], 5, v[26:27]
	v_add_co_u32_e32 v26, vcc, s8, v26
	v_addc_co_u32_e32 v27, vcc, v28, v27, vcc
	global_load_dwordx4 v[51:54], v[26:27], off offset:16
	global_load_dwordx4 v[55:58], v[26:27], off
	s_waitcnt vmcnt(0)
	v_fmac_f32_e32 v31, v47, v55
	v_fma_f32 v26, -v48, v56, v31
	v_fmac_f32_e32 v26, v49, v57
	v_fma_f32 v26, -v50, v58, v26
	;; [unrolled: 2-line block ×3, first 2 shown]
	v_fmac_f32_e32 v7, v48, v55
	v_fmac_f32_e32 v26, v45, v53
	;; [unrolled: 1-line block ×5, first 2 shown]
	v_fma_f32 v29, -v46, v54, v26
	v_fma_f32 v26, -v40, v56, v33
	v_fmac_f32_e32 v17, v39, v56
	v_fmac_f32_e32 v7, v50, v57
	v_fmac_f32_e32 v26, v41, v57
	v_fmac_f32_e32 v17, v42, v57
	v_fmac_f32_e32 v7, v49, v58
	v_fma_f32 v26, -v42, v58, v26
	v_fmac_f32_e32 v17, v41, v58
	v_fmac_f32_e32 v7, v44, v51
	v_fmac_f32_e32 v26, v35, v51
	v_fmac_f32_e32 v17, v36, v51
	v_fmac_f32_e32 v7, v43, v52
	v_fma_f32 v26, -v36, v52, v26
	v_fmac_f32_e32 v17, v35, v52
	v_fmac_f32_e32 v7, v46, v53
	v_fmac_f32_e32 v26, v37, v53
	v_fmac_f32_e32 v17, v38, v53
	v_fmac_f32_e32 v7, v45, v54
	v_fma_f32 v59, -v38, v54, v26
	v_fmac_f32_e32 v17, v37, v54
	global_load_dwordx4 v[35:38], v[20:21], off offset:112
	global_load_dwordx4 v[39:42], v[20:21], off offset:96
	;; [unrolled: 1-line block ×4, first 2 shown]
	s_waitcnt vmcnt(2)
	v_fmac_f32_e32 v32, v39, v55
	v_fmac_f32_e32 v16, v40, v55
	s_waitcnt vmcnt(0)
	v_fmac_f32_e32 v34, v47, v55
	v_fma_f32 v26, -v48, v56, v34
	v_fmac_f32_e32 v26, v49, v57
	v_fma_f32 v26, -v50, v58, v26
	v_fmac_f32_e32 v26, v43, v51
	v_fma_f32 v26, -v44, v52, v26
	v_fmac_f32_e32 v26, v45, v53
	v_fma_f32 v60, -v46, v54, v26
	v_fma_f32 v26, -v40, v56, v32
	v_fmac_f32_e32 v26, v41, v57
	v_fma_f32 v26, -v42, v58, v26
	v_fmac_f32_e32 v26, v35, v51
	;; [unrolled: 2-line block ×3, first 2 shown]
	v_fmac_f32_e32 v30, v48, v55
	v_fma_f32 v55, -v38, v54, v26
	global_load_dwordx2 v[26:27], v[24:25], off offset:-128
	v_fmac_f32_e32 v30, v47, v56
	v_fmac_f32_e32 v16, v39, v56
	;; [unrolled: 1-line block ×14, first 2 shown]
	global_load_dwordx4 v[31:34], v[20:21], off offset:2096
	global_load_dwordx4 v[35:38], v[20:21], off offset:2080
	;; [unrolled: 1-line block ×4, first 2 shown]
	s_waitcnt vmcnt(4)
	v_sub_co_u32_e32 v26, vcc, v26, v1
	v_subb_co_u32_e32 v27, vcc, v27, v2, vcc
	v_lshlrev_b64 v[26:27], 5, v[26:27]
	v_add_co_u32_e32 v26, vcc, s8, v26
	v_addc_co_u32_e32 v27, vcc, v28, v27, vcc
	global_load_dwordx4 v[47:50], v[26:27], off offset:16
	global_load_dwordx4 v[51:54], v[26:27], off
	s_waitcnt vmcnt(0)
	v_fmac_f32_e32 v29, v43, v51
	v_fma_f32 v26, -v44, v52, v29
	v_fmac_f32_e32 v26, v45, v53
	v_fma_f32 v26, -v46, v54, v26
	;; [unrolled: 2-line block ×3, first 2 shown]
	v_fmac_f32_e32 v7, v44, v51
	v_fmac_f32_e32 v26, v41, v49
	;; [unrolled: 1-line block ×5, first 2 shown]
	v_fma_f32 v29, -v42, v50, v26
	v_fma_f32 v26, -v36, v52, v59
	v_fmac_f32_e32 v17, v35, v52
	v_fmac_f32_e32 v7, v46, v53
	v_fmac_f32_e32 v26, v37, v53
	v_fmac_f32_e32 v17, v38, v53
	v_fmac_f32_e32 v7, v45, v54
	v_fma_f32 v26, -v38, v54, v26
	v_fmac_f32_e32 v17, v37, v54
	v_fmac_f32_e32 v7, v40, v47
	v_fmac_f32_e32 v26, v31, v47
	v_fmac_f32_e32 v17, v32, v47
	v_fmac_f32_e32 v7, v39, v48
	;; [unrolled: 6-line block ×3, first 2 shown]
	v_fma_f32 v57, -v34, v50, v26
	v_fmac_f32_e32 v17, v33, v50
	global_load_dwordx4 v[31:34], v[20:21], off offset:2160
	global_load_dwordx4 v[35:38], v[20:21], off offset:2144
	;; [unrolled: 1-line block ×4, first 2 shown]
	s_waitcnt vmcnt(2)
	v_fmac_f32_e32 v55, v35, v51
	v_fmac_f32_e32 v16, v36, v51
	s_waitcnt vmcnt(0)
	v_fmac_f32_e32 v60, v43, v51
	v_fma_f32 v26, -v44, v52, v60
	v_fmac_f32_e32 v26, v45, v53
	v_fma_f32 v26, -v46, v54, v26
	;; [unrolled: 2-line block ×4, first 2 shown]
	v_fma_f32 v26, -v36, v52, v55
	v_fmac_f32_e32 v16, v35, v52
	v_fmac_f32_e32 v26, v37, v53
	;; [unrolled: 1-line block ×3, first 2 shown]
	v_fma_f32 v26, -v38, v54, v26
	v_fmac_f32_e32 v16, v37, v54
	v_fmac_f32_e32 v26, v31, v47
	;; [unrolled: 1-line block ×3, first 2 shown]
	v_fma_f32 v26, -v32, v48, v26
	v_fmac_f32_e32 v16, v31, v48
	global_load_dwordx2 v[31:32], v[24:25], off
	v_fmac_f32_e32 v30, v44, v51
	v_fmac_f32_e32 v30, v43, v52
	;; [unrolled: 1-line block ×4, first 2 shown]
	v_fma_f32 v60, -v34, v50, v26
	v_add_co_u32_e32 v26, vcc, s16, v20
	v_fmac_f32_e32 v30, v45, v54
	v_addc_co_u32_e32 v27, vcc, 0, v21, vcc
	v_fmac_f32_e32 v30, v40, v47
	v_fmac_f32_e32 v30, v39, v48
	;; [unrolled: 1-line block ×6, first 2 shown]
	s_waitcnt vmcnt(0)
	v_sub_co_u32_e32 v47, vcc, v31, v1
	v_subb_co_u32_e32 v48, vcc, v32, v2, vcc
	v_lshlrev_b64 v[47:48], 5, v[47:48]
	global_load_dwordx4 v[31:34], v[26:27], off
	global_load_dwordx4 v[35:38], v[26:27], off offset:48
	global_load_dwordx4 v[39:42], v[26:27], off offset:32
	;; [unrolled: 1-line block ×3, first 2 shown]
	v_add_co_u32_e32 v55, vcc, s8, v47
	v_addc_co_u32_e32 v56, vcc, v28, v48, vcc
	global_load_dwordx4 v[47:50], v[55:56], off offset:16
	global_load_dwordx4 v[51:54], v[55:56], off
	s_waitcnt vmcnt(0)
	v_fmac_f32_e32 v29, v31, v51
	v_fma_f32 v29, -v32, v52, v29
	v_fmac_f32_e32 v29, v33, v53
	v_fma_f32 v29, -v34, v54, v29
	;; [unrolled: 2-line block ×3, first 2 shown]
	v_fmac_f32_e32 v7, v32, v51
	v_fmac_f32_e32 v29, v45, v49
	;; [unrolled: 1-line block ×5, first 2 shown]
	v_fma_f32 v31, -v46, v50, v29
	v_fma_f32 v29, -v40, v52, v57
	v_fmac_f32_e32 v17, v39, v52
	v_fmac_f32_e32 v7, v34, v53
	v_fmac_f32_e32 v29, v41, v53
	v_fmac_f32_e32 v17, v42, v53
	v_fmac_f32_e32 v7, v33, v54
	v_fma_f32 v29, -v42, v54, v29
	v_fmac_f32_e32 v17, v41, v54
	v_fmac_f32_e32 v7, v44, v47
	v_fmac_f32_e32 v29, v35, v47
	v_fmac_f32_e32 v17, v36, v47
	v_fmac_f32_e32 v7, v43, v48
	;; [unrolled: 6-line block ×3, first 2 shown]
	v_fma_f32 v33, -v38, v50, v29
	v_fmac_f32_e32 v17, v37, v50
	global_load_dwordx4 v[34:37], v[26:27], off offset:112
	global_load_dwordx4 v[38:41], v[26:27], off offset:96
	;; [unrolled: 1-line block ×4, first 2 shown]
	s_waitcnt vmcnt(2)
	v_fmac_f32_e32 v60, v38, v51
	v_fmac_f32_e32 v16, v39, v51
	v_fma_f32 v32, -v39, v52, v60
	v_fmac_f32_e32 v16, v38, v52
	v_fmac_f32_e32 v32, v40, v53
	v_fmac_f32_e32 v16, v41, v53
	v_fma_f32 v32, -v41, v54, v32
	v_fmac_f32_e32 v16, v40, v54
	;; [unrolled: 4-line block ×3, first 2 shown]
	global_load_dwordx2 v[34:35], v[24:25], off offset:128
	s_waitcnt vmcnt(1)
	v_fmac_f32_e32 v59, v55, v51
	v_fmac_f32_e32 v30, v56, v51
	v_fma_f32 v29, -v56, v52, v59
	v_fmac_f32_e32 v30, v55, v52
	v_fmac_f32_e32 v29, v57, v53
	v_fmac_f32_e32 v30, v58, v53
	v_fma_f32 v29, -v58, v54, v29
	v_fmac_f32_e32 v30, v57, v54
	;; [unrolled: 4-line block ×3, first 2 shown]
	v_fmac_f32_e32 v29, v44, v49
	v_fmac_f32_e32 v30, v45, v49
	;; [unrolled: 1-line block ×4, first 2 shown]
	v_fma_f32 v29, -v45, v50, v29
	v_fmac_f32_e32 v30, v44, v50
	v_fma_f32 v32, -v37, v50, v32
	v_fmac_f32_e32 v16, v36, v50
	s_waitcnt vmcnt(0)
	v_sub_co_u32_e32 v50, vcc, v34, v1
	v_subb_co_u32_e32 v51, vcc, v35, v2, vcc
	v_lshlrev_b64 v[50:51], 5, v[50:51]
	global_load_dwordx4 v[34:37], v[26:27], off offset:2096
	global_load_dwordx4 v[38:41], v[26:27], off offset:2080
	;; [unrolled: 1-line block ×4, first 2 shown]
	v_add_co_u32_e32 v58, vcc, s8, v50
	v_addc_co_u32_e32 v59, vcc, v28, v51, vcc
	global_load_dwordx4 v[50:53], v[58:59], off offset:16
	global_load_dwordx4 v[54:57], v[58:59], off
	v_add_co_u32_e32 v22, vcc, 64, v22
	v_addc_co_u32_e32 v23, vcc, 0, v23, vcc
	v_add_co_u32_e32 v24, vcc, 0x200, v24
	v_addc_co_u32_e32 v25, vcc, 0, v25, vcc
	v_cmp_ge_i64_e64 s[2:3], v[22:23], v[5:6]
	v_add_co_u32_e32 v20, vcc, 0x2000, v20
	v_addc_co_u32_e32 v21, vcc, 0, v21, vcc
	s_or_b64 s[14:15], s[2:3], s[14:15]
	s_waitcnt vmcnt(0)
	v_fmac_f32_e32 v31, v46, v54
	v_fmac_f32_e32 v7, v47, v54
	v_fmac_f32_e32 v33, v38, v54
	v_fmac_f32_e32 v17, v39, v54
	v_fma_f32 v31, -v47, v55, v31
	v_fmac_f32_e32 v7, v46, v55
	v_fma_f32 v33, -v39, v55, v33
	v_fmac_f32_e32 v17, v38, v55
	v_fmac_f32_e32 v31, v48, v56
	v_fmac_f32_e32 v7, v49, v56
	v_fmac_f32_e32 v33, v40, v56
	v_fmac_f32_e32 v17, v41, v56
	v_fma_f32 v31, -v49, v57, v31
	v_fmac_f32_e32 v7, v48, v57
	v_fma_f32 v33, -v41, v57, v33
	v_fmac_f32_e32 v17, v40, v57
	;; [unrolled: 8-line block ×4, first 2 shown]
	global_load_dwordx4 v[35:38], v[26:27], off offset:2160
	global_load_dwordx4 v[39:42], v[26:27], off offset:2144
	;; [unrolled: 1-line block ×4, first 2 shown]
	s_waitcnt vmcnt(2)
	v_fmac_f32_e32 v32, v39, v54
	v_fmac_f32_e32 v16, v40, v54
	s_waitcnt vmcnt(0)
	v_fmac_f32_e32 v29, v58, v54
	v_fma_f32 v26, -v59, v55, v29
	v_fmac_f32_e32 v26, v60, v56
	v_fma_f32 v26, -v61, v57, v26
	;; [unrolled: 2-line block ×3, first 2 shown]
	v_fmac_f32_e32 v30, v59, v54
	v_fmac_f32_e32 v26, v45, v52
	;; [unrolled: 1-line block ×3, first 2 shown]
	v_fma_f32 v34, -v46, v53, v26
	v_fma_f32 v26, -v40, v55, v32
	v_fmac_f32_e32 v16, v39, v55
	v_fmac_f32_e32 v30, v61, v56
	v_fmac_f32_e32 v26, v41, v56
	v_fmac_f32_e32 v16, v42, v56
	v_fmac_f32_e32 v30, v60, v57
	v_fma_f32 v26, -v42, v57, v26
	v_fmac_f32_e32 v16, v41, v57
	v_fmac_f32_e32 v30, v44, v50
	v_fmac_f32_e32 v26, v35, v50
	v_fmac_f32_e32 v16, v36, v50
	v_fmac_f32_e32 v30, v43, v51
	;; [unrolled: 6-line block ×3, first 2 shown]
	v_fma_f32 v32, -v38, v53, v26
	v_fmac_f32_e32 v16, v37, v53
	s_andn2_b64 exec, exec, s[14:15]
	s_cbranch_execnz .LBB52_21
; %bb.22:
	s_or_b64 exec, exec, s[14:15]
.LBB52_23:
	s_or_b64 exec, exec, s[6:7]
.LBB52_24:
	s_or_b64 exec, exec, s[10:11]
	s_cbranch_execz .LBB52_26
	s_branch .LBB52_37
.LBB52_25:
                                        ; implicit-def: $vgpr7
                                        ; implicit-def: $vgpr31
                                        ; implicit-def: $vgpr32
                                        ; implicit-def: $vgpr16
                                        ; implicit-def: $vgpr34
                                        ; implicit-def: $vgpr30
                                        ; implicit-def: $vgpr33
                                        ; implicit-def: $vgpr17
.LBB52_26:
	v_mov_b32_e32 v7, 0
	v_mov_b32_e32 v31, 0
	;; [unrolled: 1-line block ×8, first 2 shown]
	s_and_saveexec_b64 s[2:3], s[0:1]
	s_cbranch_execz .LBB52_36
; %bb.27:
	v_or_b32_e32 v7, 16, v0
	v_sub_co_u32_e32 v7, vcc, v7, v1
	v_subb_co_u32_e32 v17, vcc, 0, v2, vcc
	v_add_co_u32_e32 v16, vcc, v7, v18
	v_addc_co_u32_e32 v17, vcc, v17, v19, vcc
	v_cmp_gt_i64_e32 vcc, v[16:17], v[5:6]
	v_not_b32_e32 v18, v18
	v_cndmask_b32_e32 v7, v6, v17, vcc
	v_cndmask_b32_e32 v16, v5, v16, vcc
	v_not_b32_e32 v17, v19
	v_sub_co_u32_e32 v19, vcc, v1, v0
	v_subbrev_co_u32_e32 v20, vcc, 0, v2, vcc
	v_add_co_u32_e32 v18, vcc, v19, v18
	v_addc_co_u32_e32 v17, vcc, v20, v17, vcc
	v_add_co_u32_e32 v18, vcc, v18, v16
	v_addc_co_u32_e32 v19, vcc, v17, v7, vcc
	v_and_b32_e32 v16, 48, v18
	v_mov_b32_e32 v17, 0
	v_cmp_ne_u64_e32 vcc, 48, v[16:17]
	v_mov_b32_e32 v33, v17
	v_mov_b32_e32 v30, v17
	;; [unrolled: 1-line block ×7, first 2 shown]
	s_and_saveexec_b64 s[0:1], vcc
	s_cbranch_execz .LBB52_31
; %bb.28:
	v_lshlrev_b64 v[16:17], 3, v[3:4]
	v_lshrrev_b32_e32 v7, 4, v18
	v_add_u32_e32 v7, 1, v7
	v_mov_b32_e32 v21, s13
	v_add_co_u32_e32 v20, vcc, s12, v16
	v_and_b32_e32 v22, 3, v7
	v_addc_co_u32_e32 v21, vcc, v21, v17, vcc
	v_sub_co_u32_e32 v22, vcc, 0, v22
	v_subb_co_u32_e64 v23, s[10:11], 0, 0, vcc
	v_mov_b32_e32 v7, 0
	s_mov_b64 s[6:7], 0
	s_movk_i32 s10, 0x800
	v_mov_b32_e32 v24, s9
	v_mov_b32_e32 v31, 0
	;; [unrolled: 1-line block ×8, first 2 shown]
.LBB52_29:                              ; =>This Inner Loop Header: Depth=1
	global_load_dwordx2 v[25:26], v[20:21], off
	s_waitcnt vmcnt(0)
	v_sub_co_u32_e32 v47, vcc, v25, v1
	v_subb_co_u32_e32 v48, vcc, v26, v2, vcc
	v_lshlrev_b64 v[47:48], 5, v[47:48]
	global_load_dwordx4 v[25:28], v[14:15], off offset:48
	global_load_dwordx4 v[35:38], v[14:15], off offset:32
	;; [unrolled: 1-line block ×3, first 2 shown]
	global_load_dwordx4 v[43:46], v[14:15], off
	v_add_co_u32_e32 v55, vcc, s8, v47
	v_addc_co_u32_e32 v56, vcc, v24, v48, vcc
	global_load_dwordx4 v[47:50], v[55:56], off offset:16
	global_load_dwordx4 v[51:54], v[55:56], off
	s_waitcnt vmcnt(0)
	v_fmac_f32_e32 v31, v43, v51
	v_fmac_f32_e32 v7, v44, v51
	v_fmac_f32_e32 v33, v45, v51
	v_fmac_f32_e32 v17, v46, v51
	v_fmac_f32_e32 v34, v39, v51
	v_fmac_f32_e32 v30, v40, v51
	v_fmac_f32_e32 v32, v41, v51
	v_fmac_f32_e32 v16, v42, v51
	v_fma_f32 v29, -v44, v52, v31
	v_fmac_f32_e32 v7, v43, v52
	v_fma_f32 v31, -v46, v52, v33
	v_fmac_f32_e32 v17, v45, v52
	;; [unrolled: 2-line block ×4, first 2 shown]
	v_fmac_f32_e32 v29, v35, v53
	v_fmac_f32_e32 v7, v36, v53
	v_fmac_f32_e32 v31, v37, v53
	v_fmac_f32_e32 v17, v38, v53
	v_fmac_f32_e32 v33, v25, v53
	v_fmac_f32_e32 v30, v26, v53
	v_fmac_f32_e32 v32, v27, v53
	v_fmac_f32_e32 v16, v28, v53
	v_fma_f32 v29, -v36, v54, v29
	v_fmac_f32_e32 v7, v35, v54
	v_fma_f32 v31, -v38, v54, v31
	v_fmac_f32_e32 v17, v37, v54
	;; [unrolled: 2-line block ×4, first 2 shown]
	global_load_dwordx4 v[25:28], v[14:15], off offset:112
	global_load_dwordx4 v[32:35], v[14:15], off offset:96
	;; [unrolled: 1-line block ×4, first 2 shown]
	v_add_co_u32_e32 v14, vcc, s10, v14
	v_addc_co_u32_e32 v15, vcc, 0, v15, vcc
	v_add_co_u32_e32 v3, vcc, 16, v3
	v_addc_co_u32_e32 v4, vcc, 0, v4, vcc
	;; [unrolled: 2-line block ×4, first 2 shown]
	v_cmp_eq_u64_e32 vcc, 0, v[22:23]
	s_or_b64 s[6:7], vcc, s[6:7]
	s_waitcnt vmcnt(1)
	v_fmac_f32_e32 v44, v36, v47
	s_waitcnt vmcnt(0)
	v_fmac_f32_e32 v29, v40, v47
	v_fmac_f32_e32 v7, v41, v47
	;; [unrolled: 1-line block ×7, first 2 shown]
	v_fma_f32 v29, -v41, v48, v29
	v_fmac_f32_e32 v7, v40, v48
	v_fma_f32 v40, -v43, v48, v31
	v_fmac_f32_e32 v17, v42, v48
	;; [unrolled: 2-line block ×4, first 2 shown]
	v_fmac_f32_e32 v29, v32, v49
	v_fmac_f32_e32 v7, v33, v49
	;; [unrolled: 1-line block ×8, first 2 shown]
	v_fma_f32 v31, -v33, v50, v29
	v_fmac_f32_e32 v7, v32, v50
	v_fma_f32 v33, -v35, v50, v40
	v_fmac_f32_e32 v17, v34, v50
	;; [unrolled: 2-line block ×4, first 2 shown]
	s_andn2_b64 exec, exec, s[6:7]
	s_cbranch_execnz .LBB52_29
; %bb.30:
	s_or_b64 exec, exec, s[6:7]
.LBB52_31:
	s_or_b64 exec, exec, s[0:1]
	v_cmp_lt_u64_e32 vcc, 47, v[18:19]
	s_and_saveexec_b64 s[6:7], vcc
	s_cbranch_execz .LBB52_35
; %bb.32:
	v_lshlrev_b64 v[18:19], 3, v[3:4]
	v_mov_b32_e32 v20, s13
	v_add_co_u32_e32 v18, vcc, s12, v18
	v_addc_co_u32_e32 v19, vcc, v20, v19, vcc
	v_add_co_u32_e32 v18, vcc, 0x100, v18
	v_addc_co_u32_e32 v19, vcc, 0, v19, vcc
	s_mov_b64 s[10:11], 0
	v_mov_b32_e32 v22, s9
	s_movk_i32 s9, 0x1000
.LBB52_33:                              ; =>This Inner Loop Header: Depth=1
	global_load_dwordx2 v[20:21], v[18:19], off offset:-256
	global_load_dwordx4 v[23:26], v[14:15], off offset:48
	global_load_dwordx4 v[35:38], v[14:15], off offset:32
	;; [unrolled: 1-line block ×3, first 2 shown]
	global_load_dwordx4 v[43:46], v[14:15], off
	s_waitcnt vmcnt(4)
	v_sub_co_u32_e32 v20, vcc, v20, v1
	v_subb_co_u32_e32 v21, vcc, v21, v2, vcc
	v_lshlrev_b64 v[20:21], 5, v[20:21]
	v_add_co_u32_e32 v20, vcc, s8, v20
	v_addc_co_u32_e32 v21, vcc, v22, v21, vcc
	global_load_dwordx4 v[47:50], v[20:21], off offset:16
	global_load_dwordx4 v[51:54], v[20:21], off
	s_waitcnt vmcnt(0)
	v_fmac_f32_e32 v31, v43, v51
	v_fmac_f32_e32 v7, v44, v51
	;; [unrolled: 1-line block ×8, first 2 shown]
	v_fma_f32 v20, -v44, v52, v31
	v_fmac_f32_e32 v7, v43, v52
	v_fma_f32 v21, -v46, v52, v33
	v_fmac_f32_e32 v17, v45, v52
	;; [unrolled: 2-line block ×4, first 2 shown]
	v_fmac_f32_e32 v20, v35, v53
	v_fmac_f32_e32 v7, v36, v53
	;; [unrolled: 1-line block ×8, first 2 shown]
	v_fma_f32 v20, -v36, v54, v20
	v_fmac_f32_e32 v7, v35, v54
	v_fma_f32 v21, -v38, v54, v21
	v_fmac_f32_e32 v17, v37, v54
	;; [unrolled: 2-line block ×4, first 2 shown]
	global_load_dwordx4 v[23:26], v[14:15], off offset:112
	global_load_dwordx4 v[31:34], v[14:15], off offset:96
	;; [unrolled: 1-line block ×4, first 2 shown]
	s_waitcnt vmcnt(1)
	v_fmac_f32_e32 v27, v35, v47
	s_waitcnt vmcnt(0)
	v_fmac_f32_e32 v20, v39, v47
	v_fmac_f32_e32 v21, v41, v47
	v_fma_f32 v20, -v40, v48, v20
	v_fma_f32 v21, -v42, v48, v21
	v_fmac_f32_e32 v20, v31, v49
	v_fmac_f32_e32 v21, v33, v49
	v_fma_f32 v29, -v32, v50, v20
	v_fma_f32 v51, -v34, v50, v21
	global_load_dwordx2 v[20:21], v[18:19], off offset:-128
	v_fmac_f32_e32 v7, v40, v47
	v_fmac_f32_e32 v17, v42, v47
	;; [unrolled: 1-line block ×7, first 2 shown]
	v_fma_f32 v27, -v36, v48, v27
	v_fmac_f32_e32 v30, v35, v48
	v_fma_f32 v28, -v38, v48, v28
	v_fmac_f32_e32 v16, v37, v48
	v_fmac_f32_e32 v7, v32, v49
	v_fmac_f32_e32 v17, v34, v49
	v_fmac_f32_e32 v27, v23, v49
	v_fmac_f32_e32 v30, v24, v49
	v_fmac_f32_e32 v28, v25, v49
	v_fmac_f32_e32 v16, v26, v49
	v_fmac_f32_e32 v7, v31, v50
	v_fmac_f32_e32 v17, v33, v50
	v_fma_f32 v27, -v24, v50, v27
	v_fmac_f32_e32 v30, v23, v50
	v_fma_f32 v28, -v26, v50, v28
	v_fmac_f32_e32 v16, v25, v50
	global_load_dwordx4 v[23:26], v[14:15], off offset:2096
	global_load_dwordx4 v[31:34], v[14:15], off offset:2080
	;; [unrolled: 1-line block ×4, first 2 shown]
	s_waitcnt vmcnt(4)
	v_sub_co_u32_e32 v20, vcc, v20, v1
	v_subb_co_u32_e32 v21, vcc, v21, v2, vcc
	v_lshlrev_b64 v[20:21], 5, v[20:21]
	v_add_co_u32_e32 v20, vcc, s8, v20
	v_addc_co_u32_e32 v21, vcc, v22, v21, vcc
	global_load_dwordx4 v[43:46], v[20:21], off offset:16
	global_load_dwordx4 v[47:50], v[20:21], off
	s_waitcnt vmcnt(0)
	v_fmac_f32_e32 v29, v39, v47
	v_fmac_f32_e32 v7, v40, v47
	;; [unrolled: 1-line block ×8, first 2 shown]
	v_fma_f32 v20, -v40, v48, v29
	v_fmac_f32_e32 v7, v39, v48
	v_fma_f32 v21, -v42, v48, v51
	v_fmac_f32_e32 v17, v41, v48
	v_fma_f32 v27, -v36, v48, v27
	v_fmac_f32_e32 v30, v35, v48
	v_fma_f32 v28, -v38, v48, v28
	v_fmac_f32_e32 v16, v37, v48
	v_fmac_f32_e32 v20, v31, v49
	v_fmac_f32_e32 v7, v32, v49
	;; [unrolled: 1-line block ×8, first 2 shown]
	v_fma_f32 v20, -v32, v50, v20
	v_fmac_f32_e32 v7, v31, v50
	v_fma_f32 v21, -v34, v50, v21
	v_fmac_f32_e32 v17, v33, v50
	;; [unrolled: 2-line block ×4, first 2 shown]
	global_load_dwordx4 v[23:26], v[14:15], off offset:2160
	global_load_dwordx4 v[31:34], v[14:15], off offset:2144
	;; [unrolled: 1-line block ×4, first 2 shown]
	s_waitcnt vmcnt(1)
	v_fmac_f32_e32 v27, v35, v43
	v_fmac_f32_e32 v30, v36, v43
	v_fma_f32 v27, -v36, v44, v27
	v_fmac_f32_e32 v30, v35, v44
	v_fmac_f32_e32 v27, v23, v45
	;; [unrolled: 1-line block ×3, first 2 shown]
	v_fma_f32 v52, -v24, v46, v27
	v_fmac_f32_e32 v30, v23, v46
	global_load_dwordx2 v[23:24], v[18:19], off
	s_waitcnt vmcnt(1)
	v_fmac_f32_e32 v20, v39, v43
	v_fma_f32 v20, -v40, v44, v20
	v_fmac_f32_e32 v21, v41, v43
	v_fma_f32 v21, -v42, v44, v21
	v_fmac_f32_e32 v20, v31, v45
	v_fmac_f32_e32 v28, v37, v43
	v_fma_f32 v29, -v32, v46, v20
	v_fmac_f32_e32 v21, v33, v45
	v_add_co_u32_e32 v20, vcc, s9, v14
	v_fma_f32 v28, -v38, v44, v28
	v_fma_f32 v51, -v34, v46, v21
	v_addc_co_u32_e32 v21, vcc, 0, v15, vcc
	v_fmac_f32_e32 v28, v25, v45
	v_fma_f32 v53, -v26, v46, v28
	v_fmac_f32_e32 v7, v40, v43
	v_fmac_f32_e32 v17, v42, v43
	;; [unrolled: 1-line block ×12, first 2 shown]
	s_waitcnt vmcnt(0)
	v_sub_co_u32_e32 v27, vcc, v23, v1
	v_subb_co_u32_e32 v28, vcc, v24, v2, vcc
	v_lshlrev_b64 v[27:28], 5, v[27:28]
	global_load_dwordx4 v[23:26], v[20:21], off
	global_load_dwordx4 v[31:34], v[20:21], off offset:48
	global_load_dwordx4 v[35:38], v[20:21], off offset:32
	;; [unrolled: 1-line block ×3, first 2 shown]
	v_add_co_u32_e32 v27, vcc, s8, v27
	v_addc_co_u32_e32 v28, vcc, v22, v28, vcc
	global_load_dwordx4 v[43:46], v[27:28], off offset:16
	global_load_dwordx4 v[47:50], v[27:28], off
	s_waitcnt vmcnt(0)
	v_fmac_f32_e32 v29, v23, v47
	v_fmac_f32_e32 v7, v24, v47
	v_fmac_f32_e32 v51, v25, v47
	v_fmac_f32_e32 v17, v26, v47
	v_fmac_f32_e32 v52, v39, v47
	v_fmac_f32_e32 v30, v40, v47
	v_fmac_f32_e32 v53, v41, v47
	v_fmac_f32_e32 v16, v42, v47
	v_fma_f32 v27, -v24, v48, v29
	v_fmac_f32_e32 v7, v23, v48
	v_fma_f32 v23, -v26, v48, v51
	v_fmac_f32_e32 v17, v25, v48
	v_fma_f32 v24, -v40, v48, v52
	v_fmac_f32_e32 v30, v39, v48
	v_fma_f32 v25, -v42, v48, v53
	v_fmac_f32_e32 v16, v41, v48
	v_fmac_f32_e32 v27, v35, v49
	v_fmac_f32_e32 v7, v36, v49
	;; [unrolled: 1-line block ×8, first 2 shown]
	v_fma_f32 v47, -v36, v50, v27
	v_fmac_f32_e32 v7, v35, v50
	v_fma_f32 v23, -v38, v50, v23
	v_fmac_f32_e32 v17, v37, v50
	;; [unrolled: 2-line block ×4, first 2 shown]
	global_load_dwordx4 v[26:29], v[20:21], off offset:112
	global_load_dwordx4 v[31:34], v[20:21], off offset:96
	;; [unrolled: 1-line block ×4, first 2 shown]
	s_waitcnt vmcnt(1)
	v_fmac_f32_e32 v24, v35, v43
	s_waitcnt vmcnt(0)
	v_fmac_f32_e32 v47, v39, v43
	v_fmac_f32_e32 v16, v38, v43
	v_fma_f32 v47, -v40, v44, v47
	v_fmac_f32_e32 v7, v40, v43
	v_fma_f32 v40, -v36, v44, v24
	v_fmac_f32_e32 v30, v36, v43
	v_fmac_f32_e32 v25, v37, v43
	;; [unrolled: 1-line block ×4, first 2 shown]
	v_fma_f32 v35, -v38, v44, v25
	v_fmac_f32_e32 v40, v26, v45
	v_fmac_f32_e32 v16, v29, v45
	v_fma_f32 v25, -v27, v46, v40
	v_fmac_f32_e32 v30, v27, v45
	v_fmac_f32_e32 v35, v28, v45
	;; [unrolled: 1-line block ×3, first 2 shown]
	global_load_dwordx2 v[27:28], v[18:19], off offset:128
	v_fmac_f32_e32 v23, v41, v43
	v_fmac_f32_e32 v17, v42, v43
	;; [unrolled: 1-line block ×3, first 2 shown]
	v_fma_f32 v39, -v42, v44, v23
	v_fmac_f32_e32 v17, v41, v44
	v_fmac_f32_e32 v47, v31, v45
	;; [unrolled: 1-line block ×5, first 2 shown]
	v_fma_f32 v23, -v32, v46, v47
	v_fmac_f32_e32 v7, v31, v46
	v_fma_f32 v24, -v34, v46, v39
	v_fmac_f32_e32 v17, v33, v46
	v_fmac_f32_e32 v30, v26, v46
	v_fma_f32 v26, -v29, v46, v35
	global_load_dwordx4 v[31:34], v[20:21], off offset:2096
	global_load_dwordx4 v[35:38], v[20:21], off offset:2080
	;; [unrolled: 1-line block ×4, first 2 shown]
	s_waitcnt vmcnt(4)
	v_sub_co_u32_e32 v27, vcc, v27, v1
	v_subb_co_u32_e32 v28, vcc, v28, v2, vcc
	v_lshlrev_b64 v[27:28], 5, v[27:28]
	v_add_co_u32_e32 v27, vcc, s8, v27
	v_addc_co_u32_e32 v28, vcc, v22, v28, vcc
	global_load_dwordx4 v[47:50], v[27:28], off offset:16
	global_load_dwordx4 v[51:54], v[27:28], off
	v_add_co_u32_e32 v3, vcc, 64, v3
	v_addc_co_u32_e32 v4, vcc, 0, v4, vcc
	v_add_co_u32_e32 v18, vcc, 0x200, v18
	v_addc_co_u32_e32 v19, vcc, 0, v19, vcc
	v_cmp_ge_i64_e64 s[0:1], v[3:4], v[5:6]
	v_add_co_u32_e32 v14, vcc, 0x2000, v14
	v_addc_co_u32_e32 v15, vcc, 0, v15, vcc
	s_or_b64 s[10:11], s[0:1], s[10:11]
	s_waitcnt vmcnt(0)
	v_fmac_f32_e32 v23, v43, v51
	v_fmac_f32_e32 v7, v44, v51
	;; [unrolled: 1-line block ×8, first 2 shown]
	v_fma_f32 v23, -v44, v52, v23
	v_fmac_f32_e32 v7, v43, v52
	v_fma_f32 v24, -v46, v52, v24
	v_fmac_f32_e32 v17, v45, v52
	;; [unrolled: 2-line block ×4, first 2 shown]
	v_fmac_f32_e32 v23, v35, v53
	v_fmac_f32_e32 v7, v36, v53
	;; [unrolled: 1-line block ×8, first 2 shown]
	v_fma_f32 v27, -v36, v54, v23
	v_fmac_f32_e32 v7, v35, v54
	v_fma_f32 v28, -v38, v54, v24
	v_fmac_f32_e32 v17, v37, v54
	;; [unrolled: 2-line block ×4, first 2 shown]
	global_load_dwordx4 v[23:26], v[20:21], off offset:2160
	global_load_dwordx4 v[32:35], v[20:21], off offset:2144
	;; [unrolled: 1-line block ×4, first 2 shown]
	s_waitcnt vmcnt(1)
	v_fmac_f32_e32 v29, v36, v47
	s_waitcnt vmcnt(0)
	v_fmac_f32_e32 v27, v40, v47
	v_fmac_f32_e32 v7, v41, v47
	;; [unrolled: 1-line block ×7, first 2 shown]
	v_fma_f32 v20, -v41, v48, v27
	v_fmac_f32_e32 v7, v40, v48
	v_fma_f32 v21, -v43, v48, v28
	v_fmac_f32_e32 v17, v42, v48
	;; [unrolled: 2-line block ×4, first 2 shown]
	v_fmac_f32_e32 v20, v32, v49
	v_fmac_f32_e32 v7, v33, v49
	;; [unrolled: 1-line block ×8, first 2 shown]
	v_fma_f32 v31, -v33, v50, v20
	v_fmac_f32_e32 v7, v32, v50
	v_fma_f32 v33, -v35, v50, v21
	v_fmac_f32_e32 v17, v34, v50
	;; [unrolled: 2-line block ×4, first 2 shown]
	s_andn2_b64 exec, exec, s[10:11]
	s_cbranch_execnz .LBB52_33
; %bb.34:
	s_or_b64 exec, exec, s[10:11]
.LBB52_35:
	s_or_b64 exec, exec, s[6:7]
.LBB52_36:
	s_or_b64 exec, exec, s[2:3]
.LBB52_37:
	v_mov_b32_dpp v3, v7 row_shr:1 row_mask:0xf bank_mask:0xf
	v_mov_b32_dpp v1, v31 row_shr:1 row_mask:0xf bank_mask:0xf
	v_add_f32_e32 v3, v7, v3
	v_mov_b32_dpp v5, v33 row_shr:1 row_mask:0xf bank_mask:0xf
	v_mov_b32_dpp v7, v17 row_shr:1 row_mask:0xf bank_mask:0xf
	;; [unrolled: 1-line block ×6, first 2 shown]
	v_add_f32_e32 v1, v31, v1
	v_add_f32_e32 v5, v33, v5
	;; [unrolled: 1-line block ×7, first 2 shown]
	v_mov_b32_dpp v2, v1 row_shr:2 row_mask:0xf bank_mask:0xf
	v_mov_b32_dpp v4, v3 row_shr:2 row_mask:0xf bank_mask:0xf
	;; [unrolled: 1-line block ×8, first 2 shown]
	v_add_f32_e32 v1, v1, v2
	v_add_f32_e32 v3, v3, v4
	;; [unrolled: 1-line block ×8, first 2 shown]
	v_mov_b32_dpp v2, v1 row_shr:4 row_mask:0xf bank_mask:0xe
	v_mov_b32_dpp v4, v3 row_shr:4 row_mask:0xf bank_mask:0xe
	;; [unrolled: 1-line block ×8, first 2 shown]
	v_add_f32_e32 v1, v1, v2
	v_add_f32_e32 v3, v3, v4
	;; [unrolled: 1-line block ×8, first 2 shown]
	v_mov_b32_dpp v2, v1 row_shr:8 row_mask:0xf bank_mask:0xc
	v_mov_b32_dpp v4, v3 row_shr:8 row_mask:0xf bank_mask:0xc
	;; [unrolled: 1-line block ×8, first 2 shown]
	v_cmp_eq_u32_e32 vcc, 15, v0
	s_and_b64 exec, exec, vcc
	s_cbranch_execz .LBB52_8
; %bb.38:
	s_load_dwordx2 s[2:3], s[4:5], 0x58
	v_add_f32_e32 v23, v1, v2
	v_add_f32_e32 v0, v3, v4
	;; [unrolled: 1-line block ×8, first 2 shown]
	v_cmp_eq_f32_e32 vcc, 0, v8
	v_cmp_eq_f32_e64 s[0:1], 0, v9
	v_mul_f32_e64 v4, v0, -v11
	v_mul_f32_e32 v5, v10, v0
	v_mul_f32_e64 v6, v1, -v11
	v_mul_f32_e32 v7, v10, v1
	;; [unrolled: 2-line block ×4, first 2 shown]
	v_lshlrev_b64 v[12:13], 5, v[12:13]
	s_and_b64 s[0:1], vcc, s[0:1]
	v_fmac_f32_e32 v4, v10, v23
	v_fmac_f32_e32 v5, v11, v23
	;; [unrolled: 1-line block ×8, first 2 shown]
	s_and_saveexec_b64 s[4:5], s[0:1]
	s_xor_b64 s[0:1], exec, s[4:5]
	s_cbranch_execz .LBB52_40
; %bb.39:
	s_waitcnt lgkmcnt(0)
	v_mov_b32_e32 v9, s3
	v_add_co_u32_e32 v8, vcc, s2, v12
	v_addc_co_u32_e32 v9, vcc, v9, v13, vcc
	global_store_dwordx4 v[8:9], v[4:7], off
	global_store_dwordx4 v[8:9], v[0:3], off offset:16
                                        ; implicit-def: $vgpr8_vgpr9
                                        ; implicit-def: $vgpr4
                                        ; implicit-def: $vgpr12_vgpr13
                                        ; implicit-def: $vgpr0
.LBB52_40:
	s_andn2_saveexec_b64 s[0:1], s[0:1]
	s_cbranch_execz .LBB52_8
; %bb.41:
	s_waitcnt lgkmcnt(0)
	v_mov_b32_e32 v10, s3
	v_add_co_u32_e32 v18, vcc, s2, v12
	v_addc_co_u32_e32 v19, vcc, v10, v13, vcc
	global_load_dwordx4 v[10:13], v[18:19], off
	global_load_dwordx4 v[14:17], v[18:19], off offset:16
	s_waitcnt vmcnt(1)
	v_fmac_f32_e32 v4, v8, v10
	v_fmac_f32_e32 v5, v9, v10
	;; [unrolled: 1-line block ×4, first 2 shown]
	s_waitcnt vmcnt(0)
	v_fmac_f32_e32 v0, v8, v14
	v_fmac_f32_e32 v1, v9, v14
	;; [unrolled: 1-line block ×4, first 2 shown]
	v_fma_f32 v4, -v9, v11, v4
	v_fmac_f32_e32 v5, v8, v11
	v_fma_f32 v6, -v9, v13, v6
	v_fmac_f32_e32 v7, v8, v13
	;; [unrolled: 2-line block ×4, first 2 shown]
	global_store_dwordx4 v[18:19], v[4:7], off
	global_store_dwordx4 v[18:19], v[0:3], off offset:16
	s_endpgm
	.section	.rodata,"a",@progbits
	.p2align	6, 0x0
	.amdhsa_kernel _ZN9rocsparseL18bsrxmvn_4x4_kernelILj128ELj16E21rocsparse_complex_numIfEllS2_S2_S2_EEvT3_20rocsparse_direction_NS_24const_host_device_scalarIT1_EES3_PKS3_PKT2_SC_S9_PKT4_PKT5_S7_PT6_21rocsparse_index_base_b
		.amdhsa_group_segment_fixed_size 0
		.amdhsa_private_segment_fixed_size 0
		.amdhsa_kernarg_size 104
		.amdhsa_user_sgpr_count 6
		.amdhsa_user_sgpr_private_segment_buffer 1
		.amdhsa_user_sgpr_dispatch_ptr 0
		.amdhsa_user_sgpr_queue_ptr 0
		.amdhsa_user_sgpr_kernarg_segment_ptr 1
		.amdhsa_user_sgpr_dispatch_id 0
		.amdhsa_user_sgpr_flat_scratch_init 0
		.amdhsa_user_sgpr_private_segment_size 0
		.amdhsa_uses_dynamic_stack 0
		.amdhsa_system_sgpr_private_segment_wavefront_offset 0
		.amdhsa_system_sgpr_workgroup_id_x 1
		.amdhsa_system_sgpr_workgroup_id_y 0
		.amdhsa_system_sgpr_workgroup_id_z 0
		.amdhsa_system_sgpr_workgroup_info 0
		.amdhsa_system_vgpr_workitem_id 0
		.amdhsa_next_free_vgpr 62
		.amdhsa_next_free_sgpr 19
		.amdhsa_reserve_vcc 1
		.amdhsa_reserve_flat_scratch 0
		.amdhsa_float_round_mode_32 0
		.amdhsa_float_round_mode_16_64 0
		.amdhsa_float_denorm_mode_32 3
		.amdhsa_float_denorm_mode_16_64 3
		.amdhsa_dx10_clamp 1
		.amdhsa_ieee_mode 1
		.amdhsa_fp16_overflow 0
		.amdhsa_exception_fp_ieee_invalid_op 0
		.amdhsa_exception_fp_denorm_src 0
		.amdhsa_exception_fp_ieee_div_zero 0
		.amdhsa_exception_fp_ieee_overflow 0
		.amdhsa_exception_fp_ieee_underflow 0
		.amdhsa_exception_fp_ieee_inexact 0
		.amdhsa_exception_int_div_zero 0
	.end_amdhsa_kernel
	.section	.text._ZN9rocsparseL18bsrxmvn_4x4_kernelILj128ELj16E21rocsparse_complex_numIfEllS2_S2_S2_EEvT3_20rocsparse_direction_NS_24const_host_device_scalarIT1_EES3_PKS3_PKT2_SC_S9_PKT4_PKT5_S7_PT6_21rocsparse_index_base_b,"axG",@progbits,_ZN9rocsparseL18bsrxmvn_4x4_kernelILj128ELj16E21rocsparse_complex_numIfEllS2_S2_S2_EEvT3_20rocsparse_direction_NS_24const_host_device_scalarIT1_EES3_PKS3_PKT2_SC_S9_PKT4_PKT5_S7_PT6_21rocsparse_index_base_b,comdat
.Lfunc_end52:
	.size	_ZN9rocsparseL18bsrxmvn_4x4_kernelILj128ELj16E21rocsparse_complex_numIfEllS2_S2_S2_EEvT3_20rocsparse_direction_NS_24const_host_device_scalarIT1_EES3_PKS3_PKT2_SC_S9_PKT4_PKT5_S7_PT6_21rocsparse_index_base_b, .Lfunc_end52-_ZN9rocsparseL18bsrxmvn_4x4_kernelILj128ELj16E21rocsparse_complex_numIfEllS2_S2_S2_EEvT3_20rocsparse_direction_NS_24const_host_device_scalarIT1_EES3_PKS3_PKT2_SC_S9_PKT4_PKT5_S7_PT6_21rocsparse_index_base_b
                                        ; -- End function
	.set _ZN9rocsparseL18bsrxmvn_4x4_kernelILj128ELj16E21rocsparse_complex_numIfEllS2_S2_S2_EEvT3_20rocsparse_direction_NS_24const_host_device_scalarIT1_EES3_PKS3_PKT2_SC_S9_PKT4_PKT5_S7_PT6_21rocsparse_index_base_b.num_vgpr, 62
	.set _ZN9rocsparseL18bsrxmvn_4x4_kernelILj128ELj16E21rocsparse_complex_numIfEllS2_S2_S2_EEvT3_20rocsparse_direction_NS_24const_host_device_scalarIT1_EES3_PKS3_PKT2_SC_S9_PKT4_PKT5_S7_PT6_21rocsparse_index_base_b.num_agpr, 0
	.set _ZN9rocsparseL18bsrxmvn_4x4_kernelILj128ELj16E21rocsparse_complex_numIfEllS2_S2_S2_EEvT3_20rocsparse_direction_NS_24const_host_device_scalarIT1_EES3_PKS3_PKT2_SC_S9_PKT4_PKT5_S7_PT6_21rocsparse_index_base_b.numbered_sgpr, 19
	.set _ZN9rocsparseL18bsrxmvn_4x4_kernelILj128ELj16E21rocsparse_complex_numIfEllS2_S2_S2_EEvT3_20rocsparse_direction_NS_24const_host_device_scalarIT1_EES3_PKS3_PKT2_SC_S9_PKT4_PKT5_S7_PT6_21rocsparse_index_base_b.num_named_barrier, 0
	.set _ZN9rocsparseL18bsrxmvn_4x4_kernelILj128ELj16E21rocsparse_complex_numIfEllS2_S2_S2_EEvT3_20rocsparse_direction_NS_24const_host_device_scalarIT1_EES3_PKS3_PKT2_SC_S9_PKT4_PKT5_S7_PT6_21rocsparse_index_base_b.private_seg_size, 0
	.set _ZN9rocsparseL18bsrxmvn_4x4_kernelILj128ELj16E21rocsparse_complex_numIfEllS2_S2_S2_EEvT3_20rocsparse_direction_NS_24const_host_device_scalarIT1_EES3_PKS3_PKT2_SC_S9_PKT4_PKT5_S7_PT6_21rocsparse_index_base_b.uses_vcc, 1
	.set _ZN9rocsparseL18bsrxmvn_4x4_kernelILj128ELj16E21rocsparse_complex_numIfEllS2_S2_S2_EEvT3_20rocsparse_direction_NS_24const_host_device_scalarIT1_EES3_PKS3_PKT2_SC_S9_PKT4_PKT5_S7_PT6_21rocsparse_index_base_b.uses_flat_scratch, 0
	.set _ZN9rocsparseL18bsrxmvn_4x4_kernelILj128ELj16E21rocsparse_complex_numIfEllS2_S2_S2_EEvT3_20rocsparse_direction_NS_24const_host_device_scalarIT1_EES3_PKS3_PKT2_SC_S9_PKT4_PKT5_S7_PT6_21rocsparse_index_base_b.has_dyn_sized_stack, 0
	.set _ZN9rocsparseL18bsrxmvn_4x4_kernelILj128ELj16E21rocsparse_complex_numIfEllS2_S2_S2_EEvT3_20rocsparse_direction_NS_24const_host_device_scalarIT1_EES3_PKS3_PKT2_SC_S9_PKT4_PKT5_S7_PT6_21rocsparse_index_base_b.has_recursion, 0
	.set _ZN9rocsparseL18bsrxmvn_4x4_kernelILj128ELj16E21rocsparse_complex_numIfEllS2_S2_S2_EEvT3_20rocsparse_direction_NS_24const_host_device_scalarIT1_EES3_PKS3_PKT2_SC_S9_PKT4_PKT5_S7_PT6_21rocsparse_index_base_b.has_indirect_call, 0
	.section	.AMDGPU.csdata,"",@progbits
; Kernel info:
; codeLenInByte = 6628
; TotalNumSgprs: 23
; NumVgprs: 62
; ScratchSize: 0
; MemoryBound: 0
; FloatMode: 240
; IeeeMode: 1
; LDSByteSize: 0 bytes/workgroup (compile time only)
; SGPRBlocks: 2
; VGPRBlocks: 15
; NumSGPRsForWavesPerEU: 23
; NumVGPRsForWavesPerEU: 62
; Occupancy: 4
; WaveLimiterHint : 1
; COMPUTE_PGM_RSRC2:SCRATCH_EN: 0
; COMPUTE_PGM_RSRC2:USER_SGPR: 6
; COMPUTE_PGM_RSRC2:TRAP_HANDLER: 0
; COMPUTE_PGM_RSRC2:TGID_X_EN: 1
; COMPUTE_PGM_RSRC2:TGID_Y_EN: 0
; COMPUTE_PGM_RSRC2:TGID_Z_EN: 0
; COMPUTE_PGM_RSRC2:TIDIG_COMP_CNT: 0
	.section	.text._ZN9rocsparseL18bsrxmvn_4x4_kernelILj128ELj32E21rocsparse_complex_numIfEllS2_S2_S2_EEvT3_20rocsparse_direction_NS_24const_host_device_scalarIT1_EES3_PKS3_PKT2_SC_S9_PKT4_PKT5_S7_PT6_21rocsparse_index_base_b,"axG",@progbits,_ZN9rocsparseL18bsrxmvn_4x4_kernelILj128ELj32E21rocsparse_complex_numIfEllS2_S2_S2_EEvT3_20rocsparse_direction_NS_24const_host_device_scalarIT1_EES3_PKS3_PKT2_SC_S9_PKT4_PKT5_S7_PT6_21rocsparse_index_base_b,comdat
	.globl	_ZN9rocsparseL18bsrxmvn_4x4_kernelILj128ELj32E21rocsparse_complex_numIfEllS2_S2_S2_EEvT3_20rocsparse_direction_NS_24const_host_device_scalarIT1_EES3_PKS3_PKT2_SC_S9_PKT4_PKT5_S7_PT6_21rocsparse_index_base_b ; -- Begin function _ZN9rocsparseL18bsrxmvn_4x4_kernelILj128ELj32E21rocsparse_complex_numIfEllS2_S2_S2_EEvT3_20rocsparse_direction_NS_24const_host_device_scalarIT1_EES3_PKS3_PKT2_SC_S9_PKT4_PKT5_S7_PT6_21rocsparse_index_base_b
	.p2align	8
	.type	_ZN9rocsparseL18bsrxmvn_4x4_kernelILj128ELj32E21rocsparse_complex_numIfEllS2_S2_S2_EEvT3_20rocsparse_direction_NS_24const_host_device_scalarIT1_EES3_PKS3_PKT2_SC_S9_PKT4_PKT5_S7_PT6_21rocsparse_index_base_b,@function
_ZN9rocsparseL18bsrxmvn_4x4_kernelILj128ELj32E21rocsparse_complex_numIfEllS2_S2_S2_EEvT3_20rocsparse_direction_NS_24const_host_device_scalarIT1_EES3_PKS3_PKT2_SC_S9_PKT4_PKT5_S7_PT6_21rocsparse_index_base_b: ; @_ZN9rocsparseL18bsrxmvn_4x4_kernelILj128ELj32E21rocsparse_complex_numIfEllS2_S2_S2_EEvT3_20rocsparse_direction_NS_24const_host_device_scalarIT1_EES3_PKS3_PKT2_SC_S9_PKT4_PKT5_S7_PT6_21rocsparse_index_base_b
; %bb.0:
	s_load_dwordx4 s[0:3], s[4:5], 0x10
	s_load_dwordx2 s[8:9], s[4:5], 0x60
	s_add_u32 s7, s4, 16
	s_addc_u32 s12, s5, 0
	s_add_u32 s13, s4, 0x50
	s_load_dwordx2 s[10:11], s[4:5], 0x50
	s_addc_u32 s14, s5, 0
	s_waitcnt lgkmcnt(0)
	s_bitcmp1_b32 s9, 0
	s_cselect_b32 s1, s12, s1
	s_cselect_b32 s0, s7, s0
	v_mov_b32_e32 v1, s0
	v_mov_b32_e32 v2, s1
	flat_load_dwordx2 v[10:11], v[1:2]
	s_cselect_b32 s0, s14, s11
	s_cselect_b32 s1, s13, s10
	v_mov_b32_e32 v1, s1
	v_mov_b32_e32 v2, s0
	flat_load_dwordx2 v[8:9], v[1:2]
	s_waitcnt vmcnt(0) lgkmcnt(0)
	v_cmp_eq_f32_e32 vcc, 0, v10
	v_cmp_eq_f32_e64 s[0:1], 0, v11
	s_and_b64 s[12:13], vcc, s[0:1]
	s_mov_b64 s[0:1], -1
	s_and_saveexec_b64 s[10:11], s[12:13]
; %bb.1:
	v_cmp_neq_f32_e32 vcc, 1.0, v8
	v_cmp_neq_f32_e64 s[0:1], 0, v9
	s_or_b64 s[0:1], vcc, s[0:1]
	s_orn2_b64 s[0:1], s[0:1], exec
; %bb.2:
	s_or_b64 exec, exec, s[10:11]
	s_and_saveexec_b64 s[10:11], s[0:1]
	s_cbranch_execz .LBB53_8
; %bb.3:
	s_load_dwordx2 s[10:11], s[4:5], 0x20
	v_lshrrev_b32_e32 v1, 5, v0
	v_lshl_or_b32 v3, s6, 2, v1
	v_mov_b32_e32 v4, 0
	s_mov_b64 s[0:1], 0
	s_waitcnt lgkmcnt(0)
	s_cmp_lg_u64 s[10:11], 0
	s_cbranch_scc0 .LBB53_9
; %bb.4:
	v_cmp_gt_i64_e32 vcc, s[2:3], v[3:4]
                                        ; implicit-def: $vgpr12_vgpr13
                                        ; implicit-def: $vgpr1_vgpr2
	s_and_saveexec_b64 s[2:3], vcc
	s_xor_b64 s[2:3], exec, s[2:3]
	s_cbranch_execz .LBB53_6
; %bb.5:
	v_lshlrev_b64 v[1:2], 3, v[3:4]
	v_mov_b32_e32 v5, s11
	v_add_co_u32_e32 v1, vcc, s10, v1
	v_addc_co_u32_e32 v2, vcc, v5, v2, vcc
	global_load_dwordx2 v[1:2], v[1:2], off
	s_mov_b32 s9, 0
	s_mov_b64 s[0:1], exec
	s_waitcnt vmcnt(0)
	v_subrev_co_u32_e32 v12, vcc, s8, v1
	v_subbrev_co_u32_e32 v13, vcc, 0, v2, vcc
	v_mov_b32_e32 v1, s8
	v_mov_b32_e32 v2, s9
.LBB53_6:
	s_or_b64 exec, exec, s[2:3]
.LBB53_7:
	s_and_b64 exec, exec, s[0:1]
	s_cbranch_execnz .LBB53_13
.LBB53_8:
	s_endpgm
.LBB53_9:
                                        ; implicit-def: $vgpr12_vgpr13
                                        ; implicit-def: $vgpr1_vgpr2
	s_cbranch_execz .LBB53_7
; %bb.10:
	s_load_dwordx2 s[2:3], s[4:5], 0x0
	s_waitcnt lgkmcnt(0)
	v_cmp_gt_i64_e32 vcc, s[2:3], v[3:4]
	s_and_saveexec_b64 s[2:3], vcc
; %bb.11:
	s_mov_b32 s9, 0
	s_or_b64 s[0:1], s[0:1], exec
; %bb.12:
	s_or_b64 exec, exec, s[2:3]
	v_mov_b32_e32 v1, s8
	v_mov_b32_e32 v13, v4
	;; [unrolled: 1-line block ×4, first 2 shown]
	s_and_b64 exec, exec, s[0:1]
	s_cbranch_execz .LBB53_8
.LBB53_13:
	s_load_dwordx8 s[8:15], s[4:5], 0x28
	v_lshlrev_b64 v[3:4], 3, v[12:13]
	v_and_b32_e32 v0, 31, v0
	s_waitcnt lgkmcnt(0)
	v_mov_b32_e32 v6, s9
	v_add_co_u32_e32 v5, vcc, s8, v3
	v_addc_co_u32_e32 v6, vcc, v6, v4, vcc
	global_load_dwordx2 v[18:19], v[5:6], off
	v_add_co_u32_e32 v5, vcc, 8, v5
	v_addc_co_u32_e32 v6, vcc, 0, v6, vcc
	v_mov_b32_e32 v7, s11
	v_add_co_u32_e32 v3, vcc, s10, v3
	s_cmp_eq_u64 s[10:11], 0
	v_addc_co_u32_e32 v4, vcc, v7, v4, vcc
	s_cselect_b64 vcc, -1, 0
	v_cndmask_b32_e32 v4, v4, v6, vcc
	v_cndmask_b32_e32 v3, v3, v5, vcc
	global_load_dwordx2 v[5:6], v[3:4], off
	s_load_dword s0, s[4:5], 0x8
	s_load_dwordx2 s[8:9], s[4:5], 0x48
	v_mov_b32_e32 v16, s15
	v_mov_b32_e32 v7, 0
	s_waitcnt lgkmcnt(0)
	s_cmp_eq_u32 s0, 1
	s_waitcnt vmcnt(1)
	v_sub_co_u32_e32 v3, vcc, v18, v1
	v_subb_co_u32_e32 v4, vcc, v19, v2, vcc
	v_add_co_u32_e32 v3, vcc, v3, v0
	v_addc_co_u32_e32 v4, vcc, 0, v4, vcc
	v_lshlrev_b64 v[14:15], 7, v[3:4]
	s_waitcnt vmcnt(0)
	v_sub_co_u32_e32 v5, vcc, v5, v1
	v_subb_co_u32_e32 v6, vcc, v6, v2, vcc
	v_cmp_lt_i64_e64 s[0:1], v[3:4], v[5:6]
	v_add_co_u32_e32 v14, vcc, s14, v14
	v_addc_co_u32_e32 v15, vcc, v16, v15, vcc
	s_cbranch_scc1 .LBB53_25
; %bb.14:
	v_mov_b32_e32 v32, 0
	v_mov_b32_e32 v31, 0
	;; [unrolled: 1-line block ×7, first 2 shown]
	s_and_saveexec_b64 s[10:11], s[0:1]
	s_cbranch_execz .LBB53_24
; %bb.15:
	v_or_b32_e32 v7, 32, v0
	v_sub_co_u32_e32 v7, vcc, v7, v1
	v_subb_co_u32_e32 v17, vcc, 0, v2, vcc
	v_add_co_u32_e32 v16, vcc, v7, v18
	v_addc_co_u32_e32 v17, vcc, v17, v19, vcc
	v_cmp_gt_i64_e32 vcc, v[16:17], v[5:6]
	v_not_b32_e32 v20, v18
	v_cndmask_b32_e32 v7, v6, v17, vcc
	v_cndmask_b32_e32 v16, v5, v16, vcc
	v_sub_co_u32_e32 v21, vcc, v1, v0
	v_subbrev_co_u32_e32 v22, vcc, 0, v2, vcc
	v_not_b32_e32 v17, v19
	v_add_co_u32_e32 v20, vcc, v21, v20
	v_addc_co_u32_e32 v17, vcc, v22, v17, vcc
	v_add_co_u32_e32 v24, vcc, v20, v16
	v_addc_co_u32_e32 v25, vcc, v17, v7, vcc
	v_and_b32_e32 v16, 0x60, v24
	v_mov_b32_e32 v17, 0
	s_mov_b64 s[2:3], 0x60
	v_cmp_ne_u64_e32 vcc, s[2:3], v[16:17]
	v_mov_b32_e32 v21, v15
	v_mov_b32_e32 v23, v4
	;; [unrolled: 1-line block ×11, first 2 shown]
	s_and_saveexec_b64 s[14:15], vcc
	s_cbranch_execz .LBB53_19
; %bb.16:
	v_lshlrev_b64 v[16:17], 3, v[3:4]
	v_lshrrev_b32_e32 v7, 5, v24
	v_add_u32_e32 v7, 1, v7
	v_mov_b32_e32 v21, s13
	v_add_co_u32_e32 v26, vcc, s12, v16
	v_and_b32_e32 v20, 3, v7
	v_addc_co_u32_e32 v27, vcc, v21, v17, vcc
	v_sub_co_u32_e32 v28, vcc, 0, v20
	v_mov_b32_e32 v23, v4
	v_mov_b32_e32 v21, v15
	;; [unrolled: 1-line block ×3, first 2 shown]
	s_mov_b64 s[16:17], 0
	v_subb_co_u32_e64 v29, s[2:3], 0, 0, vcc
	s_movk_i32 s18, 0x1000
	v_mov_b32_e32 v35, s9
	v_mov_b32_e32 v22, v3
	;; [unrolled: 1-line block ×10, first 2 shown]
.LBB53_17:                              ; =>This Inner Loop Header: Depth=1
	global_load_dwordx2 v[44:45], v[26:27], off
	global_load_dwordx4 v[36:39], v[20:21], off
	global_load_dwordx4 v[40:43], v[20:21], off offset:32
	v_add_co_u32_e64 v28, s[6:7], 1, v28
	s_waitcnt vmcnt(2)
	v_sub_co_u32_e32 v44, vcc, v44, v1
	v_subb_co_u32_e32 v45, vcc, v45, v2, vcc
	v_lshlrev_b64 v[44:45], 5, v[44:45]
	v_add_co_u32_e32 v48, vcc, s8, v44
	v_addc_co_u32_e32 v49, vcc, v35, v45, vcc
	global_load_dwordx4 v[44:47], v[48:49], off
	s_waitcnt vmcnt(0)
	v_fmac_f32_e32 v32, v36, v44
	v_fmac_f32_e32 v7, v37, v44
	v_fma_f32 v32, -v37, v45, v32
	v_fmac_f32_e32 v7, v36, v45
	v_fmac_f32_e32 v32, v38, v46
	;; [unrolled: 1-line block ×3, first 2 shown]
	v_fma_f32 v50, -v39, v47, v32
	v_fmac_f32_e32 v7, v38, v47
	global_load_dwordx4 v[36:39], v[20:21], off offset:64
	v_fmac_f32_e32 v33, v40, v44
	v_fmac_f32_e32 v17, v41, v44
	v_fma_f32 v32, -v41, v45, v33
	v_fmac_f32_e32 v17, v40, v45
	v_fmac_f32_e32 v32, v42, v46
	;; [unrolled: 1-line block ×3, first 2 shown]
	v_fma_f32 v52, -v43, v47, v32
	v_fmac_f32_e32 v17, v42, v47
	global_load_dwordx4 v[40:43], v[20:21], off offset:96
	s_waitcnt vmcnt(1)
	v_fmac_f32_e32 v34, v36, v44
	v_fmac_f32_e32 v30, v37, v44
	v_fma_f32 v32, -v37, v45, v34
	v_fmac_f32_e32 v30, v36, v45
	v_fmac_f32_e32 v32, v38, v46
	;; [unrolled: 1-line block ×3, first 2 shown]
	v_fma_f32 v53, -v39, v47, v32
	v_fmac_f32_e32 v30, v38, v47
	global_load_dwordx4 v[36:39], v[20:21], off offset:48
	s_waitcnt vmcnt(1)
	v_fmac_f32_e32 v31, v40, v44
	v_fmac_f32_e32 v16, v41, v44
	v_fma_f32 v31, -v41, v45, v31
	v_fmac_f32_e32 v16, v40, v45
	v_fmac_f32_e32 v31, v42, v46
	;; [unrolled: 1-line block ×3, first 2 shown]
	v_fma_f32 v54, -v43, v47, v31
	v_fmac_f32_e32 v16, v42, v47
	global_load_dwordx4 v[31:34], v[20:21], off offset:16
	global_load_dwordx4 v[40:43], v[20:21], off offset:80
	;; [unrolled: 1-line block ×3, first 2 shown]
	s_waitcnt vmcnt(0)
	v_fmac_f32_e32 v50, v31, v44
	v_fmac_f32_e32 v7, v32, v44
	v_fma_f32 v32, -v32, v45, v50
	global_load_dwordx4 v[48:51], v[20:21], off offset:112
	v_add_co_u32_e32 v20, vcc, s18, v20
	s_mov_b64 s[2:3], vcc
	v_add_co_u32_e32 v22, vcc, 32, v22
	v_fmac_f32_e32 v7, v31, v45
	v_fmac_f32_e32 v32, v33, v46
	v_addc_co_u32_e32 v23, vcc, 0, v23, vcc
	v_addc_co_u32_e64 v29, vcc, 0, v29, s[6:7]
	v_addc_co_u32_e64 v21, s[2:3], 0, v21, s[2:3]
	v_fmac_f32_e32 v52, v36, v44
	v_fmac_f32_e32 v17, v37, v44
	;; [unrolled: 1-line block ×5, first 2 shown]
	v_fma_f32 v32, -v34, v47, v32
	v_cmp_eq_u64_e64 s[2:3], 0, v[28:29]
	v_fma_f32 v31, -v37, v45, v52
	v_fmac_f32_e32 v17, v36, v45
	v_fma_f32 v34, -v41, v45, v53
	v_fmac_f32_e32 v30, v40, v45
	v_add_co_u32_e32 v26, vcc, 0x100, v26
	v_fmac_f32_e32 v31, v38, v46
	v_fmac_f32_e32 v17, v39, v46
	v_fmac_f32_e32 v34, v42, v46
	v_fmac_f32_e32 v30, v43, v46
	v_fmac_f32_e32 v7, v33, v47
	v_addc_co_u32_e32 v27, vcc, 0, v27, vcc
	s_or_b64 s[16:17], s[2:3], s[16:17]
	v_fma_f32 v33, -v39, v47, v31
	v_fmac_f32_e32 v17, v38, v47
	v_fma_f32 v34, -v43, v47, v34
	v_fmac_f32_e32 v30, v42, v47
	s_waitcnt vmcnt(0)
	v_fmac_f32_e32 v54, v48, v44
	v_fmac_f32_e32 v16, v49, v44
	v_fma_f32 v36, -v49, v45, v54
	v_fmac_f32_e32 v16, v48, v45
	v_fmac_f32_e32 v36, v50, v46
	;; [unrolled: 1-line block ×3, first 2 shown]
	v_fma_f32 v31, -v51, v47, v36
	v_fmac_f32_e32 v16, v50, v47
	s_andn2_b64 exec, exec, s[16:17]
	s_cbranch_execnz .LBB53_17
; %bb.18:
	s_or_b64 exec, exec, s[16:17]
.LBB53_19:
	s_or_b64 exec, exec, s[14:15]
	s_mov_b64 s[2:3], 0x5f
	v_cmp_lt_u64_e32 vcc, s[2:3], v[24:25]
	s_and_saveexec_b64 s[6:7], vcc
	s_cbranch_execz .LBB53_23
; %bb.20:
	v_lshlrev_b64 v[24:25], 3, v[22:23]
	v_mov_b32_e32 v26, s13
	v_add_co_u32_e32 v24, vcc, s12, v24
	v_addc_co_u32_e32 v25, vcc, v26, v25, vcc
	v_add_co_u32_e32 v24, vcc, 0x200, v24
	v_addc_co_u32_e32 v25, vcc, 0, v25, vcc
	s_mov_b64 s[14:15], 0
	v_mov_b32_e32 v28, s9
	s_movk_i32 s16, 0x1000
	s_movk_i32 s17, 0x2000
	;; [unrolled: 1-line block ×3, first 2 shown]
.LBB53_21:                              ; =>This Inner Loop Header: Depth=1
	global_load_dwordx2 v[26:27], v[24:25], off offset:-512
	global_load_dwordx4 v[35:38], v[20:21], off offset:48
	global_load_dwordx4 v[39:42], v[20:21], off offset:32
	;; [unrolled: 1-line block ×3, first 2 shown]
	global_load_dwordx4 v[47:50], v[20:21], off
	s_waitcnt vmcnt(4)
	v_sub_co_u32_e32 v26, vcc, v26, v1
	v_subb_co_u32_e32 v27, vcc, v27, v2, vcc
	v_lshlrev_b64 v[26:27], 5, v[26:27]
	v_add_co_u32_e32 v26, vcc, s8, v26
	v_addc_co_u32_e32 v27, vcc, v28, v27, vcc
	global_load_dwordx4 v[51:54], v[26:27], off offset:16
	global_load_dwordx4 v[55:58], v[26:27], off
	s_waitcnt vmcnt(0)
	v_fmac_f32_e32 v32, v47, v55
	v_fma_f32 v26, -v48, v56, v32
	v_fmac_f32_e32 v26, v49, v57
	v_fma_f32 v26, -v50, v58, v26
	;; [unrolled: 2-line block ×3, first 2 shown]
	v_fmac_f32_e32 v7, v48, v55
	v_fmac_f32_e32 v26, v45, v53
	;; [unrolled: 1-line block ×5, first 2 shown]
	v_fma_f32 v29, -v46, v54, v26
	v_fma_f32 v26, -v40, v56, v33
	v_fmac_f32_e32 v17, v39, v56
	v_fmac_f32_e32 v7, v50, v57
	v_fmac_f32_e32 v26, v41, v57
	v_fmac_f32_e32 v17, v42, v57
	v_fmac_f32_e32 v7, v49, v58
	v_fma_f32 v26, -v42, v58, v26
	v_fmac_f32_e32 v17, v41, v58
	v_fmac_f32_e32 v7, v44, v51
	v_fmac_f32_e32 v26, v35, v51
	v_fmac_f32_e32 v17, v36, v51
	v_fmac_f32_e32 v7, v43, v52
	;; [unrolled: 6-line block ×3, first 2 shown]
	v_fma_f32 v61, -v38, v54, v26
	v_fmac_f32_e32 v17, v37, v54
	global_load_dwordx4 v[35:38], v[20:21], off offset:112
	global_load_dwordx4 v[39:42], v[20:21], off offset:96
	;; [unrolled: 1-line block ×4, first 2 shown]
	s_waitcnt vmcnt(2)
	v_fmac_f32_e32 v31, v39, v55
	v_fmac_f32_e32 v16, v40, v55
	s_waitcnt vmcnt(0)
	v_fmac_f32_e32 v34, v47, v55
	v_fma_f32 v26, -v48, v56, v34
	v_fmac_f32_e32 v26, v49, v57
	v_fma_f32 v26, -v50, v58, v26
	;; [unrolled: 2-line block ×4, first 2 shown]
	v_fma_f32 v26, -v40, v56, v31
	global_load_dwordx2 v[31:32], v[24:25], off offset:-256
	v_fmac_f32_e32 v26, v41, v57
	v_fma_f32 v26, -v42, v58, v26
	v_fmac_f32_e32 v26, v35, v51
	v_fmac_f32_e32 v30, v48, v55
	v_fma_f32 v26, -v36, v52, v26
	v_fmac_f32_e32 v30, v47, v56
	v_fmac_f32_e32 v16, v39, v56
	;; [unrolled: 1-line block ×5, first 2 shown]
	v_fma_f32 v57, -v38, v54, v26
	v_add_co_u32_e32 v26, vcc, s16, v20
	v_addc_co_u32_e32 v27, vcc, 0, v21, vcc
	v_fmac_f32_e32 v30, v49, v58
	v_fmac_f32_e32 v16, v41, v58
	;; [unrolled: 1-line block ×10, first 2 shown]
	s_waitcnt vmcnt(0)
	v_sub_co_u32_e32 v47, vcc, v31, v1
	v_subb_co_u32_e32 v48, vcc, v32, v2, vcc
	v_add_co_u32_e32 v59, vcc, s17, v20
	v_lshlrev_b64 v[47:48], 5, v[47:48]
	v_addc_co_u32_e32 v60, vcc, 0, v21, vcc
	v_add_co_u32_e32 v55, vcc, s8, v47
	v_addc_co_u32_e32 v56, vcc, v28, v48, vcc
	global_load_dwordx4 v[31:34], v[59:60], off offset:-4096
	global_load_dwordx4 v[35:38], v[26:27], off offset:48
	global_load_dwordx4 v[39:42], v[26:27], off offset:32
	;; [unrolled: 1-line block ×4, first 2 shown]
	global_load_dwordx4 v[51:54], v[55:56], off
	s_waitcnt vmcnt(0)
	v_fmac_f32_e32 v29, v31, v51
	v_fmac_f32_e32 v7, v32, v51
	v_fmac_f32_e32 v61, v39, v51
	v_fmac_f32_e32 v17, v40, v51
	v_fma_f32 v29, -v32, v52, v29
	v_fmac_f32_e32 v7, v31, v52
	v_fma_f32 v31, -v40, v52, v61
	v_fmac_f32_e32 v17, v39, v52
	v_fmac_f32_e32 v29, v33, v53
	v_fmac_f32_e32 v7, v34, v53
	v_fmac_f32_e32 v31, v41, v53
	v_fmac_f32_e32 v17, v42, v53
	v_fma_f32 v29, -v34, v54, v29
	v_fmac_f32_e32 v7, v33, v54
	v_fma_f32 v31, -v42, v54, v31
	v_fmac_f32_e32 v17, v41, v54
	;; [unrolled: 8-line block ×4, first 2 shown]
	global_load_dwordx4 v[31:34], v[26:27], off offset:112
	global_load_dwordx4 v[35:38], v[26:27], off offset:96
	;; [unrolled: 1-line block ×4, first 2 shown]
	s_waitcnt vmcnt(2)
	v_fmac_f32_e32 v57, v35, v51
	v_fmac_f32_e32 v16, v36, v51
	s_waitcnt vmcnt(0)
	v_fmac_f32_e32 v62, v43, v51
	v_fma_f32 v26, -v44, v52, v62
	v_fmac_f32_e32 v26, v45, v53
	v_fma_f32 v26, -v46, v54, v26
	;; [unrolled: 2-line block ×4, first 2 shown]
	v_fma_f32 v26, -v36, v52, v57
	v_fmac_f32_e32 v26, v37, v53
	v_fma_f32 v26, -v38, v54, v26
	v_fmac_f32_e32 v26, v31, v47
	;; [unrolled: 2-line block ×3, first 2 shown]
	v_fma_f32 v62, -v34, v50, v26
	global_load_dwordx2 v[26:27], v[24:25], off
	v_fmac_f32_e32 v30, v44, v51
	v_fmac_f32_e32 v30, v43, v52
	;; [unrolled: 1-line block ×15, first 2 shown]
	global_load_dwordx4 v[31:34], v[59:60], off
	global_load_dwordx4 v[35:38], v[59:60], off offset:48
	global_load_dwordx4 v[39:42], v[59:60], off offset:32
	;; [unrolled: 1-line block ×3, first 2 shown]
	s_waitcnt vmcnt(4)
	v_sub_co_u32_e32 v26, vcc, v26, v1
	v_subb_co_u32_e32 v27, vcc, v27, v2, vcc
	v_lshlrev_b64 v[26:27], 5, v[26:27]
	v_add_co_u32_e32 v26, vcc, s8, v26
	v_addc_co_u32_e32 v27, vcc, v28, v27, vcc
	global_load_dwordx4 v[47:50], v[26:27], off offset:16
	global_load_dwordx4 v[51:54], v[26:27], off
	s_waitcnt vmcnt(0)
	v_fmac_f32_e32 v29, v31, v51
	v_fma_f32 v26, -v32, v52, v29
	v_fmac_f32_e32 v26, v33, v53
	v_fma_f32 v26, -v34, v54, v26
	;; [unrolled: 2-line block ×3, first 2 shown]
	v_fmac_f32_e32 v7, v32, v51
	v_fmac_f32_e32 v26, v45, v49
	;; [unrolled: 1-line block ×5, first 2 shown]
	v_fma_f32 v32, -v46, v50, v26
	v_fma_f32 v26, -v40, v52, v55
	v_fmac_f32_e32 v17, v39, v52
	v_fmac_f32_e32 v7, v34, v53
	v_fmac_f32_e32 v26, v41, v53
	v_fmac_f32_e32 v17, v42, v53
	v_fmac_f32_e32 v7, v33, v54
	v_fma_f32 v26, -v42, v54, v26
	v_fmac_f32_e32 v17, v41, v54
	v_fmac_f32_e32 v7, v44, v47
	v_fmac_f32_e32 v26, v35, v47
	v_fmac_f32_e32 v17, v36, v47
	v_fmac_f32_e32 v7, v43, v48
	;; [unrolled: 6-line block ×3, first 2 shown]
	v_fma_f32 v33, -v38, v50, v26
	v_fmac_f32_e32 v17, v37, v50
	global_load_dwordx4 v[34:37], v[59:60], off offset:112
	global_load_dwordx4 v[38:41], v[59:60], off offset:96
	;; [unrolled: 1-line block ×4, first 2 shown]
	s_waitcnt vmcnt(2)
	v_fmac_f32_e32 v62, v38, v51
	v_fmac_f32_e32 v16, v39, v51
	s_waitcnt vmcnt(0)
	v_fmac_f32_e32 v61, v55, v51
	v_fma_f32 v26, -v56, v52, v61
	v_fmac_f32_e32 v26, v57, v53
	v_fma_f32 v26, -v58, v54, v26
	v_fmac_f32_e32 v26, v42, v47
	v_fma_f32 v26, -v43, v48, v26
	v_fmac_f32_e32 v26, v44, v49
	v_fma_f32 v29, -v45, v50, v26
	v_fma_f32 v26, -v39, v52, v62
	v_fmac_f32_e32 v26, v40, v53
	v_fma_f32 v26, -v41, v54, v26
	v_fmac_f32_e32 v26, v34, v47
	;; [unrolled: 2-line block ×3, first 2 shown]
	v_fma_f32 v31, -v37, v50, v26
	global_load_dwordx2 v[26:27], v[24:25], off offset:256
	v_fmac_f32_e32 v30, v56, v51
	v_fmac_f32_e32 v30, v55, v52
	;; [unrolled: 1-line block ×15, first 2 shown]
	s_waitcnt vmcnt(0)
	v_sub_co_u32_e32 v50, vcc, v26, v1
	v_subb_co_u32_e32 v51, vcc, v27, v2, vcc
	v_add_co_u32_e32 v26, vcc, s18, v20
	v_lshlrev_b64 v[50:51], 5, v[50:51]
	v_addc_co_u32_e32 v27, vcc, 0, v21, vcc
	v_add_co_u32_e32 v58, vcc, s8, v50
	v_addc_co_u32_e32 v59, vcc, v28, v51, vcc
	global_load_dwordx4 v[34:37], v[26:27], off
	global_load_dwordx4 v[38:41], v[26:27], off offset:48
	global_load_dwordx4 v[42:45], v[26:27], off offset:32
	;; [unrolled: 1-line block ×4, first 2 shown]
	global_load_dwordx4 v[54:57], v[58:59], off
	v_add_co_u32_e32 v22, vcc, 0x80, v22
	v_addc_co_u32_e32 v23, vcc, 0, v23, vcc
	v_add_co_u32_e32 v24, vcc, 0x400, v24
	v_addc_co_u32_e32 v25, vcc, 0, v25, vcc
	v_cmp_ge_i64_e64 s[2:3], v[22:23], v[5:6]
	v_add_co_u32_e32 v20, vcc, 0x4000, v20
	v_addc_co_u32_e32 v21, vcc, 0, v21, vcc
	s_or_b64 s[14:15], s[2:3], s[14:15]
	s_waitcnt vmcnt(0)
	v_fmac_f32_e32 v33, v42, v54
	v_fmac_f32_e32 v17, v43, v54
	v_fma_f32 v33, -v43, v55, v33
	v_fmac_f32_e32 v17, v42, v55
	v_fmac_f32_e32 v7, v35, v54
	;; [unrolled: 1-line block ×6, first 2 shown]
	v_fma_f32 v33, -v45, v57, v33
	v_fmac_f32_e32 v17, v44, v57
	v_fma_f32 v32, -v35, v55, v32
	v_fmac_f32_e32 v7, v37, v56
	v_fmac_f32_e32 v33, v38, v50
	;; [unrolled: 1-line block ×5, first 2 shown]
	v_fma_f32 v33, -v39, v51, v33
	v_fmac_f32_e32 v17, v38, v51
	v_fma_f32 v32, -v37, v57, v32
	v_fmac_f32_e32 v7, v47, v50
	v_fmac_f32_e32 v33, v40, v52
	;; [unrolled: 1-line block ×5, first 2 shown]
	v_fma_f32 v33, -v41, v53, v33
	v_fmac_f32_e32 v17, v40, v53
	global_load_dwordx4 v[35:38], v[26:27], off offset:112
	global_load_dwordx4 v[39:42], v[26:27], off offset:96
	;; [unrolled: 1-line block ×4, first 2 shown]
	v_fma_f32 v32, -v47, v51, v32
	v_fmac_f32_e32 v32, v48, v52
	v_fmac_f32_e32 v7, v49, v52
	v_fma_f32 v32, -v49, v53, v32
	v_fmac_f32_e32 v7, v48, v53
	s_waitcnt vmcnt(2)
	v_fmac_f32_e32 v31, v39, v54
	v_fmac_f32_e32 v16, v40, v54
	s_waitcnt vmcnt(0)
	v_fmac_f32_e32 v29, v58, v54
	v_fma_f32 v26, -v59, v55, v29
	v_fmac_f32_e32 v26, v60, v56
	v_fma_f32 v26, -v61, v57, v26
	;; [unrolled: 2-line block ×3, first 2 shown]
	v_fmac_f32_e32 v30, v59, v54
	v_fmac_f32_e32 v26, v45, v52
	;; [unrolled: 1-line block ×3, first 2 shown]
	v_fma_f32 v34, -v46, v53, v26
	v_fma_f32 v26, -v40, v55, v31
	v_fmac_f32_e32 v16, v39, v55
	v_fmac_f32_e32 v30, v61, v56
	v_fmac_f32_e32 v26, v41, v56
	v_fmac_f32_e32 v16, v42, v56
	v_fmac_f32_e32 v30, v60, v57
	v_fma_f32 v26, -v42, v57, v26
	v_fmac_f32_e32 v16, v41, v57
	v_fmac_f32_e32 v30, v44, v50
	v_fmac_f32_e32 v26, v35, v50
	v_fmac_f32_e32 v16, v36, v50
	v_fmac_f32_e32 v30, v43, v51
	;; [unrolled: 6-line block ×3, first 2 shown]
	v_fma_f32 v31, -v38, v53, v26
	v_fmac_f32_e32 v16, v37, v53
	s_andn2_b64 exec, exec, s[14:15]
	s_cbranch_execnz .LBB53_21
; %bb.22:
	s_or_b64 exec, exec, s[14:15]
.LBB53_23:
	s_or_b64 exec, exec, s[6:7]
.LBB53_24:
	s_or_b64 exec, exec, s[10:11]
	s_cbranch_execz .LBB53_26
	s_branch .LBB53_37
.LBB53_25:
                                        ; implicit-def: $vgpr7
                                        ; implicit-def: $vgpr32
                                        ; implicit-def: $vgpr31
                                        ; implicit-def: $vgpr16
                                        ; implicit-def: $vgpr34
                                        ; implicit-def: $vgpr30
                                        ; implicit-def: $vgpr33
                                        ; implicit-def: $vgpr17
.LBB53_26:
	v_mov_b32_e32 v7, 0
	v_mov_b32_e32 v32, 0
	;; [unrolled: 1-line block ×8, first 2 shown]
	s_and_saveexec_b64 s[2:3], s[0:1]
	s_cbranch_execz .LBB53_36
; %bb.27:
	v_or_b32_e32 v7, 32, v0
	v_sub_co_u32_e32 v7, vcc, v7, v1
	v_subb_co_u32_e32 v17, vcc, 0, v2, vcc
	v_add_co_u32_e32 v16, vcc, v7, v18
	v_addc_co_u32_e32 v17, vcc, v17, v19, vcc
	v_cmp_gt_i64_e32 vcc, v[16:17], v[5:6]
	v_not_b32_e32 v18, v18
	v_cndmask_b32_e32 v7, v6, v17, vcc
	v_cndmask_b32_e32 v16, v5, v16, vcc
	v_not_b32_e32 v17, v19
	v_sub_co_u32_e32 v19, vcc, v1, v0
	v_subbrev_co_u32_e32 v20, vcc, 0, v2, vcc
	v_add_co_u32_e32 v18, vcc, v19, v18
	v_addc_co_u32_e32 v17, vcc, v20, v17, vcc
	v_add_co_u32_e32 v18, vcc, v18, v16
	v_addc_co_u32_e32 v19, vcc, v17, v7, vcc
	v_and_b32_e32 v16, 0x60, v18
	v_mov_b32_e32 v17, 0
	s_mov_b64 s[0:1], 0x60
	v_cmp_ne_u64_e32 vcc, s[0:1], v[16:17]
	v_mov_b32_e32 v33, v17
	v_mov_b32_e32 v30, v17
	;; [unrolled: 1-line block ×7, first 2 shown]
	s_and_saveexec_b64 s[0:1], vcc
	s_cbranch_execz .LBB53_31
; %bb.28:
	v_lshlrev_b64 v[16:17], 3, v[3:4]
	v_lshrrev_b32_e32 v7, 5, v18
	v_add_u32_e32 v7, 1, v7
	v_mov_b32_e32 v21, s13
	v_add_co_u32_e32 v20, vcc, s12, v16
	v_and_b32_e32 v22, 3, v7
	v_addc_co_u32_e32 v21, vcc, v21, v17, vcc
	v_sub_co_u32_e32 v22, vcc, 0, v22
	v_subb_co_u32_e64 v23, s[10:11], 0, 0, vcc
	v_mov_b32_e32 v7, 0
	s_mov_b64 s[6:7], 0
	s_movk_i32 s10, 0x1000
	v_mov_b32_e32 v24, s9
	v_mov_b32_e32 v32, 0
	;; [unrolled: 1-line block ×8, first 2 shown]
.LBB53_29:                              ; =>This Inner Loop Header: Depth=1
	global_load_dwordx2 v[25:26], v[20:21], off
	s_waitcnt vmcnt(0)
	v_sub_co_u32_e32 v47, vcc, v25, v1
	v_subb_co_u32_e32 v48, vcc, v26, v2, vcc
	v_lshlrev_b64 v[47:48], 5, v[47:48]
	global_load_dwordx4 v[25:28], v[14:15], off offset:48
	global_load_dwordx4 v[35:38], v[14:15], off offset:32
	global_load_dwordx4 v[39:42], v[14:15], off offset:16
	global_load_dwordx4 v[43:46], v[14:15], off
	v_add_co_u32_e32 v55, vcc, s8, v47
	v_addc_co_u32_e32 v56, vcc, v24, v48, vcc
	global_load_dwordx4 v[47:50], v[55:56], off offset:16
	global_load_dwordx4 v[51:54], v[55:56], off
	s_waitcnt vmcnt(0)
	v_fmac_f32_e32 v32, v43, v51
	v_fmac_f32_e32 v7, v44, v51
	;; [unrolled: 1-line block ×8, first 2 shown]
	v_fma_f32 v29, -v44, v52, v32
	v_fmac_f32_e32 v7, v43, v52
	v_fma_f32 v32, -v46, v52, v33
	v_fmac_f32_e32 v17, v45, v52
	;; [unrolled: 2-line block ×4, first 2 shown]
	v_fmac_f32_e32 v29, v35, v53
	v_fmac_f32_e32 v7, v36, v53
	v_fmac_f32_e32 v32, v37, v53
	v_fmac_f32_e32 v17, v38, v53
	v_fmac_f32_e32 v33, v25, v53
	v_fmac_f32_e32 v30, v26, v53
	v_fmac_f32_e32 v31, v27, v53
	v_fmac_f32_e32 v16, v28, v53
	v_fma_f32 v29, -v36, v54, v29
	v_fmac_f32_e32 v7, v35, v54
	v_fma_f32 v32, -v38, v54, v32
	v_fmac_f32_e32 v17, v37, v54
	;; [unrolled: 2-line block ×4, first 2 shown]
	global_load_dwordx4 v[25:28], v[14:15], off offset:112
	global_load_dwordx4 v[33:36], v[14:15], off offset:96
	;; [unrolled: 1-line block ×4, first 2 shown]
	v_add_co_u32_e32 v14, vcc, s10, v14
	v_addc_co_u32_e32 v15, vcc, 0, v15, vcc
	v_add_co_u32_e32 v3, vcc, 32, v3
	v_addc_co_u32_e32 v4, vcc, 0, v4, vcc
	;; [unrolled: 2-line block ×4, first 2 shown]
	v_cmp_eq_u64_e32 vcc, 0, v[22:23]
	s_or_b64 s[6:7], vcc, s[6:7]
	s_waitcnt vmcnt(1)
	v_fmac_f32_e32 v45, v37, v47
	s_waitcnt vmcnt(0)
	v_fmac_f32_e32 v29, v41, v47
	v_fmac_f32_e32 v7, v42, v47
	;; [unrolled: 1-line block ×7, first 2 shown]
	v_fma_f32 v29, -v42, v48, v29
	v_fmac_f32_e32 v7, v41, v48
	v_fma_f32 v41, -v44, v48, v32
	v_fmac_f32_e32 v17, v43, v48
	v_fma_f32 v42, -v38, v48, v45
	v_fmac_f32_e32 v30, v37, v48
	v_fma_f32 v31, -v40, v48, v31
	v_fmac_f32_e32 v16, v39, v48
	v_fmac_f32_e32 v29, v33, v49
	v_fmac_f32_e32 v7, v34, v49
	;; [unrolled: 1-line block ×8, first 2 shown]
	v_fma_f32 v32, -v34, v50, v29
	v_fmac_f32_e32 v7, v33, v50
	v_fma_f32 v33, -v36, v50, v41
	v_fmac_f32_e32 v17, v35, v50
	;; [unrolled: 2-line block ×4, first 2 shown]
	s_andn2_b64 exec, exec, s[6:7]
	s_cbranch_execnz .LBB53_29
; %bb.30:
	s_or_b64 exec, exec, s[6:7]
.LBB53_31:
	s_or_b64 exec, exec, s[0:1]
	s_mov_b64 s[0:1], 0x5f
	v_cmp_lt_u64_e32 vcc, s[0:1], v[18:19]
	s_and_saveexec_b64 s[6:7], vcc
	s_cbranch_execz .LBB53_35
; %bb.32:
	v_lshlrev_b64 v[18:19], 3, v[3:4]
	v_mov_b32_e32 v20, s13
	v_add_co_u32_e32 v18, vcc, s12, v18
	v_addc_co_u32_e32 v19, vcc, v20, v19, vcc
	v_add_co_u32_e32 v18, vcc, 0x200, v18
	v_addc_co_u32_e32 v19, vcc, 0, v19, vcc
	s_mov_b64 s[10:11], 0
	v_mov_b32_e32 v22, s9
	s_movk_i32 s9, 0x1000
	s_movk_i32 s12, 0x2000
	;; [unrolled: 1-line block ×3, first 2 shown]
.LBB53_33:                              ; =>This Inner Loop Header: Depth=1
	global_load_dwordx2 v[20:21], v[18:19], off offset:-512
	global_load_dwordx4 v[23:26], v[14:15], off offset:48
	global_load_dwordx4 v[35:38], v[14:15], off offset:32
	;; [unrolled: 1-line block ×3, first 2 shown]
	global_load_dwordx4 v[43:46], v[14:15], off
	s_waitcnt vmcnt(4)
	v_sub_co_u32_e32 v20, vcc, v20, v1
	v_subb_co_u32_e32 v21, vcc, v21, v2, vcc
	v_lshlrev_b64 v[20:21], 5, v[20:21]
	v_add_co_u32_e32 v20, vcc, s8, v20
	v_addc_co_u32_e32 v21, vcc, v22, v21, vcc
	global_load_dwordx4 v[47:50], v[20:21], off offset:16
	global_load_dwordx4 v[51:54], v[20:21], off
	s_waitcnt vmcnt(0)
	v_fmac_f32_e32 v32, v43, v51
	v_fmac_f32_e32 v7, v44, v51
	;; [unrolled: 1-line block ×8, first 2 shown]
	v_fma_f32 v20, -v44, v52, v32
	v_fmac_f32_e32 v7, v43, v52
	v_fma_f32 v21, -v46, v52, v33
	v_fmac_f32_e32 v17, v45, v52
	v_fma_f32 v27, -v40, v52, v34
	v_fmac_f32_e32 v30, v39, v52
	v_fma_f32 v28, -v42, v52, v31
	v_fmac_f32_e32 v16, v41, v52
	v_fmac_f32_e32 v20, v35, v53
	v_fmac_f32_e32 v7, v36, v53
	;; [unrolled: 1-line block ×8, first 2 shown]
	v_fma_f32 v20, -v36, v54, v20
	v_fmac_f32_e32 v7, v35, v54
	v_fma_f32 v21, -v38, v54, v21
	v_fmac_f32_e32 v17, v37, v54
	;; [unrolled: 2-line block ×4, first 2 shown]
	global_load_dwordx4 v[23:26], v[14:15], off offset:112
	global_load_dwordx4 v[31:34], v[14:15], off offset:96
	;; [unrolled: 1-line block ×4, first 2 shown]
	s_waitcnt vmcnt(1)
	v_fmac_f32_e32 v27, v35, v47
	v_fmac_f32_e32 v30, v36, v47
	v_fma_f32 v27, -v36, v48, v27
	v_fmac_f32_e32 v30, v35, v48
	v_fmac_f32_e32 v27, v23, v49
	;; [unrolled: 1-line block ×3, first 2 shown]
	v_fma_f32 v54, -v24, v50, v27
	v_fmac_f32_e32 v30, v23, v50
	global_load_dwordx2 v[23:24], v[18:19], off offset:-256
	s_waitcnt vmcnt(1)
	v_fmac_f32_e32 v20, v39, v47
	v_fma_f32 v20, -v40, v48, v20
	v_fmac_f32_e32 v21, v41, v47
	v_fma_f32 v21, -v42, v48, v21
	v_fmac_f32_e32 v20, v31, v49
	v_fmac_f32_e32 v28, v37, v47
	v_fma_f32 v29, -v32, v50, v20
	v_fmac_f32_e32 v21, v33, v49
	v_add_co_u32_e32 v20, vcc, s9, v14
	v_fma_f32 v28, -v38, v48, v28
	v_fma_f32 v53, -v34, v50, v21
	v_addc_co_u32_e32 v21, vcc, 0, v15, vcc
	v_fmac_f32_e32 v28, v25, v49
	v_fma_f32 v55, -v26, v50, v28
	v_fmac_f32_e32 v7, v40, v47
	v_fmac_f32_e32 v17, v42, v47
	;; [unrolled: 1-line block ×12, first 2 shown]
	s_waitcnt vmcnt(0)
	v_sub_co_u32_e32 v27, vcc, v23, v1
	v_subb_co_u32_e32 v28, vcc, v24, v2, vcc
	v_add_co_u32_e32 v51, vcc, s12, v14
	v_lshlrev_b64 v[27:28], 5, v[27:28]
	v_addc_co_u32_e32 v52, vcc, 0, v15, vcc
	v_add_co_u32_e32 v27, vcc, s8, v27
	v_addc_co_u32_e32 v28, vcc, v22, v28, vcc
	global_load_dwordx4 v[23:26], v[51:52], off offset:-4096
	global_load_dwordx4 v[31:34], v[20:21], off offset:48
	global_load_dwordx4 v[35:38], v[20:21], off offset:32
	global_load_dwordx4 v[39:42], v[20:21], off offset:16
	global_load_dwordx4 v[43:46], v[27:28], off offset:16
	global_load_dwordx4 v[47:50], v[27:28], off
	s_waitcnt vmcnt(0)
	v_fmac_f32_e32 v29, v23, v47
	v_fmac_f32_e32 v7, v24, v47
	;; [unrolled: 1-line block ×8, first 2 shown]
	v_fma_f32 v27, -v24, v48, v29
	v_fmac_f32_e32 v7, v23, v48
	v_fma_f32 v23, -v26, v48, v53
	v_fmac_f32_e32 v17, v25, v48
	;; [unrolled: 2-line block ×4, first 2 shown]
	v_fmac_f32_e32 v27, v35, v49
	v_fmac_f32_e32 v7, v36, v49
	;; [unrolled: 1-line block ×8, first 2 shown]
	v_fma_f32 v27, -v36, v50, v27
	v_fmac_f32_e32 v7, v35, v50
	v_fma_f32 v28, -v38, v50, v23
	v_fmac_f32_e32 v17, v37, v50
	;; [unrolled: 2-line block ×4, first 2 shown]
	global_load_dwordx4 v[23:26], v[20:21], off offset:112
	global_load_dwordx4 v[31:34], v[20:21], off offset:96
	;; [unrolled: 1-line block ×4, first 2 shown]
	s_waitcnt vmcnt(1)
	v_fmac_f32_e32 v29, v35, v43
	s_waitcnt vmcnt(0)
	v_fmac_f32_e32 v27, v39, v43
	v_fmac_f32_e32 v28, v41, v43
	v_fma_f32 v20, -v40, v44, v27
	v_fma_f32 v21, -v42, v44, v28
	v_fmac_f32_e32 v20, v31, v45
	v_fmac_f32_e32 v21, v33, v45
	v_fma_f32 v27, -v36, v44, v29
	v_fma_f32 v29, -v32, v46, v20
	;; [unrolled: 1-line block ×3, first 2 shown]
	global_load_dwordx2 v[20:21], v[18:19], off
	v_fmac_f32_e32 v7, v40, v43
	v_fmac_f32_e32 v17, v42, v43
	;; [unrolled: 1-line block ×8, first 2 shown]
	v_fma_f32 v28, -v38, v44, v47
	v_fmac_f32_e32 v16, v37, v44
	v_fmac_f32_e32 v7, v32, v45
	;; [unrolled: 1-line block ×9, first 2 shown]
	v_fma_f32 v27, -v24, v46, v27
	v_fmac_f32_e32 v30, v23, v46
	v_fma_f32 v28, -v26, v46, v28
	v_fmac_f32_e32 v16, v25, v46
	global_load_dwordx4 v[23:26], v[51:52], off
	global_load_dwordx4 v[31:34], v[51:52], off offset:48
	global_load_dwordx4 v[35:38], v[51:52], off offset:32
	;; [unrolled: 1-line block ×3, first 2 shown]
	s_waitcnt vmcnt(4)
	v_sub_co_u32_e32 v20, vcc, v20, v1
	v_subb_co_u32_e32 v21, vcc, v21, v2, vcc
	v_lshlrev_b64 v[20:21], 5, v[20:21]
	v_add_co_u32_e32 v20, vcc, s8, v20
	v_addc_co_u32_e32 v21, vcc, v22, v21, vcc
	global_load_dwordx4 v[43:46], v[20:21], off offset:16
	global_load_dwordx4 v[47:50], v[20:21], off
	s_waitcnt vmcnt(0)
	v_fmac_f32_e32 v29, v23, v47
	v_fmac_f32_e32 v7, v24, v47
	;; [unrolled: 1-line block ×8, first 2 shown]
	v_fma_f32 v20, -v24, v48, v29
	v_fmac_f32_e32 v7, v23, v48
	v_fma_f32 v21, -v26, v48, v53
	v_fmac_f32_e32 v17, v25, v48
	;; [unrolled: 2-line block ×4, first 2 shown]
	v_fmac_f32_e32 v20, v35, v49
	v_fmac_f32_e32 v7, v36, v49
	;; [unrolled: 1-line block ×8, first 2 shown]
	v_fma_f32 v20, -v36, v50, v20
	v_fmac_f32_e32 v7, v35, v50
	v_fma_f32 v21, -v38, v50, v21
	v_fmac_f32_e32 v17, v37, v50
	;; [unrolled: 2-line block ×4, first 2 shown]
	global_load_dwordx4 v[26:29], v[51:52], off offset:112
	global_load_dwordx4 v[31:34], v[51:52], off offset:96
	;; [unrolled: 1-line block ×4, first 2 shown]
	s_waitcnt vmcnt(1)
	v_fmac_f32_e32 v23, v35, v43
	s_waitcnt vmcnt(0)
	v_fmac_f32_e32 v20, v39, v43
	v_fmac_f32_e32 v21, v41, v43
	v_fma_f32 v20, -v40, v44, v20
	v_fma_f32 v21, -v42, v44, v21
	v_fmac_f32_e32 v30, v36, v43
	v_fmac_f32_e32 v24, v37, v43
	;; [unrolled: 1-line block ×4, first 2 shown]
	v_fma_f32 v25, -v36, v44, v23
	v_fmac_f32_e32 v30, v35, v44
	v_fma_f32 v35, -v38, v44, v24
	v_fma_f32 v23, -v32, v46, v20
	;; [unrolled: 1-line block ×3, first 2 shown]
	global_load_dwordx2 v[20:21], v[18:19], off offset:256
	v_fmac_f32_e32 v16, v38, v43
	v_fmac_f32_e32 v16, v37, v44
	v_fmac_f32_e32 v25, v26, v45
	v_fma_f32 v25, -v27, v46, v25
	v_fmac_f32_e32 v30, v27, v45
	v_fmac_f32_e32 v16, v29, v45
	;; [unrolled: 1-line block ×13, first 2 shown]
	v_fma_f32 v26, -v29, v46, v35
	s_waitcnt vmcnt(0)
	v_sub_co_u32_e32 v27, vcc, v20, v1
	v_subb_co_u32_e32 v28, vcc, v21, v2, vcc
	v_add_co_u32_e32 v20, vcc, s13, v14
	v_lshlrev_b64 v[27:28], 5, v[27:28]
	v_addc_co_u32_e32 v21, vcc, 0, v15, vcc
	v_add_co_u32_e32 v27, vcc, s8, v27
	v_addc_co_u32_e32 v28, vcc, v22, v28, vcc
	global_load_dwordx4 v[31:34], v[20:21], off
	global_load_dwordx4 v[35:38], v[20:21], off offset:48
	global_load_dwordx4 v[39:42], v[20:21], off offset:32
	;; [unrolled: 1-line block ×4, first 2 shown]
	global_load_dwordx4 v[51:54], v[27:28], off
	v_add_co_u32_e32 v3, vcc, 0x80, v3
	v_addc_co_u32_e32 v4, vcc, 0, v4, vcc
	v_add_co_u32_e32 v18, vcc, 0x400, v18
	v_addc_co_u32_e32 v19, vcc, 0, v19, vcc
	v_cmp_ge_i64_e64 s[0:1], v[3:4], v[5:6]
	v_add_co_u32_e32 v14, vcc, 0x4000, v14
	v_addc_co_u32_e32 v15, vcc, 0, v15, vcc
	s_or_b64 s[10:11], s[0:1], s[10:11]
	s_waitcnt vmcnt(0)
	v_fmac_f32_e32 v23, v31, v51
	v_fmac_f32_e32 v7, v32, v51
	;; [unrolled: 1-line block ×8, first 2 shown]
	v_fma_f32 v23, -v32, v52, v23
	v_fmac_f32_e32 v7, v31, v52
	v_fma_f32 v24, -v34, v52, v24
	v_fmac_f32_e32 v17, v33, v52
	;; [unrolled: 2-line block ×4, first 2 shown]
	v_fmac_f32_e32 v23, v39, v53
	v_fmac_f32_e32 v7, v40, v53
	;; [unrolled: 1-line block ×8, first 2 shown]
	v_fma_f32 v27, -v40, v54, v23
	v_fmac_f32_e32 v7, v39, v54
	v_fma_f32 v28, -v42, v54, v24
	v_fmac_f32_e32 v17, v41, v54
	;; [unrolled: 2-line block ×4, first 2 shown]
	global_load_dwordx4 v[23:26], v[20:21], off offset:112
	global_load_dwordx4 v[33:36], v[20:21], off offset:96
	;; [unrolled: 1-line block ×4, first 2 shown]
	s_waitcnt vmcnt(1)
	v_fmac_f32_e32 v29, v37, v47
	s_waitcnt vmcnt(0)
	v_fmac_f32_e32 v27, v41, v47
	v_fmac_f32_e32 v7, v42, v47
	;; [unrolled: 1-line block ×7, first 2 shown]
	v_fma_f32 v20, -v42, v48, v27
	v_fmac_f32_e32 v7, v41, v48
	v_fma_f32 v21, -v44, v48, v28
	v_fmac_f32_e32 v17, v43, v48
	;; [unrolled: 2-line block ×4, first 2 shown]
	v_fmac_f32_e32 v20, v33, v49
	v_fmac_f32_e32 v7, v34, v49
	;; [unrolled: 1-line block ×8, first 2 shown]
	v_fma_f32 v32, -v34, v50, v20
	v_fmac_f32_e32 v7, v33, v50
	v_fma_f32 v33, -v36, v50, v21
	v_fmac_f32_e32 v17, v35, v50
	;; [unrolled: 2-line block ×4, first 2 shown]
	s_andn2_b64 exec, exec, s[10:11]
	s_cbranch_execnz .LBB53_33
; %bb.34:
	s_or_b64 exec, exec, s[10:11]
.LBB53_35:
	s_or_b64 exec, exec, s[6:7]
.LBB53_36:
	s_or_b64 exec, exec, s[2:3]
.LBB53_37:
	v_mov_b32_dpp v3, v7 row_shr:1 row_mask:0xf bank_mask:0xf
	v_mov_b32_dpp v1, v32 row_shr:1 row_mask:0xf bank_mask:0xf
	v_add_f32_e32 v3, v7, v3
	v_mov_b32_dpp v5, v33 row_shr:1 row_mask:0xf bank_mask:0xf
	v_mov_b32_dpp v7, v17 row_shr:1 row_mask:0xf bank_mask:0xf
	;; [unrolled: 1-line block ×6, first 2 shown]
	v_add_f32_e32 v1, v32, v1
	v_add_f32_e32 v5, v33, v5
	v_add_f32_e32 v7, v17, v7
	v_add_f32_e32 v15, v34, v15
	v_add_f32_e32 v18, v30, v18
	v_add_f32_e32 v20, v31, v20
	v_add_f32_e32 v16, v16, v22
	v_mov_b32_dpp v2, v1 row_shr:2 row_mask:0xf bank_mask:0xf
	v_mov_b32_dpp v4, v3 row_shr:2 row_mask:0xf bank_mask:0xf
	v_mov_b32_dpp v6, v5 row_shr:2 row_mask:0xf bank_mask:0xf
	v_mov_b32_dpp v14, v7 row_shr:2 row_mask:0xf bank_mask:0xf
	v_mov_b32_dpp v17, v15 row_shr:2 row_mask:0xf bank_mask:0xf
	v_mov_b32_dpp v19, v18 row_shr:2 row_mask:0xf bank_mask:0xf
	v_mov_b32_dpp v21, v20 row_shr:2 row_mask:0xf bank_mask:0xf
	v_mov_b32_dpp v22, v16 row_shr:2 row_mask:0xf bank_mask:0xf
	v_add_f32_e32 v1, v1, v2
	v_add_f32_e32 v3, v3, v4
	v_add_f32_e32 v5, v5, v6
	v_add_f32_e32 v7, v7, v14
	v_add_f32_e32 v15, v15, v17
	v_add_f32_e32 v18, v18, v19
	v_add_f32_e32 v20, v20, v21
	v_add_f32_e32 v16, v16, v22
	v_mov_b32_dpp v2, v1 row_shr:4 row_mask:0xf bank_mask:0xe
	v_mov_b32_dpp v4, v3 row_shr:4 row_mask:0xf bank_mask:0xe
	v_mov_b32_dpp v6, v5 row_shr:4 row_mask:0xf bank_mask:0xe
	v_mov_b32_dpp v14, v7 row_shr:4 row_mask:0xf bank_mask:0xe
	v_mov_b32_dpp v17, v15 row_shr:4 row_mask:0xf bank_mask:0xe
	v_mov_b32_dpp v19, v18 row_shr:4 row_mask:0xf bank_mask:0xe
	v_mov_b32_dpp v21, v20 row_shr:4 row_mask:0xf bank_mask:0xe
	v_mov_b32_dpp v22, v16 row_shr:4 row_mask:0xf bank_mask:0xe
	v_add_f32_e32 v1, v1, v2
	;; [unrolled: 16-line block ×3, first 2 shown]
	v_add_f32_e32 v3, v3, v4
	v_add_f32_e32 v5, v5, v6
	;; [unrolled: 1-line block ×7, first 2 shown]
	v_mov_b32_dpp v2, v1 row_bcast:15 row_mask:0xa bank_mask:0xf
	v_mov_b32_dpp v4, v3 row_bcast:15 row_mask:0xa bank_mask:0xf
	;; [unrolled: 1-line block ×8, first 2 shown]
	v_cmp_eq_u32_e32 vcc, 31, v0
	s_and_b64 exec, exec, vcc
	s_cbranch_execz .LBB53_8
; %bb.38:
	s_load_dwordx2 s[2:3], s[4:5], 0x58
	v_add_f32_e32 v23, v1, v2
	v_add_f32_e32 v0, v3, v4
	v_add_f32_e32 v1, v7, v14
	v_add_f32_e32 v2, v18, v19
	v_add_f32_e32 v3, v16, v22
	v_add_f32_e32 v24, v5, v6
	v_add_f32_e32 v14, v15, v17
	v_add_f32_e32 v15, v20, v21
	v_cmp_eq_f32_e32 vcc, 0, v8
	v_cmp_eq_f32_e64 s[0:1], 0, v9
	v_mul_f32_e64 v4, v0, -v11
	v_mul_f32_e32 v5, v10, v0
	v_mul_f32_e64 v6, v1, -v11
	v_mul_f32_e32 v7, v10, v1
	v_mul_f32_e64 v0, v2, -v11
	v_mul_f32_e32 v1, v10, v2
	v_mul_f32_e64 v2, v3, -v11
	v_mul_f32_e32 v3, v10, v3
	v_lshlrev_b64 v[12:13], 5, v[12:13]
	s_and_b64 s[0:1], vcc, s[0:1]
	v_fmac_f32_e32 v4, v10, v23
	v_fmac_f32_e32 v5, v11, v23
	;; [unrolled: 1-line block ×8, first 2 shown]
	s_and_saveexec_b64 s[4:5], s[0:1]
	s_xor_b64 s[0:1], exec, s[4:5]
	s_cbranch_execz .LBB53_40
; %bb.39:
	s_waitcnt lgkmcnt(0)
	v_mov_b32_e32 v9, s3
	v_add_co_u32_e32 v8, vcc, s2, v12
	v_addc_co_u32_e32 v9, vcc, v9, v13, vcc
	global_store_dwordx4 v[8:9], v[4:7], off
	global_store_dwordx4 v[8:9], v[0:3], off offset:16
                                        ; implicit-def: $vgpr8_vgpr9
                                        ; implicit-def: $vgpr4
                                        ; implicit-def: $vgpr12_vgpr13
                                        ; implicit-def: $vgpr0
.LBB53_40:
	s_andn2_saveexec_b64 s[0:1], s[0:1]
	s_cbranch_execz .LBB53_8
; %bb.41:
	s_waitcnt lgkmcnt(0)
	v_mov_b32_e32 v10, s3
	v_add_co_u32_e32 v18, vcc, s2, v12
	v_addc_co_u32_e32 v19, vcc, v10, v13, vcc
	global_load_dwordx4 v[10:13], v[18:19], off
	global_load_dwordx4 v[14:17], v[18:19], off offset:16
	s_waitcnt vmcnt(1)
	v_fmac_f32_e32 v4, v8, v10
	v_fmac_f32_e32 v5, v9, v10
	;; [unrolled: 1-line block ×4, first 2 shown]
	s_waitcnt vmcnt(0)
	v_fmac_f32_e32 v0, v8, v14
	v_fmac_f32_e32 v1, v9, v14
	v_fmac_f32_e32 v2, v8, v16
	v_fmac_f32_e32 v3, v9, v16
	v_fma_f32 v4, -v9, v11, v4
	v_fmac_f32_e32 v5, v8, v11
	v_fma_f32 v6, -v9, v13, v6
	v_fmac_f32_e32 v7, v8, v13
	v_fma_f32 v0, -v9, v15, v0
	v_fmac_f32_e32 v1, v8, v15
	v_fma_f32 v2, -v9, v17, v2
	v_fmac_f32_e32 v3, v8, v17
	global_store_dwordx4 v[18:19], v[4:7], off
	global_store_dwordx4 v[18:19], v[0:3], off offset:16
	s_endpgm
	.section	.rodata,"a",@progbits
	.p2align	6, 0x0
	.amdhsa_kernel _ZN9rocsparseL18bsrxmvn_4x4_kernelILj128ELj32E21rocsparse_complex_numIfEllS2_S2_S2_EEvT3_20rocsparse_direction_NS_24const_host_device_scalarIT1_EES3_PKS3_PKT2_SC_S9_PKT4_PKT5_S7_PT6_21rocsparse_index_base_b
		.amdhsa_group_segment_fixed_size 0
		.amdhsa_private_segment_fixed_size 0
		.amdhsa_kernarg_size 104
		.amdhsa_user_sgpr_count 6
		.amdhsa_user_sgpr_private_segment_buffer 1
		.amdhsa_user_sgpr_dispatch_ptr 0
		.amdhsa_user_sgpr_queue_ptr 0
		.amdhsa_user_sgpr_kernarg_segment_ptr 1
		.amdhsa_user_sgpr_dispatch_id 0
		.amdhsa_user_sgpr_flat_scratch_init 0
		.amdhsa_user_sgpr_private_segment_size 0
		.amdhsa_uses_dynamic_stack 0
		.amdhsa_system_sgpr_private_segment_wavefront_offset 0
		.amdhsa_system_sgpr_workgroup_id_x 1
		.amdhsa_system_sgpr_workgroup_id_y 0
		.amdhsa_system_sgpr_workgroup_id_z 0
		.amdhsa_system_sgpr_workgroup_info 0
		.amdhsa_system_vgpr_workitem_id 0
		.amdhsa_next_free_vgpr 63
		.amdhsa_next_free_sgpr 19
		.amdhsa_reserve_vcc 1
		.amdhsa_reserve_flat_scratch 0
		.amdhsa_float_round_mode_32 0
		.amdhsa_float_round_mode_16_64 0
		.amdhsa_float_denorm_mode_32 3
		.amdhsa_float_denorm_mode_16_64 3
		.amdhsa_dx10_clamp 1
		.amdhsa_ieee_mode 1
		.amdhsa_fp16_overflow 0
		.amdhsa_exception_fp_ieee_invalid_op 0
		.amdhsa_exception_fp_denorm_src 0
		.amdhsa_exception_fp_ieee_div_zero 0
		.amdhsa_exception_fp_ieee_overflow 0
		.amdhsa_exception_fp_ieee_underflow 0
		.amdhsa_exception_fp_ieee_inexact 0
		.amdhsa_exception_int_div_zero 0
	.end_amdhsa_kernel
	.section	.text._ZN9rocsparseL18bsrxmvn_4x4_kernelILj128ELj32E21rocsparse_complex_numIfEllS2_S2_S2_EEvT3_20rocsparse_direction_NS_24const_host_device_scalarIT1_EES3_PKS3_PKT2_SC_S9_PKT4_PKT5_S7_PT6_21rocsparse_index_base_b,"axG",@progbits,_ZN9rocsparseL18bsrxmvn_4x4_kernelILj128ELj32E21rocsparse_complex_numIfEllS2_S2_S2_EEvT3_20rocsparse_direction_NS_24const_host_device_scalarIT1_EES3_PKS3_PKT2_SC_S9_PKT4_PKT5_S7_PT6_21rocsparse_index_base_b,comdat
.Lfunc_end53:
	.size	_ZN9rocsparseL18bsrxmvn_4x4_kernelILj128ELj32E21rocsparse_complex_numIfEllS2_S2_S2_EEvT3_20rocsparse_direction_NS_24const_host_device_scalarIT1_EES3_PKS3_PKT2_SC_S9_PKT4_PKT5_S7_PT6_21rocsparse_index_base_b, .Lfunc_end53-_ZN9rocsparseL18bsrxmvn_4x4_kernelILj128ELj32E21rocsparse_complex_numIfEllS2_S2_S2_EEvT3_20rocsparse_direction_NS_24const_host_device_scalarIT1_EES3_PKS3_PKT2_SC_S9_PKT4_PKT5_S7_PT6_21rocsparse_index_base_b
                                        ; -- End function
	.set _ZN9rocsparseL18bsrxmvn_4x4_kernelILj128ELj32E21rocsparse_complex_numIfEllS2_S2_S2_EEvT3_20rocsparse_direction_NS_24const_host_device_scalarIT1_EES3_PKS3_PKT2_SC_S9_PKT4_PKT5_S7_PT6_21rocsparse_index_base_b.num_vgpr, 63
	.set _ZN9rocsparseL18bsrxmvn_4x4_kernelILj128ELj32E21rocsparse_complex_numIfEllS2_S2_S2_EEvT3_20rocsparse_direction_NS_24const_host_device_scalarIT1_EES3_PKS3_PKT2_SC_S9_PKT4_PKT5_S7_PT6_21rocsparse_index_base_b.num_agpr, 0
	.set _ZN9rocsparseL18bsrxmvn_4x4_kernelILj128ELj32E21rocsparse_complex_numIfEllS2_S2_S2_EEvT3_20rocsparse_direction_NS_24const_host_device_scalarIT1_EES3_PKS3_PKT2_SC_S9_PKT4_PKT5_S7_PT6_21rocsparse_index_base_b.numbered_sgpr, 19
	.set _ZN9rocsparseL18bsrxmvn_4x4_kernelILj128ELj32E21rocsparse_complex_numIfEllS2_S2_S2_EEvT3_20rocsparse_direction_NS_24const_host_device_scalarIT1_EES3_PKS3_PKT2_SC_S9_PKT4_PKT5_S7_PT6_21rocsparse_index_base_b.num_named_barrier, 0
	.set _ZN9rocsparseL18bsrxmvn_4x4_kernelILj128ELj32E21rocsparse_complex_numIfEllS2_S2_S2_EEvT3_20rocsparse_direction_NS_24const_host_device_scalarIT1_EES3_PKS3_PKT2_SC_S9_PKT4_PKT5_S7_PT6_21rocsparse_index_base_b.private_seg_size, 0
	.set _ZN9rocsparseL18bsrxmvn_4x4_kernelILj128ELj32E21rocsparse_complex_numIfEllS2_S2_S2_EEvT3_20rocsparse_direction_NS_24const_host_device_scalarIT1_EES3_PKS3_PKT2_SC_S9_PKT4_PKT5_S7_PT6_21rocsparse_index_base_b.uses_vcc, 1
	.set _ZN9rocsparseL18bsrxmvn_4x4_kernelILj128ELj32E21rocsparse_complex_numIfEllS2_S2_S2_EEvT3_20rocsparse_direction_NS_24const_host_device_scalarIT1_EES3_PKS3_PKT2_SC_S9_PKT4_PKT5_S7_PT6_21rocsparse_index_base_b.uses_flat_scratch, 0
	.set _ZN9rocsparseL18bsrxmvn_4x4_kernelILj128ELj32E21rocsparse_complex_numIfEllS2_S2_S2_EEvT3_20rocsparse_direction_NS_24const_host_device_scalarIT1_EES3_PKS3_PKT2_SC_S9_PKT4_PKT5_S7_PT6_21rocsparse_index_base_b.has_dyn_sized_stack, 0
	.set _ZN9rocsparseL18bsrxmvn_4x4_kernelILj128ELj32E21rocsparse_complex_numIfEllS2_S2_S2_EEvT3_20rocsparse_direction_NS_24const_host_device_scalarIT1_EES3_PKS3_PKT2_SC_S9_PKT4_PKT5_S7_PT6_21rocsparse_index_base_b.has_recursion, 0
	.set _ZN9rocsparseL18bsrxmvn_4x4_kernelILj128ELj32E21rocsparse_complex_numIfEllS2_S2_S2_EEvT3_20rocsparse_direction_NS_24const_host_device_scalarIT1_EES3_PKS3_PKT2_SC_S9_PKT4_PKT5_S7_PT6_21rocsparse_index_base_b.has_indirect_call, 0
	.section	.AMDGPU.csdata,"",@progbits
; Kernel info:
; codeLenInByte = 6820
; TotalNumSgprs: 23
; NumVgprs: 63
; ScratchSize: 0
; MemoryBound: 0
; FloatMode: 240
; IeeeMode: 1
; LDSByteSize: 0 bytes/workgroup (compile time only)
; SGPRBlocks: 2
; VGPRBlocks: 15
; NumSGPRsForWavesPerEU: 23
; NumVGPRsForWavesPerEU: 63
; Occupancy: 4
; WaveLimiterHint : 1
; COMPUTE_PGM_RSRC2:SCRATCH_EN: 0
; COMPUTE_PGM_RSRC2:USER_SGPR: 6
; COMPUTE_PGM_RSRC2:TRAP_HANDLER: 0
; COMPUTE_PGM_RSRC2:TGID_X_EN: 1
; COMPUTE_PGM_RSRC2:TGID_Y_EN: 0
; COMPUTE_PGM_RSRC2:TGID_Z_EN: 0
; COMPUTE_PGM_RSRC2:TIDIG_COMP_CNT: 0
	.section	.text._ZN9rocsparseL18bsrxmvn_4x4_kernelILj128ELj64E21rocsparse_complex_numIfEllS2_S2_S2_EEvT3_20rocsparse_direction_NS_24const_host_device_scalarIT1_EES3_PKS3_PKT2_SC_S9_PKT4_PKT5_S7_PT6_21rocsparse_index_base_b,"axG",@progbits,_ZN9rocsparseL18bsrxmvn_4x4_kernelILj128ELj64E21rocsparse_complex_numIfEllS2_S2_S2_EEvT3_20rocsparse_direction_NS_24const_host_device_scalarIT1_EES3_PKS3_PKT2_SC_S9_PKT4_PKT5_S7_PT6_21rocsparse_index_base_b,comdat
	.globl	_ZN9rocsparseL18bsrxmvn_4x4_kernelILj128ELj64E21rocsparse_complex_numIfEllS2_S2_S2_EEvT3_20rocsparse_direction_NS_24const_host_device_scalarIT1_EES3_PKS3_PKT2_SC_S9_PKT4_PKT5_S7_PT6_21rocsparse_index_base_b ; -- Begin function _ZN9rocsparseL18bsrxmvn_4x4_kernelILj128ELj64E21rocsparse_complex_numIfEllS2_S2_S2_EEvT3_20rocsparse_direction_NS_24const_host_device_scalarIT1_EES3_PKS3_PKT2_SC_S9_PKT4_PKT5_S7_PT6_21rocsparse_index_base_b
	.p2align	8
	.type	_ZN9rocsparseL18bsrxmvn_4x4_kernelILj128ELj64E21rocsparse_complex_numIfEllS2_S2_S2_EEvT3_20rocsparse_direction_NS_24const_host_device_scalarIT1_EES3_PKS3_PKT2_SC_S9_PKT4_PKT5_S7_PT6_21rocsparse_index_base_b,@function
_ZN9rocsparseL18bsrxmvn_4x4_kernelILj128ELj64E21rocsparse_complex_numIfEllS2_S2_S2_EEvT3_20rocsparse_direction_NS_24const_host_device_scalarIT1_EES3_PKS3_PKT2_SC_S9_PKT4_PKT5_S7_PT6_21rocsparse_index_base_b: ; @_ZN9rocsparseL18bsrxmvn_4x4_kernelILj128ELj64E21rocsparse_complex_numIfEllS2_S2_S2_EEvT3_20rocsparse_direction_NS_24const_host_device_scalarIT1_EES3_PKS3_PKT2_SC_S9_PKT4_PKT5_S7_PT6_21rocsparse_index_base_b
; %bb.0:
	s_load_dwordx4 s[0:3], s[4:5], 0x10
	s_load_dwordx2 s[8:9], s[4:5], 0x60
	s_add_u32 s7, s4, 16
	s_addc_u32 s12, s5, 0
	s_add_u32 s13, s4, 0x50
	s_load_dwordx2 s[10:11], s[4:5], 0x50
	s_addc_u32 s14, s5, 0
	s_waitcnt lgkmcnt(0)
	s_bitcmp1_b32 s9, 0
	s_cselect_b32 s1, s12, s1
	s_cselect_b32 s0, s7, s0
	v_mov_b32_e32 v1, s0
	v_mov_b32_e32 v2, s1
	flat_load_dwordx2 v[10:11], v[1:2]
	s_cselect_b32 s0, s14, s11
	s_cselect_b32 s1, s13, s10
	v_mov_b32_e32 v1, s1
	v_mov_b32_e32 v2, s0
	flat_load_dwordx2 v[8:9], v[1:2]
	s_waitcnt vmcnt(0) lgkmcnt(0)
	v_cmp_eq_f32_e32 vcc, 0, v10
	v_cmp_eq_f32_e64 s[0:1], 0, v11
	s_and_b64 s[12:13], vcc, s[0:1]
	s_mov_b64 s[0:1], -1
	s_and_saveexec_b64 s[10:11], s[12:13]
; %bb.1:
	v_cmp_neq_f32_e32 vcc, 1.0, v8
	v_cmp_neq_f32_e64 s[0:1], 0, v9
	s_or_b64 s[0:1], vcc, s[0:1]
	s_orn2_b64 s[0:1], s[0:1], exec
; %bb.2:
	s_or_b64 exec, exec, s[10:11]
	s_and_saveexec_b64 s[10:11], s[0:1]
	s_cbranch_execz .LBB54_8
; %bb.3:
	s_load_dwordx2 s[10:11], s[4:5], 0x20
	v_lshrrev_b32_e32 v1, 6, v0
	v_lshl_or_b32 v3, s6, 1, v1
	v_mov_b32_e32 v4, 0
	s_mov_b64 s[0:1], 0
	s_waitcnt lgkmcnt(0)
	s_cmp_lg_u64 s[10:11], 0
	s_cbranch_scc0 .LBB54_9
; %bb.4:
	v_cmp_gt_i64_e32 vcc, s[2:3], v[3:4]
                                        ; implicit-def: $vgpr12_vgpr13
                                        ; implicit-def: $vgpr1_vgpr2
	s_and_saveexec_b64 s[2:3], vcc
	s_xor_b64 s[2:3], exec, s[2:3]
	s_cbranch_execz .LBB54_6
; %bb.5:
	v_lshlrev_b64 v[1:2], 3, v[3:4]
	v_mov_b32_e32 v5, s11
	v_add_co_u32_e32 v1, vcc, s10, v1
	v_addc_co_u32_e32 v2, vcc, v5, v2, vcc
	global_load_dwordx2 v[1:2], v[1:2], off
	s_mov_b32 s9, 0
	s_mov_b64 s[0:1], exec
	s_waitcnt vmcnt(0)
	v_subrev_co_u32_e32 v12, vcc, s8, v1
	v_subbrev_co_u32_e32 v13, vcc, 0, v2, vcc
	v_mov_b32_e32 v1, s8
	v_mov_b32_e32 v2, s9
.LBB54_6:
	s_or_b64 exec, exec, s[2:3]
.LBB54_7:
	s_and_b64 exec, exec, s[0:1]
	s_cbranch_execnz .LBB54_13
.LBB54_8:
	s_endpgm
.LBB54_9:
                                        ; implicit-def: $vgpr12_vgpr13
                                        ; implicit-def: $vgpr1_vgpr2
	s_cbranch_execz .LBB54_7
; %bb.10:
	s_load_dwordx2 s[2:3], s[4:5], 0x0
	s_waitcnt lgkmcnt(0)
	v_cmp_gt_i64_e32 vcc, s[2:3], v[3:4]
	s_and_saveexec_b64 s[2:3], vcc
; %bb.11:
	s_mov_b32 s9, 0
	s_or_b64 s[0:1], s[0:1], exec
; %bb.12:
	s_or_b64 exec, exec, s[2:3]
	v_mov_b32_e32 v1, s8
	v_mov_b32_e32 v13, v4
	;; [unrolled: 1-line block ×4, first 2 shown]
	s_and_b64 exec, exec, s[0:1]
	s_cbranch_execz .LBB54_8
.LBB54_13:
	s_load_dwordx8 s[8:15], s[4:5], 0x28
	v_lshlrev_b64 v[3:4], 3, v[12:13]
	v_and_b32_e32 v0, 63, v0
	s_waitcnt lgkmcnt(0)
	v_mov_b32_e32 v6, s9
	v_add_co_u32_e32 v5, vcc, s8, v3
	v_addc_co_u32_e32 v6, vcc, v6, v4, vcc
	global_load_dwordx2 v[18:19], v[5:6], off
	v_add_co_u32_e32 v5, vcc, 8, v5
	v_addc_co_u32_e32 v6, vcc, 0, v6, vcc
	v_mov_b32_e32 v7, s11
	v_add_co_u32_e32 v3, vcc, s10, v3
	s_cmp_eq_u64 s[10:11], 0
	v_addc_co_u32_e32 v4, vcc, v7, v4, vcc
	s_cselect_b64 vcc, -1, 0
	v_cndmask_b32_e32 v4, v4, v6, vcc
	v_cndmask_b32_e32 v3, v3, v5, vcc
	global_load_dwordx2 v[5:6], v[3:4], off
	s_load_dword s0, s[4:5], 0x8
	s_load_dwordx2 s[8:9], s[4:5], 0x48
	v_mov_b32_e32 v16, s15
	v_mov_b32_e32 v7, 0
	s_waitcnt lgkmcnt(0)
	s_cmp_eq_u32 s0, 1
	s_waitcnt vmcnt(1)
	v_sub_co_u32_e32 v3, vcc, v18, v1
	v_subb_co_u32_e32 v4, vcc, v19, v2, vcc
	v_add_co_u32_e32 v3, vcc, v3, v0
	v_addc_co_u32_e32 v4, vcc, 0, v4, vcc
	v_lshlrev_b64 v[14:15], 7, v[3:4]
	s_waitcnt vmcnt(0)
	v_sub_co_u32_e32 v5, vcc, v5, v1
	v_subb_co_u32_e32 v6, vcc, v6, v2, vcc
	v_cmp_lt_i64_e64 s[0:1], v[3:4], v[5:6]
	v_add_co_u32_e32 v14, vcc, s14, v14
	v_addc_co_u32_e32 v15, vcc, v16, v15, vcc
	s_cbranch_scc1 .LBB54_25
; %bb.14:
	v_mov_b32_e32 v32, 0
	v_mov_b32_e32 v31, 0
	;; [unrolled: 1-line block ×7, first 2 shown]
	s_and_saveexec_b64 s[10:11], s[0:1]
	s_cbranch_execz .LBB54_24
; %bb.15:
	v_or_b32_e32 v7, 64, v0
	v_sub_co_u32_e32 v7, vcc, v7, v1
	v_subb_co_u32_e32 v17, vcc, 0, v2, vcc
	v_add_co_u32_e32 v16, vcc, v7, v18
	v_addc_co_u32_e32 v17, vcc, v17, v19, vcc
	v_cmp_gt_i64_e32 vcc, v[16:17], v[5:6]
	v_not_b32_e32 v20, v18
	v_cndmask_b32_e32 v7, v6, v17, vcc
	v_cndmask_b32_e32 v16, v5, v16, vcc
	v_sub_co_u32_e32 v21, vcc, v1, v0
	v_subbrev_co_u32_e32 v22, vcc, 0, v2, vcc
	v_not_b32_e32 v17, v19
	v_add_co_u32_e32 v20, vcc, v21, v20
	v_addc_co_u32_e32 v17, vcc, v22, v17, vcc
	v_add_co_u32_e32 v24, vcc, v20, v16
	v_addc_co_u32_e32 v25, vcc, v17, v7, vcc
	v_and_b32_e32 v16, 0xc0, v24
	v_mov_b32_e32 v17, 0
	s_mov_b64 s[2:3], 0xc0
	v_cmp_ne_u64_e32 vcc, s[2:3], v[16:17]
	v_mov_b32_e32 v21, v15
	v_mov_b32_e32 v23, v4
	;; [unrolled: 1-line block ×11, first 2 shown]
	s_and_saveexec_b64 s[14:15], vcc
	s_cbranch_execz .LBB54_19
; %bb.16:
	v_lshlrev_b64 v[16:17], 3, v[3:4]
	v_lshrrev_b32_e32 v7, 6, v24
	v_add_u32_e32 v7, 1, v7
	v_mov_b32_e32 v21, s13
	v_add_co_u32_e32 v26, vcc, s12, v16
	v_and_b32_e32 v20, 3, v7
	v_addc_co_u32_e32 v27, vcc, v21, v17, vcc
	v_sub_co_u32_e32 v28, vcc, 0, v20
	v_mov_b32_e32 v23, v4
	v_mov_b32_e32 v21, v15
	;; [unrolled: 1-line block ×3, first 2 shown]
	s_mov_b64 s[16:17], 0
	v_subb_co_u32_e64 v29, s[2:3], 0, 0, vcc
	s_movk_i32 s18, 0x2000
	v_mov_b32_e32 v35, s9
	v_mov_b32_e32 v22, v3
	;; [unrolled: 1-line block ×10, first 2 shown]
.LBB54_17:                              ; =>This Inner Loop Header: Depth=1
	global_load_dwordx2 v[44:45], v[26:27], off
	global_load_dwordx4 v[36:39], v[20:21], off
	global_load_dwordx4 v[40:43], v[20:21], off offset:32
	v_add_co_u32_e64 v28, s[6:7], 1, v28
	s_waitcnt vmcnt(2)
	v_sub_co_u32_e32 v44, vcc, v44, v1
	v_subb_co_u32_e32 v45, vcc, v45, v2, vcc
	v_lshlrev_b64 v[44:45], 5, v[44:45]
	v_add_co_u32_e32 v48, vcc, s8, v44
	v_addc_co_u32_e32 v49, vcc, v35, v45, vcc
	global_load_dwordx4 v[44:47], v[48:49], off
	s_waitcnt vmcnt(0)
	v_fmac_f32_e32 v32, v36, v44
	v_fmac_f32_e32 v7, v37, v44
	v_fma_f32 v32, -v37, v45, v32
	v_fmac_f32_e32 v7, v36, v45
	v_fmac_f32_e32 v32, v38, v46
	;; [unrolled: 1-line block ×3, first 2 shown]
	v_fma_f32 v50, -v39, v47, v32
	v_fmac_f32_e32 v7, v38, v47
	global_load_dwordx4 v[36:39], v[20:21], off offset:64
	v_fmac_f32_e32 v33, v40, v44
	v_fmac_f32_e32 v17, v41, v44
	v_fma_f32 v32, -v41, v45, v33
	v_fmac_f32_e32 v17, v40, v45
	v_fmac_f32_e32 v32, v42, v46
	;; [unrolled: 1-line block ×3, first 2 shown]
	v_fma_f32 v52, -v43, v47, v32
	v_fmac_f32_e32 v17, v42, v47
	global_load_dwordx4 v[40:43], v[20:21], off offset:96
	s_waitcnt vmcnt(1)
	v_fmac_f32_e32 v34, v36, v44
	v_fmac_f32_e32 v30, v37, v44
	v_fma_f32 v32, -v37, v45, v34
	v_fmac_f32_e32 v30, v36, v45
	v_fmac_f32_e32 v32, v38, v46
	;; [unrolled: 1-line block ×3, first 2 shown]
	v_fma_f32 v53, -v39, v47, v32
	v_fmac_f32_e32 v30, v38, v47
	global_load_dwordx4 v[36:39], v[20:21], off offset:48
	s_waitcnt vmcnt(1)
	v_fmac_f32_e32 v31, v40, v44
	v_fmac_f32_e32 v16, v41, v44
	v_fma_f32 v31, -v41, v45, v31
	v_fmac_f32_e32 v16, v40, v45
	v_fmac_f32_e32 v31, v42, v46
	;; [unrolled: 1-line block ×3, first 2 shown]
	v_fma_f32 v54, -v43, v47, v31
	v_fmac_f32_e32 v16, v42, v47
	global_load_dwordx4 v[31:34], v[20:21], off offset:16
	global_load_dwordx4 v[40:43], v[20:21], off offset:80
	;; [unrolled: 1-line block ×3, first 2 shown]
	s_waitcnt vmcnt(0)
	v_fmac_f32_e32 v50, v31, v44
	v_fmac_f32_e32 v7, v32, v44
	v_fma_f32 v32, -v32, v45, v50
	global_load_dwordx4 v[48:51], v[20:21], off offset:112
	v_add_co_u32_e32 v20, vcc, s18, v20
	s_mov_b64 s[2:3], vcc
	v_add_co_u32_e32 v22, vcc, 64, v22
	v_fmac_f32_e32 v7, v31, v45
	v_fmac_f32_e32 v32, v33, v46
	v_addc_co_u32_e32 v23, vcc, 0, v23, vcc
	v_addc_co_u32_e64 v29, vcc, 0, v29, s[6:7]
	v_addc_co_u32_e64 v21, s[2:3], 0, v21, s[2:3]
	v_fmac_f32_e32 v52, v36, v44
	v_fmac_f32_e32 v17, v37, v44
	;; [unrolled: 1-line block ×5, first 2 shown]
	v_fma_f32 v32, -v34, v47, v32
	v_cmp_eq_u64_e64 s[2:3], 0, v[28:29]
	v_fma_f32 v31, -v37, v45, v52
	v_fmac_f32_e32 v17, v36, v45
	v_fma_f32 v34, -v41, v45, v53
	v_fmac_f32_e32 v30, v40, v45
	v_add_co_u32_e32 v26, vcc, 0x200, v26
	v_fmac_f32_e32 v31, v38, v46
	v_fmac_f32_e32 v17, v39, v46
	;; [unrolled: 1-line block ×5, first 2 shown]
	v_addc_co_u32_e32 v27, vcc, 0, v27, vcc
	s_or_b64 s[16:17], s[2:3], s[16:17]
	v_fma_f32 v33, -v39, v47, v31
	v_fmac_f32_e32 v17, v38, v47
	v_fma_f32 v34, -v43, v47, v34
	v_fmac_f32_e32 v30, v42, v47
	s_waitcnt vmcnt(0)
	v_fmac_f32_e32 v54, v48, v44
	v_fmac_f32_e32 v16, v49, v44
	v_fma_f32 v36, -v49, v45, v54
	v_fmac_f32_e32 v16, v48, v45
	v_fmac_f32_e32 v36, v50, v46
	;; [unrolled: 1-line block ×3, first 2 shown]
	v_fma_f32 v31, -v51, v47, v36
	v_fmac_f32_e32 v16, v50, v47
	s_andn2_b64 exec, exec, s[16:17]
	s_cbranch_execnz .LBB54_17
; %bb.18:
	s_or_b64 exec, exec, s[16:17]
.LBB54_19:
	s_or_b64 exec, exec, s[14:15]
	s_mov_b64 s[2:3], 0xbf
	v_cmp_lt_u64_e32 vcc, s[2:3], v[24:25]
	s_and_saveexec_b64 s[6:7], vcc
	s_cbranch_execz .LBB54_23
; %bb.20:
	v_lshlrev_b64 v[24:25], 3, v[22:23]
	v_mov_b32_e32 v26, s13
	v_add_co_u32_e32 v24, vcc, s12, v24
	v_addc_co_u32_e32 v25, vcc, v26, v25, vcc
	v_add_co_u32_e32 v24, vcc, 0x400, v24
	v_addc_co_u32_e32 v25, vcc, 0, v25, vcc
	s_mov_b64 s[14:15], 0
	v_mov_b32_e32 v28, s9
	s_movk_i32 s16, 0x2000
	s_movk_i32 s17, 0x4000
	;; [unrolled: 1-line block ×3, first 2 shown]
.LBB54_21:                              ; =>This Inner Loop Header: Depth=1
	global_load_dwordx2 v[26:27], v[24:25], off offset:-1024
	global_load_dwordx4 v[35:38], v[20:21], off offset:48
	global_load_dwordx4 v[39:42], v[20:21], off offset:32
	;; [unrolled: 1-line block ×3, first 2 shown]
	global_load_dwordx4 v[47:50], v[20:21], off
	s_waitcnt vmcnt(4)
	v_sub_co_u32_e32 v26, vcc, v26, v1
	v_subb_co_u32_e32 v27, vcc, v27, v2, vcc
	v_lshlrev_b64 v[26:27], 5, v[26:27]
	v_add_co_u32_e32 v26, vcc, s8, v26
	v_addc_co_u32_e32 v27, vcc, v28, v27, vcc
	global_load_dwordx4 v[51:54], v[26:27], off offset:16
	global_load_dwordx4 v[55:58], v[26:27], off
	s_waitcnt vmcnt(0)
	v_fmac_f32_e32 v32, v47, v55
	v_fma_f32 v26, -v48, v56, v32
	v_fmac_f32_e32 v26, v49, v57
	v_fma_f32 v26, -v50, v58, v26
	;; [unrolled: 2-line block ×3, first 2 shown]
	v_fmac_f32_e32 v7, v48, v55
	v_fmac_f32_e32 v26, v45, v53
	;; [unrolled: 1-line block ×5, first 2 shown]
	v_fma_f32 v29, -v46, v54, v26
	v_fma_f32 v26, -v40, v56, v33
	v_fmac_f32_e32 v17, v39, v56
	v_fmac_f32_e32 v7, v50, v57
	v_fmac_f32_e32 v26, v41, v57
	v_fmac_f32_e32 v17, v42, v57
	v_fmac_f32_e32 v7, v49, v58
	v_fma_f32 v26, -v42, v58, v26
	v_fmac_f32_e32 v17, v41, v58
	v_fmac_f32_e32 v7, v44, v51
	v_fmac_f32_e32 v26, v35, v51
	v_fmac_f32_e32 v17, v36, v51
	v_fmac_f32_e32 v7, v43, v52
	;; [unrolled: 6-line block ×3, first 2 shown]
	v_fma_f32 v59, -v38, v54, v26
	v_fmac_f32_e32 v17, v37, v54
	global_load_dwordx4 v[35:38], v[20:21], off offset:112
	global_load_dwordx4 v[39:42], v[20:21], off offset:96
	;; [unrolled: 1-line block ×4, first 2 shown]
	s_waitcnt vmcnt(2)
	v_fmac_f32_e32 v31, v39, v55
	v_fmac_f32_e32 v16, v40, v55
	s_waitcnt vmcnt(0)
	v_fmac_f32_e32 v34, v47, v55
	v_fma_f32 v26, -v48, v56, v34
	v_fmac_f32_e32 v26, v49, v57
	v_fma_f32 v26, -v50, v58, v26
	;; [unrolled: 2-line block ×4, first 2 shown]
	v_fma_f32 v26, -v40, v56, v31
	global_load_dwordx2 v[31:32], v[24:25], off offset:-512
	v_fmac_f32_e32 v26, v41, v57
	v_fma_f32 v26, -v42, v58, v26
	v_fmac_f32_e32 v26, v35, v51
	v_fmac_f32_e32 v30, v48, v55
	v_fma_f32 v26, -v36, v52, v26
	v_fmac_f32_e32 v30, v47, v56
	v_fmac_f32_e32 v16, v39, v56
	v_fmac_f32_e32 v26, v37, v53
	v_fmac_f32_e32 v30, v50, v57
	v_fmac_f32_e32 v16, v42, v57
	v_fma_f32 v57, -v38, v54, v26
	v_add_co_u32_e32 v26, vcc, s16, v20
	v_addc_co_u32_e32 v27, vcc, 0, v21, vcc
	v_fmac_f32_e32 v30, v49, v58
	v_fmac_f32_e32 v16, v41, v58
	v_fmac_f32_e32 v30, v44, v51
	v_fmac_f32_e32 v16, v36, v51
	v_fmac_f32_e32 v30, v43, v52
	v_fmac_f32_e32 v16, v35, v52
	v_fmac_f32_e32 v30, v46, v53
	v_fmac_f32_e32 v16, v38, v53
	v_fmac_f32_e32 v30, v45, v54
	v_fmac_f32_e32 v16, v37, v54
	s_waitcnt vmcnt(0)
	v_sub_co_u32_e32 v47, vcc, v31, v1
	v_subb_co_u32_e32 v48, vcc, v32, v2, vcc
	v_lshlrev_b64 v[47:48], 5, v[47:48]
	global_load_dwordx4 v[31:34], v[26:27], off
	global_load_dwordx4 v[35:38], v[26:27], off offset:48
	global_load_dwordx4 v[39:42], v[26:27], off offset:32
	;; [unrolled: 1-line block ×3, first 2 shown]
	v_add_co_u32_e32 v55, vcc, s8, v47
	v_addc_co_u32_e32 v56, vcc, v28, v48, vcc
	global_load_dwordx4 v[47:50], v[55:56], off offset:16
	global_load_dwordx4 v[51:54], v[55:56], off
	s_waitcnt vmcnt(0)
	v_fmac_f32_e32 v29, v31, v51
	v_fmac_f32_e32 v7, v32, v51
	v_fmac_f32_e32 v59, v39, v51
	v_fmac_f32_e32 v17, v40, v51
	v_fma_f32 v29, -v32, v52, v29
	v_fmac_f32_e32 v7, v31, v52
	v_fma_f32 v31, -v40, v52, v59
	v_fmac_f32_e32 v17, v39, v52
	v_fmac_f32_e32 v29, v33, v53
	v_fmac_f32_e32 v7, v34, v53
	v_fmac_f32_e32 v31, v41, v53
	v_fmac_f32_e32 v17, v42, v53
	v_fma_f32 v29, -v34, v54, v29
	v_fmac_f32_e32 v7, v33, v54
	v_fma_f32 v31, -v42, v54, v31
	v_fmac_f32_e32 v17, v41, v54
	;; [unrolled: 8-line block ×4, first 2 shown]
	global_load_dwordx4 v[31:34], v[26:27], off offset:112
	global_load_dwordx4 v[35:38], v[26:27], off offset:96
	global_load_dwordx4 v[39:42], v[26:27], off offset:80
	global_load_dwordx4 v[43:46], v[26:27], off offset:64
	s_waitcnt vmcnt(2)
	v_fmac_f32_e32 v57, v35, v51
	v_fmac_f32_e32 v16, v36, v51
	s_waitcnt vmcnt(0)
	v_fmac_f32_e32 v60, v43, v51
	v_fma_f32 v26, -v44, v52, v60
	v_fmac_f32_e32 v26, v45, v53
	v_fma_f32 v26, -v46, v54, v26
	;; [unrolled: 2-line block ×4, first 2 shown]
	v_fma_f32 v26, -v36, v52, v57
	v_fmac_f32_e32 v26, v37, v53
	v_fma_f32 v26, -v38, v54, v26
	v_fmac_f32_e32 v26, v31, v47
	;; [unrolled: 2-line block ×3, first 2 shown]
	v_fma_f32 v62, -v34, v50, v26
	global_load_dwordx2 v[26:27], v[24:25], off
	v_fmac_f32_e32 v30, v44, v51
	v_fmac_f32_e32 v30, v43, v52
	;; [unrolled: 1-line block ×15, first 2 shown]
	s_waitcnt vmcnt(0)
	v_sub_co_u32_e32 v26, vcc, v26, v1
	v_subb_co_u32_e32 v27, vcc, v27, v2, vcc
	v_add_co_u32_e32 v59, vcc, s17, v20
	v_lshlrev_b64 v[26:27], 5, v[26:27]
	v_addc_co_u32_e32 v60, vcc, 0, v21, vcc
	v_add_co_u32_e32 v26, vcc, s8, v26
	v_addc_co_u32_e32 v27, vcc, v28, v27, vcc
	global_load_dwordx4 v[31:34], v[59:60], off
	global_load_dwordx4 v[35:38], v[59:60], off offset:48
	global_load_dwordx4 v[39:42], v[59:60], off offset:32
	;; [unrolled: 1-line block ×4, first 2 shown]
	global_load_dwordx4 v[51:54], v[26:27], off
	s_waitcnt vmcnt(0)
	v_fmac_f32_e32 v29, v31, v51
	v_fma_f32 v26, -v32, v52, v29
	v_fmac_f32_e32 v26, v33, v53
	v_fma_f32 v26, -v34, v54, v26
	v_fmac_f32_e32 v26, v43, v47
	v_fma_f32 v26, -v44, v48, v26
	v_fmac_f32_e32 v7, v32, v51
	v_fmac_f32_e32 v26, v45, v49
	;; [unrolled: 1-line block ×5, first 2 shown]
	v_fma_f32 v32, -v46, v50, v26
	v_fma_f32 v26, -v40, v52, v55
	v_fmac_f32_e32 v17, v39, v52
	v_fmac_f32_e32 v7, v34, v53
	v_fmac_f32_e32 v26, v41, v53
	v_fmac_f32_e32 v17, v42, v53
	v_fmac_f32_e32 v7, v33, v54
	v_fma_f32 v26, -v42, v54, v26
	v_fmac_f32_e32 v17, v41, v54
	v_fmac_f32_e32 v7, v44, v47
	v_fmac_f32_e32 v26, v35, v47
	v_fmac_f32_e32 v17, v36, v47
	v_fmac_f32_e32 v7, v43, v48
	;; [unrolled: 6-line block ×3, first 2 shown]
	v_fma_f32 v33, -v38, v50, v26
	v_fmac_f32_e32 v17, v37, v50
	global_load_dwordx4 v[34:37], v[59:60], off offset:112
	global_load_dwordx4 v[38:41], v[59:60], off offset:96
	;; [unrolled: 1-line block ×4, first 2 shown]
	s_waitcnt vmcnt(2)
	v_fmac_f32_e32 v62, v38, v51
	v_fmac_f32_e32 v16, v39, v51
	s_waitcnt vmcnt(0)
	v_fmac_f32_e32 v61, v55, v51
	v_fma_f32 v26, -v56, v52, v61
	v_fmac_f32_e32 v26, v57, v53
	v_fma_f32 v26, -v58, v54, v26
	;; [unrolled: 2-line block ×4, first 2 shown]
	v_fma_f32 v26, -v39, v52, v62
	v_fmac_f32_e32 v26, v40, v53
	v_fma_f32 v26, -v41, v54, v26
	v_fmac_f32_e32 v26, v34, v47
	;; [unrolled: 2-line block ×3, first 2 shown]
	v_fma_f32 v31, -v37, v50, v26
	global_load_dwordx2 v[26:27], v[24:25], off offset:512
	v_fmac_f32_e32 v30, v56, v51
	v_fmac_f32_e32 v30, v55, v52
	;; [unrolled: 1-line block ×15, first 2 shown]
	s_waitcnt vmcnt(0)
	v_sub_co_u32_e32 v50, vcc, v26, v1
	v_subb_co_u32_e32 v51, vcc, v27, v2, vcc
	v_add_co_u32_e32 v26, vcc, s18, v20
	v_lshlrev_b64 v[50:51], 5, v[50:51]
	v_addc_co_u32_e32 v27, vcc, 0, v21, vcc
	v_add_co_u32_e32 v58, vcc, s8, v50
	v_addc_co_u32_e32 v59, vcc, v28, v51, vcc
	global_load_dwordx4 v[34:37], v[26:27], off
	global_load_dwordx4 v[38:41], v[26:27], off offset:48
	global_load_dwordx4 v[42:45], v[26:27], off offset:32
	;; [unrolled: 1-line block ×4, first 2 shown]
	global_load_dwordx4 v[54:57], v[58:59], off
	v_add_co_u32_e32 v22, vcc, 0x100, v22
	v_addc_co_u32_e32 v23, vcc, 0, v23, vcc
	v_add_co_u32_e32 v24, vcc, 0x800, v24
	v_addc_co_u32_e32 v25, vcc, 0, v25, vcc
	v_cmp_ge_i64_e64 s[2:3], v[22:23], v[5:6]
	v_add_co_u32_e32 v20, vcc, 0x8000, v20
	v_addc_co_u32_e32 v21, vcc, 0, v21, vcc
	s_or_b64 s[14:15], s[2:3], s[14:15]
	s_waitcnt vmcnt(0)
	v_fmac_f32_e32 v33, v42, v54
	v_fmac_f32_e32 v17, v43, v54
	v_fma_f32 v33, -v43, v55, v33
	v_fmac_f32_e32 v17, v42, v55
	v_fmac_f32_e32 v7, v35, v54
	;; [unrolled: 1-line block ×6, first 2 shown]
	v_fma_f32 v33, -v45, v57, v33
	v_fmac_f32_e32 v17, v44, v57
	v_fma_f32 v32, -v35, v55, v32
	v_fmac_f32_e32 v7, v37, v56
	v_fmac_f32_e32 v33, v38, v50
	;; [unrolled: 1-line block ×5, first 2 shown]
	v_fma_f32 v33, -v39, v51, v33
	v_fmac_f32_e32 v17, v38, v51
	v_fma_f32 v32, -v37, v57, v32
	v_fmac_f32_e32 v7, v47, v50
	v_fmac_f32_e32 v33, v40, v52
	;; [unrolled: 1-line block ×5, first 2 shown]
	v_fma_f32 v33, -v41, v53, v33
	v_fmac_f32_e32 v17, v40, v53
	global_load_dwordx4 v[35:38], v[26:27], off offset:112
	global_load_dwordx4 v[39:42], v[26:27], off offset:96
	global_load_dwordx4 v[43:46], v[26:27], off offset:80
	global_load_dwordx4 v[58:61], v[26:27], off offset:64
	v_fma_f32 v32, -v47, v51, v32
	v_fmac_f32_e32 v32, v48, v52
	v_fmac_f32_e32 v7, v49, v52
	v_fma_f32 v32, -v49, v53, v32
	v_fmac_f32_e32 v7, v48, v53
	s_waitcnt vmcnt(2)
	v_fmac_f32_e32 v31, v39, v54
	v_fmac_f32_e32 v16, v40, v54
	s_waitcnt vmcnt(0)
	v_fmac_f32_e32 v29, v58, v54
	v_fma_f32 v26, -v59, v55, v29
	v_fmac_f32_e32 v26, v60, v56
	v_fma_f32 v26, -v61, v57, v26
	;; [unrolled: 2-line block ×3, first 2 shown]
	v_fmac_f32_e32 v30, v59, v54
	v_fmac_f32_e32 v26, v45, v52
	;; [unrolled: 1-line block ×3, first 2 shown]
	v_fma_f32 v34, -v46, v53, v26
	v_fma_f32 v26, -v40, v55, v31
	v_fmac_f32_e32 v16, v39, v55
	v_fmac_f32_e32 v30, v61, v56
	v_fmac_f32_e32 v26, v41, v56
	v_fmac_f32_e32 v16, v42, v56
	v_fmac_f32_e32 v30, v60, v57
	v_fma_f32 v26, -v42, v57, v26
	v_fmac_f32_e32 v16, v41, v57
	v_fmac_f32_e32 v30, v44, v50
	v_fmac_f32_e32 v26, v35, v50
	v_fmac_f32_e32 v16, v36, v50
	v_fmac_f32_e32 v30, v43, v51
	v_fma_f32 v26, -v36, v51, v26
	v_fmac_f32_e32 v16, v35, v51
	v_fmac_f32_e32 v30, v46, v52
	v_fmac_f32_e32 v26, v37, v52
	v_fmac_f32_e32 v16, v38, v52
	v_fmac_f32_e32 v30, v45, v53
	v_fma_f32 v31, -v38, v53, v26
	v_fmac_f32_e32 v16, v37, v53
	s_andn2_b64 exec, exec, s[14:15]
	s_cbranch_execnz .LBB54_21
; %bb.22:
	s_or_b64 exec, exec, s[14:15]
.LBB54_23:
	s_or_b64 exec, exec, s[6:7]
.LBB54_24:
	s_or_b64 exec, exec, s[10:11]
	s_cbranch_execz .LBB54_26
	s_branch .LBB54_37
.LBB54_25:
                                        ; implicit-def: $vgpr7
                                        ; implicit-def: $vgpr32
                                        ; implicit-def: $vgpr31
                                        ; implicit-def: $vgpr16
                                        ; implicit-def: $vgpr34
                                        ; implicit-def: $vgpr30
                                        ; implicit-def: $vgpr33
                                        ; implicit-def: $vgpr17
.LBB54_26:
	v_mov_b32_e32 v7, 0
	v_mov_b32_e32 v32, 0
	;; [unrolled: 1-line block ×8, first 2 shown]
	s_and_saveexec_b64 s[2:3], s[0:1]
	s_cbranch_execz .LBB54_36
; %bb.27:
	v_or_b32_e32 v7, 64, v0
	v_sub_co_u32_e32 v7, vcc, v7, v1
	v_subb_co_u32_e32 v17, vcc, 0, v2, vcc
	v_add_co_u32_e32 v16, vcc, v7, v18
	v_addc_co_u32_e32 v17, vcc, v17, v19, vcc
	v_cmp_gt_i64_e32 vcc, v[16:17], v[5:6]
	v_not_b32_e32 v18, v18
	v_cndmask_b32_e32 v7, v6, v17, vcc
	v_cndmask_b32_e32 v16, v5, v16, vcc
	v_not_b32_e32 v17, v19
	v_sub_co_u32_e32 v19, vcc, v1, v0
	v_subbrev_co_u32_e32 v20, vcc, 0, v2, vcc
	v_add_co_u32_e32 v18, vcc, v19, v18
	v_addc_co_u32_e32 v17, vcc, v20, v17, vcc
	v_add_co_u32_e32 v18, vcc, v18, v16
	v_addc_co_u32_e32 v19, vcc, v17, v7, vcc
	v_and_b32_e32 v16, 0xc0, v18
	v_mov_b32_e32 v17, 0
	s_mov_b64 s[0:1], 0xc0
	v_cmp_ne_u64_e32 vcc, s[0:1], v[16:17]
	v_mov_b32_e32 v33, v17
	v_mov_b32_e32 v30, v17
	v_mov_b32_e32 v34, v17
	v_mov_b32_e32 v16, v17
	v_mov_b32_e32 v31, v17
	v_mov_b32_e32 v32, v17
	v_mov_b32_e32 v7, v17
	s_and_saveexec_b64 s[0:1], vcc
	s_cbranch_execz .LBB54_31
; %bb.28:
	v_lshlrev_b64 v[16:17], 3, v[3:4]
	v_lshrrev_b32_e32 v7, 6, v18
	v_add_u32_e32 v7, 1, v7
	v_mov_b32_e32 v21, s13
	v_add_co_u32_e32 v20, vcc, s12, v16
	v_and_b32_e32 v22, 3, v7
	v_addc_co_u32_e32 v21, vcc, v21, v17, vcc
	v_sub_co_u32_e32 v22, vcc, 0, v22
	v_subb_co_u32_e64 v23, s[10:11], 0, 0, vcc
	v_mov_b32_e32 v7, 0
	s_mov_b64 s[6:7], 0
	s_movk_i32 s10, 0x2000
	v_mov_b32_e32 v24, s9
	v_mov_b32_e32 v32, 0
	;; [unrolled: 1-line block ×8, first 2 shown]
.LBB54_29:                              ; =>This Inner Loop Header: Depth=1
	global_load_dwordx2 v[25:26], v[20:21], off
	s_waitcnt vmcnt(0)
	v_sub_co_u32_e32 v47, vcc, v25, v1
	v_subb_co_u32_e32 v48, vcc, v26, v2, vcc
	v_lshlrev_b64 v[47:48], 5, v[47:48]
	global_load_dwordx4 v[25:28], v[14:15], off offset:48
	global_load_dwordx4 v[35:38], v[14:15], off offset:32
	;; [unrolled: 1-line block ×3, first 2 shown]
	global_load_dwordx4 v[43:46], v[14:15], off
	v_add_co_u32_e32 v55, vcc, s8, v47
	v_addc_co_u32_e32 v56, vcc, v24, v48, vcc
	global_load_dwordx4 v[47:50], v[55:56], off offset:16
	global_load_dwordx4 v[51:54], v[55:56], off
	s_waitcnt vmcnt(0)
	v_fmac_f32_e32 v32, v43, v51
	v_fmac_f32_e32 v7, v44, v51
	;; [unrolled: 1-line block ×8, first 2 shown]
	v_fma_f32 v29, -v44, v52, v32
	v_fmac_f32_e32 v7, v43, v52
	v_fma_f32 v32, -v46, v52, v33
	v_fmac_f32_e32 v17, v45, v52
	;; [unrolled: 2-line block ×4, first 2 shown]
	v_fmac_f32_e32 v29, v35, v53
	v_fmac_f32_e32 v7, v36, v53
	;; [unrolled: 1-line block ×8, first 2 shown]
	v_fma_f32 v29, -v36, v54, v29
	v_fmac_f32_e32 v7, v35, v54
	v_fma_f32 v32, -v38, v54, v32
	v_fmac_f32_e32 v17, v37, v54
	;; [unrolled: 2-line block ×4, first 2 shown]
	global_load_dwordx4 v[25:28], v[14:15], off offset:112
	global_load_dwordx4 v[33:36], v[14:15], off offset:96
	global_load_dwordx4 v[37:40], v[14:15], off offset:80
	global_load_dwordx4 v[41:44], v[14:15], off offset:64
	v_add_co_u32_e32 v14, vcc, s10, v14
	v_addc_co_u32_e32 v15, vcc, 0, v15, vcc
	v_add_co_u32_e32 v3, vcc, 64, v3
	v_addc_co_u32_e32 v4, vcc, 0, v4, vcc
	v_add_co_u32_e32 v20, vcc, 0x200, v20
	v_addc_co_u32_e32 v21, vcc, 0, v21, vcc
	v_add_co_u32_e32 v22, vcc, 1, v22
	v_addc_co_u32_e32 v23, vcc, 0, v23, vcc
	v_cmp_eq_u64_e32 vcc, 0, v[22:23]
	s_or_b64 s[6:7], vcc, s[6:7]
	s_waitcnt vmcnt(1)
	v_fmac_f32_e32 v45, v37, v47
	s_waitcnt vmcnt(0)
	v_fmac_f32_e32 v29, v41, v47
	v_fmac_f32_e32 v7, v42, v47
	;; [unrolled: 1-line block ×7, first 2 shown]
	v_fma_f32 v29, -v42, v48, v29
	v_fmac_f32_e32 v7, v41, v48
	v_fma_f32 v41, -v44, v48, v32
	v_fmac_f32_e32 v17, v43, v48
	;; [unrolled: 2-line block ×4, first 2 shown]
	v_fmac_f32_e32 v29, v33, v49
	v_fmac_f32_e32 v7, v34, v49
	;; [unrolled: 1-line block ×8, first 2 shown]
	v_fma_f32 v32, -v34, v50, v29
	v_fmac_f32_e32 v7, v33, v50
	v_fma_f32 v33, -v36, v50, v41
	v_fmac_f32_e32 v17, v35, v50
	;; [unrolled: 2-line block ×4, first 2 shown]
	s_andn2_b64 exec, exec, s[6:7]
	s_cbranch_execnz .LBB54_29
; %bb.30:
	s_or_b64 exec, exec, s[6:7]
.LBB54_31:
	s_or_b64 exec, exec, s[0:1]
	s_mov_b64 s[0:1], 0xbf
	v_cmp_lt_u64_e32 vcc, s[0:1], v[18:19]
	s_and_saveexec_b64 s[6:7], vcc
	s_cbranch_execz .LBB54_35
; %bb.32:
	v_lshlrev_b64 v[18:19], 3, v[3:4]
	v_mov_b32_e32 v20, s13
	v_add_co_u32_e32 v18, vcc, s12, v18
	v_addc_co_u32_e32 v19, vcc, v20, v19, vcc
	v_add_co_u32_e32 v18, vcc, 0x400, v18
	v_addc_co_u32_e32 v19, vcc, 0, v19, vcc
	s_mov_b64 s[10:11], 0
	v_mov_b32_e32 v22, s9
	s_movk_i32 s9, 0x2000
	s_movk_i32 s12, 0x4000
	;; [unrolled: 1-line block ×3, first 2 shown]
.LBB54_33:                              ; =>This Inner Loop Header: Depth=1
	global_load_dwordx2 v[20:21], v[18:19], off offset:-1024
	global_load_dwordx4 v[23:26], v[14:15], off offset:48
	global_load_dwordx4 v[35:38], v[14:15], off offset:32
	global_load_dwordx4 v[39:42], v[14:15], off offset:16
	global_load_dwordx4 v[43:46], v[14:15], off
	s_waitcnt vmcnt(4)
	v_sub_co_u32_e32 v20, vcc, v20, v1
	v_subb_co_u32_e32 v21, vcc, v21, v2, vcc
	v_lshlrev_b64 v[20:21], 5, v[20:21]
	v_add_co_u32_e32 v20, vcc, s8, v20
	v_addc_co_u32_e32 v21, vcc, v22, v21, vcc
	global_load_dwordx4 v[47:50], v[20:21], off offset:16
	global_load_dwordx4 v[51:54], v[20:21], off
	s_waitcnt vmcnt(0)
	v_fmac_f32_e32 v32, v43, v51
	v_fmac_f32_e32 v7, v44, v51
	;; [unrolled: 1-line block ×8, first 2 shown]
	v_fma_f32 v20, -v44, v52, v32
	v_fmac_f32_e32 v7, v43, v52
	v_fma_f32 v21, -v46, v52, v33
	v_fmac_f32_e32 v17, v45, v52
	;; [unrolled: 2-line block ×4, first 2 shown]
	v_fmac_f32_e32 v20, v35, v53
	v_fmac_f32_e32 v7, v36, v53
	;; [unrolled: 1-line block ×8, first 2 shown]
	v_fma_f32 v20, -v36, v54, v20
	v_fmac_f32_e32 v7, v35, v54
	v_fma_f32 v21, -v38, v54, v21
	v_fmac_f32_e32 v17, v37, v54
	;; [unrolled: 2-line block ×4, first 2 shown]
	global_load_dwordx4 v[23:26], v[14:15], off offset:112
	global_load_dwordx4 v[31:34], v[14:15], off offset:96
	;; [unrolled: 1-line block ×4, first 2 shown]
	s_waitcnt vmcnt(1)
	v_fmac_f32_e32 v27, v35, v47
	v_fmac_f32_e32 v30, v36, v47
	v_fma_f32 v27, -v36, v48, v27
	v_fmac_f32_e32 v30, v35, v48
	v_fmac_f32_e32 v27, v23, v49
	;; [unrolled: 1-line block ×3, first 2 shown]
	v_fma_f32 v52, -v24, v50, v27
	v_fmac_f32_e32 v30, v23, v50
	global_load_dwordx2 v[23:24], v[18:19], off offset:-512
	s_waitcnt vmcnt(1)
	v_fmac_f32_e32 v20, v39, v47
	v_fma_f32 v20, -v40, v48, v20
	v_fmac_f32_e32 v21, v41, v47
	v_fma_f32 v21, -v42, v48, v21
	v_fmac_f32_e32 v20, v31, v49
	v_fmac_f32_e32 v28, v37, v47
	v_fma_f32 v29, -v32, v50, v20
	v_fmac_f32_e32 v21, v33, v49
	v_add_co_u32_e32 v20, vcc, s9, v14
	v_fma_f32 v28, -v38, v48, v28
	v_fma_f32 v51, -v34, v50, v21
	v_addc_co_u32_e32 v21, vcc, 0, v15, vcc
	v_fmac_f32_e32 v28, v25, v49
	v_fma_f32 v53, -v26, v50, v28
	v_fmac_f32_e32 v7, v40, v47
	v_fmac_f32_e32 v17, v42, v47
	;; [unrolled: 1-line block ×12, first 2 shown]
	s_waitcnt vmcnt(0)
	v_sub_co_u32_e32 v27, vcc, v23, v1
	v_subb_co_u32_e32 v28, vcc, v24, v2, vcc
	v_lshlrev_b64 v[27:28], 5, v[27:28]
	global_load_dwordx4 v[23:26], v[20:21], off
	global_load_dwordx4 v[31:34], v[20:21], off offset:48
	global_load_dwordx4 v[35:38], v[20:21], off offset:32
	;; [unrolled: 1-line block ×3, first 2 shown]
	v_add_co_u32_e32 v27, vcc, s8, v27
	v_addc_co_u32_e32 v28, vcc, v22, v28, vcc
	global_load_dwordx4 v[43:46], v[27:28], off offset:16
	global_load_dwordx4 v[47:50], v[27:28], off
	s_waitcnt vmcnt(0)
	v_fmac_f32_e32 v29, v23, v47
	v_fmac_f32_e32 v7, v24, v47
	;; [unrolled: 1-line block ×8, first 2 shown]
	v_fma_f32 v27, -v24, v48, v29
	v_fmac_f32_e32 v7, v23, v48
	v_fma_f32 v23, -v26, v48, v51
	v_fmac_f32_e32 v17, v25, v48
	;; [unrolled: 2-line block ×4, first 2 shown]
	v_fmac_f32_e32 v27, v35, v49
	v_fmac_f32_e32 v7, v36, v49
	;; [unrolled: 1-line block ×8, first 2 shown]
	v_fma_f32 v27, -v36, v50, v27
	v_fmac_f32_e32 v7, v35, v50
	v_fma_f32 v28, -v38, v50, v23
	v_fmac_f32_e32 v17, v37, v50
	;; [unrolled: 2-line block ×4, first 2 shown]
	global_load_dwordx4 v[23:26], v[20:21], off offset:112
	global_load_dwordx4 v[31:34], v[20:21], off offset:96
	;; [unrolled: 1-line block ×4, first 2 shown]
	s_waitcnt vmcnt(1)
	v_fmac_f32_e32 v29, v35, v43
	s_waitcnt vmcnt(0)
	v_fmac_f32_e32 v27, v39, v43
	v_fmac_f32_e32 v28, v41, v43
	v_fma_f32 v20, -v40, v44, v27
	v_fma_f32 v21, -v42, v44, v28
	v_fmac_f32_e32 v20, v31, v45
	v_fmac_f32_e32 v21, v33, v45
	v_fma_f32 v27, -v36, v44, v29
	v_fma_f32 v29, -v32, v46, v20
	;; [unrolled: 1-line block ×3, first 2 shown]
	global_load_dwordx2 v[20:21], v[18:19], off
	v_fmac_f32_e32 v7, v40, v43
	v_fmac_f32_e32 v17, v42, v43
	;; [unrolled: 1-line block ×8, first 2 shown]
	v_fma_f32 v28, -v38, v44, v47
	v_fmac_f32_e32 v16, v37, v44
	v_fmac_f32_e32 v7, v32, v45
	;; [unrolled: 1-line block ×9, first 2 shown]
	v_fma_f32 v27, -v24, v46, v27
	v_fmac_f32_e32 v30, v23, v46
	v_fma_f32 v28, -v26, v46, v28
	v_fmac_f32_e32 v16, v25, v46
	s_waitcnt vmcnt(0)
	v_sub_co_u32_e32 v20, vcc, v20, v1
	v_subb_co_u32_e32 v21, vcc, v21, v2, vcc
	v_add_co_u32_e32 v51, vcc, s12, v14
	v_lshlrev_b64 v[20:21], 5, v[20:21]
	v_addc_co_u32_e32 v52, vcc, 0, v15, vcc
	v_add_co_u32_e32 v20, vcc, s8, v20
	v_addc_co_u32_e32 v21, vcc, v22, v21, vcc
	global_load_dwordx4 v[23:26], v[51:52], off
	global_load_dwordx4 v[31:34], v[51:52], off offset:48
	global_load_dwordx4 v[35:38], v[51:52], off offset:32
	;; [unrolled: 1-line block ×4, first 2 shown]
	global_load_dwordx4 v[47:50], v[20:21], off
	s_waitcnt vmcnt(0)
	v_fmac_f32_e32 v29, v23, v47
	v_fmac_f32_e32 v7, v24, v47
	;; [unrolled: 1-line block ×8, first 2 shown]
	v_fma_f32 v20, -v24, v48, v29
	v_fmac_f32_e32 v7, v23, v48
	v_fma_f32 v21, -v26, v48, v53
	v_fmac_f32_e32 v17, v25, v48
	;; [unrolled: 2-line block ×4, first 2 shown]
	v_fmac_f32_e32 v20, v35, v49
	v_fmac_f32_e32 v7, v36, v49
	v_fmac_f32_e32 v21, v37, v49
	v_fmac_f32_e32 v17, v38, v49
	v_fmac_f32_e32 v23, v31, v49
	v_fmac_f32_e32 v30, v32, v49
	v_fmac_f32_e32 v24, v33, v49
	v_fmac_f32_e32 v16, v34, v49
	v_fma_f32 v20, -v36, v50, v20
	v_fmac_f32_e32 v7, v35, v50
	v_fma_f32 v21, -v38, v50, v21
	v_fmac_f32_e32 v17, v37, v50
	;; [unrolled: 2-line block ×4, first 2 shown]
	global_load_dwordx4 v[26:29], v[51:52], off offset:112
	global_load_dwordx4 v[31:34], v[51:52], off offset:96
	;; [unrolled: 1-line block ×4, first 2 shown]
	s_waitcnt vmcnt(1)
	v_fmac_f32_e32 v23, v35, v43
	s_waitcnt vmcnt(0)
	v_fmac_f32_e32 v20, v39, v43
	v_fmac_f32_e32 v21, v41, v43
	v_fma_f32 v20, -v40, v44, v20
	v_fma_f32 v21, -v42, v44, v21
	v_fmac_f32_e32 v30, v36, v43
	v_fmac_f32_e32 v24, v37, v43
	;; [unrolled: 1-line block ×4, first 2 shown]
	v_fma_f32 v25, -v36, v44, v23
	v_fmac_f32_e32 v30, v35, v44
	v_fma_f32 v35, -v38, v44, v24
	v_fma_f32 v23, -v32, v46, v20
	;; [unrolled: 1-line block ×3, first 2 shown]
	global_load_dwordx2 v[20:21], v[18:19], off offset:512
	v_fmac_f32_e32 v16, v38, v43
	v_fmac_f32_e32 v16, v37, v44
	;; [unrolled: 1-line block ×3, first 2 shown]
	v_fma_f32 v25, -v27, v46, v25
	v_fmac_f32_e32 v30, v27, v45
	v_fmac_f32_e32 v16, v29, v45
	;; [unrolled: 1-line block ×13, first 2 shown]
	v_fma_f32 v26, -v29, v46, v35
	s_waitcnt vmcnt(0)
	v_sub_co_u32_e32 v27, vcc, v20, v1
	v_subb_co_u32_e32 v28, vcc, v21, v2, vcc
	v_add_co_u32_e32 v20, vcc, s13, v14
	v_lshlrev_b64 v[27:28], 5, v[27:28]
	v_addc_co_u32_e32 v21, vcc, 0, v15, vcc
	v_add_co_u32_e32 v27, vcc, s8, v27
	v_addc_co_u32_e32 v28, vcc, v22, v28, vcc
	global_load_dwordx4 v[31:34], v[20:21], off
	global_load_dwordx4 v[35:38], v[20:21], off offset:48
	global_load_dwordx4 v[39:42], v[20:21], off offset:32
	;; [unrolled: 1-line block ×4, first 2 shown]
	global_load_dwordx4 v[51:54], v[27:28], off
	v_add_co_u32_e32 v3, vcc, 0x100, v3
	v_addc_co_u32_e32 v4, vcc, 0, v4, vcc
	v_add_co_u32_e32 v18, vcc, 0x800, v18
	v_addc_co_u32_e32 v19, vcc, 0, v19, vcc
	v_cmp_ge_i64_e64 s[0:1], v[3:4], v[5:6]
	v_add_co_u32_e32 v14, vcc, 0x8000, v14
	v_addc_co_u32_e32 v15, vcc, 0, v15, vcc
	s_or_b64 s[10:11], s[0:1], s[10:11]
	s_waitcnt vmcnt(0)
	v_fmac_f32_e32 v23, v31, v51
	v_fmac_f32_e32 v7, v32, v51
	;; [unrolled: 1-line block ×8, first 2 shown]
	v_fma_f32 v23, -v32, v52, v23
	v_fmac_f32_e32 v7, v31, v52
	v_fma_f32 v24, -v34, v52, v24
	v_fmac_f32_e32 v17, v33, v52
	;; [unrolled: 2-line block ×4, first 2 shown]
	v_fmac_f32_e32 v23, v39, v53
	v_fmac_f32_e32 v7, v40, v53
	;; [unrolled: 1-line block ×8, first 2 shown]
	v_fma_f32 v27, -v40, v54, v23
	v_fmac_f32_e32 v7, v39, v54
	v_fma_f32 v28, -v42, v54, v24
	v_fmac_f32_e32 v17, v41, v54
	v_fma_f32 v29, -v36, v54, v25
	v_fmac_f32_e32 v30, v35, v54
	v_fma_f32 v31, -v38, v54, v26
	v_fmac_f32_e32 v16, v37, v54
	global_load_dwordx4 v[23:26], v[20:21], off offset:112
	global_load_dwordx4 v[33:36], v[20:21], off offset:96
	;; [unrolled: 1-line block ×4, first 2 shown]
	s_waitcnt vmcnt(1)
	v_fmac_f32_e32 v29, v37, v47
	s_waitcnt vmcnt(0)
	v_fmac_f32_e32 v27, v41, v47
	v_fmac_f32_e32 v7, v42, v47
	;; [unrolled: 1-line block ×7, first 2 shown]
	v_fma_f32 v20, -v42, v48, v27
	v_fmac_f32_e32 v7, v41, v48
	v_fma_f32 v21, -v44, v48, v28
	v_fmac_f32_e32 v17, v43, v48
	;; [unrolled: 2-line block ×4, first 2 shown]
	v_fmac_f32_e32 v20, v33, v49
	v_fmac_f32_e32 v7, v34, v49
	;; [unrolled: 1-line block ×8, first 2 shown]
	v_fma_f32 v32, -v34, v50, v20
	v_fmac_f32_e32 v7, v33, v50
	v_fma_f32 v33, -v36, v50, v21
	v_fmac_f32_e32 v17, v35, v50
	;; [unrolled: 2-line block ×4, first 2 shown]
	s_andn2_b64 exec, exec, s[10:11]
	s_cbranch_execnz .LBB54_33
; %bb.34:
	s_or_b64 exec, exec, s[10:11]
.LBB54_35:
	s_or_b64 exec, exec, s[6:7]
.LBB54_36:
	s_or_b64 exec, exec, s[2:3]
.LBB54_37:
	v_mov_b32_dpp v3, v7 row_shr:1 row_mask:0xf bank_mask:0xf
	v_mov_b32_dpp v1, v32 row_shr:1 row_mask:0xf bank_mask:0xf
	v_add_f32_e32 v3, v7, v3
	v_mov_b32_dpp v5, v33 row_shr:1 row_mask:0xf bank_mask:0xf
	v_mov_b32_dpp v7, v17 row_shr:1 row_mask:0xf bank_mask:0xf
	;; [unrolled: 1-line block ×6, first 2 shown]
	v_add_f32_e32 v1, v32, v1
	v_add_f32_e32 v5, v33, v5
	v_add_f32_e32 v7, v17, v7
	v_add_f32_e32 v15, v34, v15
	v_add_f32_e32 v18, v30, v18
	v_add_f32_e32 v20, v31, v20
	v_add_f32_e32 v16, v16, v22
	v_mov_b32_dpp v2, v1 row_shr:2 row_mask:0xf bank_mask:0xf
	v_mov_b32_dpp v4, v3 row_shr:2 row_mask:0xf bank_mask:0xf
	v_mov_b32_dpp v6, v5 row_shr:2 row_mask:0xf bank_mask:0xf
	v_mov_b32_dpp v14, v7 row_shr:2 row_mask:0xf bank_mask:0xf
	v_mov_b32_dpp v17, v15 row_shr:2 row_mask:0xf bank_mask:0xf
	v_mov_b32_dpp v19, v18 row_shr:2 row_mask:0xf bank_mask:0xf
	v_mov_b32_dpp v21, v20 row_shr:2 row_mask:0xf bank_mask:0xf
	v_mov_b32_dpp v22, v16 row_shr:2 row_mask:0xf bank_mask:0xf
	v_add_f32_e32 v1, v1, v2
	v_add_f32_e32 v3, v3, v4
	v_add_f32_e32 v5, v5, v6
	v_add_f32_e32 v7, v7, v14
	v_add_f32_e32 v15, v15, v17
	v_add_f32_e32 v18, v18, v19
	v_add_f32_e32 v20, v20, v21
	v_add_f32_e32 v16, v16, v22
	v_mov_b32_dpp v2, v1 row_shr:4 row_mask:0xf bank_mask:0xe
	v_mov_b32_dpp v4, v3 row_shr:4 row_mask:0xf bank_mask:0xe
	v_mov_b32_dpp v6, v5 row_shr:4 row_mask:0xf bank_mask:0xe
	v_mov_b32_dpp v14, v7 row_shr:4 row_mask:0xf bank_mask:0xe
	v_mov_b32_dpp v17, v15 row_shr:4 row_mask:0xf bank_mask:0xe
	v_mov_b32_dpp v19, v18 row_shr:4 row_mask:0xf bank_mask:0xe
	v_mov_b32_dpp v21, v20 row_shr:4 row_mask:0xf bank_mask:0xe
	v_mov_b32_dpp v22, v16 row_shr:4 row_mask:0xf bank_mask:0xe
	v_add_f32_e32 v1, v1, v2
	;; [unrolled: 16-line block ×3, first 2 shown]
	v_add_f32_e32 v3, v3, v4
	v_add_f32_e32 v5, v5, v6
	;; [unrolled: 1-line block ×7, first 2 shown]
	v_mov_b32_dpp v2, v1 row_bcast:15 row_mask:0xa bank_mask:0xf
	v_mov_b32_dpp v4, v3 row_bcast:15 row_mask:0xa bank_mask:0xf
	;; [unrolled: 1-line block ×8, first 2 shown]
	v_add_f32_e32 v1, v1, v2
	v_add_f32_e32 v3, v3, v4
	;; [unrolled: 1-line block ×8, first 2 shown]
	v_mov_b32_dpp v2, v1 row_bcast:31 row_mask:0xc bank_mask:0xf
	v_mov_b32_dpp v4, v3 row_bcast:31 row_mask:0xc bank_mask:0xf
	;; [unrolled: 1-line block ×8, first 2 shown]
	v_cmp_eq_u32_e32 vcc, 63, v0
	s_and_b64 exec, exec, vcc
	s_cbranch_execz .LBB54_8
; %bb.38:
	s_load_dwordx2 s[2:3], s[4:5], 0x58
	v_add_f32_e32 v23, v1, v2
	v_add_f32_e32 v0, v3, v4
	;; [unrolled: 1-line block ×8, first 2 shown]
	v_cmp_eq_f32_e32 vcc, 0, v8
	v_cmp_eq_f32_e64 s[0:1], 0, v9
	v_mul_f32_e64 v4, v0, -v11
	v_mul_f32_e32 v5, v10, v0
	v_mul_f32_e64 v6, v1, -v11
	v_mul_f32_e32 v7, v10, v1
	;; [unrolled: 2-line block ×4, first 2 shown]
	v_lshlrev_b64 v[12:13], 5, v[12:13]
	s_and_b64 s[0:1], vcc, s[0:1]
	v_fmac_f32_e32 v4, v10, v23
	v_fmac_f32_e32 v5, v11, v23
	;; [unrolled: 1-line block ×8, first 2 shown]
	s_and_saveexec_b64 s[4:5], s[0:1]
	s_xor_b64 s[0:1], exec, s[4:5]
	s_cbranch_execz .LBB54_40
; %bb.39:
	s_waitcnt lgkmcnt(0)
	v_mov_b32_e32 v9, s3
	v_add_co_u32_e32 v8, vcc, s2, v12
	v_addc_co_u32_e32 v9, vcc, v9, v13, vcc
	global_store_dwordx4 v[8:9], v[4:7], off
	global_store_dwordx4 v[8:9], v[0:3], off offset:16
                                        ; implicit-def: $vgpr8_vgpr9
                                        ; implicit-def: $vgpr4
                                        ; implicit-def: $vgpr12_vgpr13
                                        ; implicit-def: $vgpr0
.LBB54_40:
	s_andn2_saveexec_b64 s[0:1], s[0:1]
	s_cbranch_execz .LBB54_8
; %bb.41:
	s_waitcnt lgkmcnt(0)
	v_mov_b32_e32 v10, s3
	v_add_co_u32_e32 v18, vcc, s2, v12
	v_addc_co_u32_e32 v19, vcc, v10, v13, vcc
	global_load_dwordx4 v[10:13], v[18:19], off
	global_load_dwordx4 v[14:17], v[18:19], off offset:16
	s_waitcnt vmcnt(1)
	v_fmac_f32_e32 v4, v8, v10
	v_fmac_f32_e32 v5, v9, v10
	;; [unrolled: 1-line block ×4, first 2 shown]
	s_waitcnt vmcnt(0)
	v_fmac_f32_e32 v0, v8, v14
	v_fmac_f32_e32 v1, v9, v14
	;; [unrolled: 1-line block ×4, first 2 shown]
	v_fma_f32 v4, -v9, v11, v4
	v_fmac_f32_e32 v5, v8, v11
	v_fma_f32 v6, -v9, v13, v6
	v_fmac_f32_e32 v7, v8, v13
	;; [unrolled: 2-line block ×4, first 2 shown]
	global_store_dwordx4 v[18:19], v[4:7], off
	global_store_dwordx4 v[18:19], v[0:3], off offset:16
	s_endpgm
	.section	.rodata,"a",@progbits
	.p2align	6, 0x0
	.amdhsa_kernel _ZN9rocsparseL18bsrxmvn_4x4_kernelILj128ELj64E21rocsparse_complex_numIfEllS2_S2_S2_EEvT3_20rocsparse_direction_NS_24const_host_device_scalarIT1_EES3_PKS3_PKT2_SC_S9_PKT4_PKT5_S7_PT6_21rocsparse_index_base_b
		.amdhsa_group_segment_fixed_size 0
		.amdhsa_private_segment_fixed_size 0
		.amdhsa_kernarg_size 104
		.amdhsa_user_sgpr_count 6
		.amdhsa_user_sgpr_private_segment_buffer 1
		.amdhsa_user_sgpr_dispatch_ptr 0
		.amdhsa_user_sgpr_queue_ptr 0
		.amdhsa_user_sgpr_kernarg_segment_ptr 1
		.amdhsa_user_sgpr_dispatch_id 0
		.amdhsa_user_sgpr_flat_scratch_init 0
		.amdhsa_user_sgpr_private_segment_size 0
		.amdhsa_uses_dynamic_stack 0
		.amdhsa_system_sgpr_private_segment_wavefront_offset 0
		.amdhsa_system_sgpr_workgroup_id_x 1
		.amdhsa_system_sgpr_workgroup_id_y 0
		.amdhsa_system_sgpr_workgroup_id_z 0
		.amdhsa_system_sgpr_workgroup_info 0
		.amdhsa_system_vgpr_workitem_id 0
		.amdhsa_next_free_vgpr 63
		.amdhsa_next_free_sgpr 19
		.amdhsa_reserve_vcc 1
		.amdhsa_reserve_flat_scratch 0
		.amdhsa_float_round_mode_32 0
		.amdhsa_float_round_mode_16_64 0
		.amdhsa_float_denorm_mode_32 3
		.amdhsa_float_denorm_mode_16_64 3
		.amdhsa_dx10_clamp 1
		.amdhsa_ieee_mode 1
		.amdhsa_fp16_overflow 0
		.amdhsa_exception_fp_ieee_invalid_op 0
		.amdhsa_exception_fp_denorm_src 0
		.amdhsa_exception_fp_ieee_div_zero 0
		.amdhsa_exception_fp_ieee_overflow 0
		.amdhsa_exception_fp_ieee_underflow 0
		.amdhsa_exception_fp_ieee_inexact 0
		.amdhsa_exception_int_div_zero 0
	.end_amdhsa_kernel
	.section	.text._ZN9rocsparseL18bsrxmvn_4x4_kernelILj128ELj64E21rocsparse_complex_numIfEllS2_S2_S2_EEvT3_20rocsparse_direction_NS_24const_host_device_scalarIT1_EES3_PKS3_PKT2_SC_S9_PKT4_PKT5_S7_PT6_21rocsparse_index_base_b,"axG",@progbits,_ZN9rocsparseL18bsrxmvn_4x4_kernelILj128ELj64E21rocsparse_complex_numIfEllS2_S2_S2_EEvT3_20rocsparse_direction_NS_24const_host_device_scalarIT1_EES3_PKS3_PKT2_SC_S9_PKT4_PKT5_S7_PT6_21rocsparse_index_base_b,comdat
.Lfunc_end54:
	.size	_ZN9rocsparseL18bsrxmvn_4x4_kernelILj128ELj64E21rocsparse_complex_numIfEllS2_S2_S2_EEvT3_20rocsparse_direction_NS_24const_host_device_scalarIT1_EES3_PKS3_PKT2_SC_S9_PKT4_PKT5_S7_PT6_21rocsparse_index_base_b, .Lfunc_end54-_ZN9rocsparseL18bsrxmvn_4x4_kernelILj128ELj64E21rocsparse_complex_numIfEllS2_S2_S2_EEvT3_20rocsparse_direction_NS_24const_host_device_scalarIT1_EES3_PKS3_PKT2_SC_S9_PKT4_PKT5_S7_PT6_21rocsparse_index_base_b
                                        ; -- End function
	.set _ZN9rocsparseL18bsrxmvn_4x4_kernelILj128ELj64E21rocsparse_complex_numIfEllS2_S2_S2_EEvT3_20rocsparse_direction_NS_24const_host_device_scalarIT1_EES3_PKS3_PKT2_SC_S9_PKT4_PKT5_S7_PT6_21rocsparse_index_base_b.num_vgpr, 63
	.set _ZN9rocsparseL18bsrxmvn_4x4_kernelILj128ELj64E21rocsparse_complex_numIfEllS2_S2_S2_EEvT3_20rocsparse_direction_NS_24const_host_device_scalarIT1_EES3_PKS3_PKT2_SC_S9_PKT4_PKT5_S7_PT6_21rocsparse_index_base_b.num_agpr, 0
	.set _ZN9rocsparseL18bsrxmvn_4x4_kernelILj128ELj64E21rocsparse_complex_numIfEllS2_S2_S2_EEvT3_20rocsparse_direction_NS_24const_host_device_scalarIT1_EES3_PKS3_PKT2_SC_S9_PKT4_PKT5_S7_PT6_21rocsparse_index_base_b.numbered_sgpr, 19
	.set _ZN9rocsparseL18bsrxmvn_4x4_kernelILj128ELj64E21rocsparse_complex_numIfEllS2_S2_S2_EEvT3_20rocsparse_direction_NS_24const_host_device_scalarIT1_EES3_PKS3_PKT2_SC_S9_PKT4_PKT5_S7_PT6_21rocsparse_index_base_b.num_named_barrier, 0
	.set _ZN9rocsparseL18bsrxmvn_4x4_kernelILj128ELj64E21rocsparse_complex_numIfEllS2_S2_S2_EEvT3_20rocsparse_direction_NS_24const_host_device_scalarIT1_EES3_PKS3_PKT2_SC_S9_PKT4_PKT5_S7_PT6_21rocsparse_index_base_b.private_seg_size, 0
	.set _ZN9rocsparseL18bsrxmvn_4x4_kernelILj128ELj64E21rocsparse_complex_numIfEllS2_S2_S2_EEvT3_20rocsparse_direction_NS_24const_host_device_scalarIT1_EES3_PKS3_PKT2_SC_S9_PKT4_PKT5_S7_PT6_21rocsparse_index_base_b.uses_vcc, 1
	.set _ZN9rocsparseL18bsrxmvn_4x4_kernelILj128ELj64E21rocsparse_complex_numIfEllS2_S2_S2_EEvT3_20rocsparse_direction_NS_24const_host_device_scalarIT1_EES3_PKS3_PKT2_SC_S9_PKT4_PKT5_S7_PT6_21rocsparse_index_base_b.uses_flat_scratch, 0
	.set _ZN9rocsparseL18bsrxmvn_4x4_kernelILj128ELj64E21rocsparse_complex_numIfEllS2_S2_S2_EEvT3_20rocsparse_direction_NS_24const_host_device_scalarIT1_EES3_PKS3_PKT2_SC_S9_PKT4_PKT5_S7_PT6_21rocsparse_index_base_b.has_dyn_sized_stack, 0
	.set _ZN9rocsparseL18bsrxmvn_4x4_kernelILj128ELj64E21rocsparse_complex_numIfEllS2_S2_S2_EEvT3_20rocsparse_direction_NS_24const_host_device_scalarIT1_EES3_PKS3_PKT2_SC_S9_PKT4_PKT5_S7_PT6_21rocsparse_index_base_b.has_recursion, 0
	.set _ZN9rocsparseL18bsrxmvn_4x4_kernelILj128ELj64E21rocsparse_complex_numIfEllS2_S2_S2_EEvT3_20rocsparse_direction_NS_24const_host_device_scalarIT1_EES3_PKS3_PKT2_SC_S9_PKT4_PKT5_S7_PT6_21rocsparse_index_base_b.has_indirect_call, 0
	.section	.AMDGPU.csdata,"",@progbits
; Kernel info:
; codeLenInByte = 6916
; TotalNumSgprs: 23
; NumVgprs: 63
; ScratchSize: 0
; MemoryBound: 0
; FloatMode: 240
; IeeeMode: 1
; LDSByteSize: 0 bytes/workgroup (compile time only)
; SGPRBlocks: 2
; VGPRBlocks: 15
; NumSGPRsForWavesPerEU: 23
; NumVGPRsForWavesPerEU: 63
; Occupancy: 4
; WaveLimiterHint : 1
; COMPUTE_PGM_RSRC2:SCRATCH_EN: 0
; COMPUTE_PGM_RSRC2:USER_SGPR: 6
; COMPUTE_PGM_RSRC2:TRAP_HANDLER: 0
; COMPUTE_PGM_RSRC2:TGID_X_EN: 1
; COMPUTE_PGM_RSRC2:TGID_Y_EN: 0
; COMPUTE_PGM_RSRC2:TGID_Z_EN: 0
; COMPUTE_PGM_RSRC2:TIDIG_COMP_CNT: 0
	.section	.text._ZN9rocsparseL18bsrxmvn_4x4_kernelILj128ELj4E21rocsparse_complex_numIdEllS2_S2_S2_EEvT3_20rocsparse_direction_NS_24const_host_device_scalarIT1_EES3_PKS3_PKT2_SC_S9_PKT4_PKT5_S7_PT6_21rocsparse_index_base_b,"axG",@progbits,_ZN9rocsparseL18bsrxmvn_4x4_kernelILj128ELj4E21rocsparse_complex_numIdEllS2_S2_S2_EEvT3_20rocsparse_direction_NS_24const_host_device_scalarIT1_EES3_PKS3_PKT2_SC_S9_PKT4_PKT5_S7_PT6_21rocsparse_index_base_b,comdat
	.globl	_ZN9rocsparseL18bsrxmvn_4x4_kernelILj128ELj4E21rocsparse_complex_numIdEllS2_S2_S2_EEvT3_20rocsparse_direction_NS_24const_host_device_scalarIT1_EES3_PKS3_PKT2_SC_S9_PKT4_PKT5_S7_PT6_21rocsparse_index_base_b ; -- Begin function _ZN9rocsparseL18bsrxmvn_4x4_kernelILj128ELj4E21rocsparse_complex_numIdEllS2_S2_S2_EEvT3_20rocsparse_direction_NS_24const_host_device_scalarIT1_EES3_PKS3_PKT2_SC_S9_PKT4_PKT5_S7_PT6_21rocsparse_index_base_b
	.p2align	8
	.type	_ZN9rocsparseL18bsrxmvn_4x4_kernelILj128ELj4E21rocsparse_complex_numIdEllS2_S2_S2_EEvT3_20rocsparse_direction_NS_24const_host_device_scalarIT1_EES3_PKS3_PKT2_SC_S9_PKT4_PKT5_S7_PT6_21rocsparse_index_base_b,@function
_ZN9rocsparseL18bsrxmvn_4x4_kernelILj128ELj4E21rocsparse_complex_numIdEllS2_S2_S2_EEvT3_20rocsparse_direction_NS_24const_host_device_scalarIT1_EES3_PKS3_PKT2_SC_S9_PKT4_PKT5_S7_PT6_21rocsparse_index_base_b: ; @_ZN9rocsparseL18bsrxmvn_4x4_kernelILj128ELj4E21rocsparse_complex_numIdEllS2_S2_S2_EEvT3_20rocsparse_direction_NS_24const_host_device_scalarIT1_EES3_PKS3_PKT2_SC_S9_PKT4_PKT5_S7_PT6_21rocsparse_index_base_b
; %bb.0:
	s_load_dwordx2 s[0:1], s[4:5], 0x10
	s_load_dwordx2 s[2:3], s[4:5], 0x70
	s_add_u32 s7, s4, 16
	s_addc_u32 s10, s5, 0
	s_add_u32 s11, s4, 0x58
	s_addc_u32 s12, s5, 0
	s_waitcnt lgkmcnt(0)
	s_bitcmp1_b32 s3, 0
	s_cselect_b32 s1, s10, s1
	s_cselect_b32 s0, s7, s0
	v_mov_b32_e32 v1, s0
	v_mov_b32_e32 v2, s1
	flat_load_dwordx4 v[5:8], v[1:2]
	s_load_dwordx2 s[8:9], s[4:5], 0x58
	s_waitcnt lgkmcnt(0)
	s_cselect_b32 s0, s12, s9
	s_cselect_b32 s1, s11, s8
	v_mov_b32_e32 v1, s1
	v_mov_b32_e32 v2, s0
	flat_load_dwordx4 v[1:4], v[1:2]
	s_waitcnt vmcnt(0)
	v_cmp_eq_f64_e32 vcc, 0, v[5:6]
	v_cmp_eq_f64_e64 s[0:1], 0, v[7:8]
	s_and_b64 s[10:11], vcc, s[0:1]
	s_mov_b64 s[0:1], -1
	s_and_saveexec_b64 s[8:9], s[10:11]
	s_cbranch_execz .LBB55_2
; %bb.1:
	s_waitcnt lgkmcnt(0)
	v_cmp_neq_f64_e32 vcc, 1.0, v[1:2]
	v_cmp_neq_f64_e64 s[0:1], 0, v[3:4]
	s_or_b64 s[0:1], vcc, s[0:1]
	s_orn2_b64 s[0:1], s[0:1], exec
.LBB55_2:
	s_or_b64 exec, exec, s[8:9]
	s_and_saveexec_b64 s[8:9], s[0:1]
	s_cbranch_execz .LBB55_8
; %bb.3:
	s_load_dwordx2 s[8:9], s[4:5], 0x28
	v_lshrrev_b32_e32 v9, 2, v0
	v_lshl_or_b32 v11, s6, 5, v9
	v_mov_b32_e32 v12, 0
	s_mov_b64 s[0:1], 0
	s_waitcnt lgkmcnt(0)
	s_cmp_lg_u64 s[8:9], 0
	s_cbranch_scc0 .LBB55_9
; %bb.4:
	s_load_dwordx2 s[6:7], s[4:5], 0x20
                                        ; implicit-def: $vgpr21_vgpr22
                                        ; implicit-def: $vgpr9_vgpr10
	s_waitcnt lgkmcnt(0)
	v_cmp_gt_i64_e32 vcc, s[6:7], v[11:12]
	s_and_saveexec_b64 s[6:7], vcc
	s_xor_b64 s[6:7], exec, s[6:7]
	s_cbranch_execz .LBB55_6
; %bb.5:
	v_lshlrev_b64 v[9:10], 3, v[11:12]
	v_mov_b32_e32 v13, s9
	v_add_co_u32_e32 v9, vcc, s8, v9
	v_addc_co_u32_e32 v10, vcc, v13, v10, vcc
	global_load_dwordx2 v[9:10], v[9:10], off
	s_mov_b32 s3, 0
	s_mov_b64 s[0:1], exec
	s_waitcnt vmcnt(0)
	v_subrev_co_u32_e32 v21, vcc, s2, v9
	v_subbrev_co_u32_e32 v22, vcc, 0, v10, vcc
	v_mov_b32_e32 v10, s3
	v_mov_b32_e32 v9, s2
.LBB55_6:
	s_or_b64 exec, exec, s[6:7]
.LBB55_7:
	s_and_b64 exec, exec, s[0:1]
	s_cbranch_execnz .LBB55_13
.LBB55_8:
	s_endpgm
.LBB55_9:
                                        ; implicit-def: $vgpr21_vgpr22
                                        ; implicit-def: $vgpr9_vgpr10
	s_cbranch_execz .LBB55_7
; %bb.10:
	s_load_dwordx2 s[6:7], s[4:5], 0x0
	s_waitcnt lgkmcnt(0)
	v_cmp_gt_i64_e32 vcc, s[6:7], v[11:12]
	s_and_saveexec_b64 s[6:7], vcc
; %bb.11:
	s_mov_b32 s3, 0
	s_or_b64 s[0:1], s[0:1], exec
; %bb.12:
	s_or_b64 exec, exec, s[6:7]
	v_mov_b32_e32 v10, s3
	v_mov_b32_e32 v22, v12
	;; [unrolled: 1-line block ×4, first 2 shown]
	s_and_b64 exec, exec, s[0:1]
	s_cbranch_execz .LBB55_8
.LBB55_13:
	s_load_dwordx8 s[8:15], s[4:5], 0x30
	v_lshlrev_b64 v[11:12], 3, v[21:22]
	v_and_b32_e32 v0, 3, v0
	s_waitcnt lgkmcnt(0)
	v_mov_b32_e32 v14, s9
	v_add_co_u32_e32 v13, vcc, s8, v11
	v_addc_co_u32_e32 v14, vcc, v14, v12, vcc
	global_load_dwordx2 v[17:18], v[13:14], off
	v_add_co_u32_e32 v13, vcc, 8, v13
	v_addc_co_u32_e32 v14, vcc, 0, v14, vcc
	v_mov_b32_e32 v15, s11
	v_add_co_u32_e32 v11, vcc, s10, v11
	s_cmp_eq_u64 s[10:11], 0
	v_addc_co_u32_e32 v12, vcc, v15, v12, vcc
	s_cselect_b64 vcc, -1, 0
	v_cndmask_b32_e32 v12, v12, v14, vcc
	v_cndmask_b32_e32 v11, v11, v13, vcc
	global_load_dwordx2 v[13:14], v[11:12], off
	s_load_dword s0, s[4:5], 0x8
	s_load_dwordx2 s[10:11], s[4:5], 0x50
	v_mov_b32_e32 v19, s15
	s_waitcnt lgkmcnt(0)
	s_cmp_eq_u32 s0, 1
	s_waitcnt vmcnt(1)
	v_sub_co_u32_e32 v11, vcc, v17, v9
	v_subb_co_u32_e32 v12, vcc, v18, v10, vcc
	v_add_co_u32_e32 v11, vcc, v11, v0
	v_addc_co_u32_e32 v12, vcc, 0, v12, vcc
	v_lshlrev_b64 v[15:16], 8, v[11:12]
	s_waitcnt vmcnt(0)
	v_sub_co_u32_e32 v13, vcc, v13, v9
	v_subb_co_u32_e32 v14, vcc, v14, v10, vcc
	v_cmp_lt_i64_e64 s[0:1], v[11:12], v[13:14]
	v_add_co_u32_e32 v15, vcc, s14, v15
	v_addc_co_u32_e32 v16, vcc, v19, v16, vcc
	s_cbranch_scc1 .LBB55_25
; %bb.14:
	v_mov_b32_e32 v31, 0
	v_mov_b32_e32 v35, 0
	;; [unrolled: 1-line block ×16, first 2 shown]
	s_and_saveexec_b64 s[14:15], s[0:1]
	s_cbranch_execz .LBB55_24
; %bb.15:
	v_or_b32_e32 v19, 4, v0
	v_sub_co_u32_e32 v19, vcc, v19, v9
	v_subb_co_u32_e32 v20, vcc, 0, v10, vcc
	v_add_co_u32_e32 v19, vcc, v19, v17
	v_addc_co_u32_e32 v20, vcc, v20, v18, vcc
	v_cmp_gt_i64_e32 vcc, v[19:20], v[13:14]
	v_not_b32_e32 v24, v17
	v_cndmask_b32_e32 v20, v14, v20, vcc
	v_cndmask_b32_e32 v19, v13, v19, vcc
	v_sub_co_u32_e32 v25, vcc, v9, v0
	v_subbrev_co_u32_e32 v26, vcc, 0, v10, vcc
	v_not_b32_e32 v23, v18
	v_add_co_u32_e32 v24, vcc, v25, v24
	v_addc_co_u32_e32 v23, vcc, v26, v23, vcc
	v_add_co_u32_e32 v25, vcc, v24, v19
	v_addc_co_u32_e32 v26, vcc, v23, v20, vcc
	v_and_b32_e32 v19, 12, v25
	v_mov_b32_e32 v20, 0
	v_cmp_ne_u64_e32 vcc, 12, v[19:20]
	v_mov_b32_e32 v33, 0
	v_mov_b32_e32 v41, 0
	;; [unrolled: 1-line block ×20, first 2 shown]
	s_and_saveexec_b64 s[16:17], vcc
	s_cbranch_execz .LBB55_19
; %bb.16:
	v_lshrrev_b32_e32 v19, 2, v25
	v_add_u32_e32 v19, 1, v19
	v_and_b32_e32 v23, 3, v19
	v_lshlrev_b64 v[19:20], 3, v[11:12]
	v_mov_b32_e32 v24, s13
	v_add_co_u32_e32 v43, vcc, s12, v19
	v_addc_co_u32_e32 v44, vcc, v24, v20, vcc
	v_sub_co_u32_e32 v45, vcc, 0, v23
	v_mov_b32_e32 v31, 0
	v_mov_b32_e32 v20, v12
	;; [unrolled: 1-line block ×10, first 2 shown]
	s_mov_b64 s[18:19], 0
	v_subb_co_u32_e64 v46, s[2:3], 0, 0, vcc
	v_mov_b32_e32 v32, 0
	s_movk_i32 s20, 0x400
	v_mov_b32_e32 v19, v11
	v_mov_b32_e32 v36, 0
	;; [unrolled: 1-line block ×9, first 2 shown]
.LBB55_17:                              ; =>This Inner Loop Header: Depth=1
	global_load_dwordx2 v[67:68], v[43:44], off
	global_load_dwordx4 v[47:50], v[23:24], off
	v_mov_b32_e32 v69, s11
	global_load_dwordx4 v[51:54], v[23:24], off offset:64
	global_load_dwordx4 v[55:58], v[23:24], off offset:128
	;; [unrolled: 1-line block ×4, first 2 shown]
	v_add_co_u32_e64 v19, s[2:3], 4, v19
	v_add_co_u32_e64 v43, s[6:7], 32, v43
	;; [unrolled: 1-line block ×3, first 2 shown]
	v_addc_co_u32_e64 v20, s[2:3], 0, v20, s[2:3]
	v_addc_co_u32_e64 v44, s[2:3], 0, v44, s[6:7]
	;; [unrolled: 1-line block ×3, first 2 shown]
	v_cmp_eq_u64_e64 s[2:3], 0, v[45:46]
	s_or_b64 s[18:19], s[2:3], s[18:19]
	s_waitcnt vmcnt(5)
	v_sub_co_u32_e32 v67, vcc, v67, v9
	v_subb_co_u32_e32 v68, vcc, v68, v10, vcc
	v_lshlrev_b64 v[67:68], 6, v[67:68]
	v_add_co_u32_e32 v71, vcc, s10, v67
	v_addc_co_u32_e32 v72, vcc, v69, v68, vcc
	global_load_dwordx4 v[67:70], v[71:72], off
	s_waitcnt vmcnt(0)
	v_fma_f64 v[35:36], v[47:48], v[67:68], v[35:36]
	v_fma_f64 v[31:32], v[49:50], v[67:68], v[31:32]
	;; [unrolled: 1-line block ×6, first 2 shown]
	v_fma_f64 v[73:74], -v[49:50], v[69:70], v[35:36]
	v_fma_f64 v[75:76], v[47:48], v[69:70], v[31:32]
	v_fma_f64 v[31:32], v[51:52], v[67:68], v[41:42]
	;; [unrolled: 1-line block ×3, first 2 shown]
	global_load_dwordx4 v[47:50], v[23:24], off offset:80
	v_fma_f64 v[79:80], v[51:52], v[69:70], v[33:34]
	v_fma_f64 v[57:58], -v[57:58], v[69:70], v[29:30]
	v_fma_f64 v[55:56], v[55:56], v[69:70], v[27:28]
	global_load_dwordx4 v[27:30], v[23:24], off offset:208
	v_fma_f64 v[59:60], v[59:60], v[69:70], v[37:38]
	v_fma_f64 v[77:78], -v[53:54], v[69:70], v[31:32]
	global_load_dwordx4 v[31:34], v[23:24], off offset:144
	v_fma_f64 v[61:62], -v[61:62], v[69:70], v[35:36]
	global_load_dwordx4 v[35:38], v[23:24], off offset:32
	global_load_dwordx4 v[39:42], v[71:72], off offset:16
	s_waitcnt vmcnt(0)
	v_fma_f64 v[55:56], v[33:34], v[39:40], v[55:56]
	v_fma_f64 v[51:52], v[63:64], v[39:40], v[73:74]
	;; [unrolled: 1-line block ×9, first 2 shown]
	v_fma_f64 v[65:66], -v[65:66], v[41:42], v[51:52]
	v_fma_f64 v[63:64], v[63:64], v[41:42], v[53:54]
	global_load_dwordx4 v[51:54], v[23:24], off offset:96
	v_fma_f64 v[67:68], -v[49:50], v[41:42], v[67:68]
	v_fma_f64 v[69:70], v[47:48], v[41:42], v[69:70]
	global_load_dwordx4 v[47:50], v[23:24], off offset:160
	v_fma_f64 v[73:74], -v[33:34], v[41:42], v[57:58]
	global_load_dwordx4 v[31:34], v[23:24], off offset:224
	v_fma_f64 v[59:60], -v[29:30], v[41:42], v[55:56]
	v_fma_f64 v[61:62], v[27:28], v[41:42], v[39:40]
	global_load_dwordx4 v[27:30], v[23:24], off offset:48
	global_load_dwordx4 v[39:42], v[71:72], off offset:32
	s_waitcnt vmcnt(0)
	v_fma_f64 v[55:56], v[35:36], v[39:40], v[65:66]
	v_fma_f64 v[57:58], v[37:38], v[39:40], v[63:64]
	v_fma_f64 v[63:64], -v[37:38], v[41:42], v[55:56]
	v_fma_f64 v[65:66], v[35:36], v[41:42], v[57:58]
	v_fma_f64 v[35:36], v[51:52], v[39:40], v[67:68]
	v_fma_f64 v[37:38], v[53:54], v[39:40], v[69:70]
	global_load_dwordx4 v[55:58], v[23:24], off offset:112
	v_fma_f64 v[67:68], -v[53:54], v[41:42], v[35:36]
	v_fma_f64 v[69:70], v[51:52], v[41:42], v[37:38]
	v_fma_f64 v[35:36], v[47:48], v[39:40], v[73:74]
	v_fma_f64 v[37:38], v[49:50], v[39:40], v[75:76]
	global_load_dwordx4 v[51:54], v[23:24], off offset:176
	;; [unrolled: 5-line block ×3, first 2 shown]
	v_add_co_u32_e32 v23, vcc, s20, v23
	v_addc_co_u32_e32 v24, vcc, 0, v24, vcc
	v_fma_f64 v[33:34], -v[33:34], v[41:42], v[35:36]
	v_fma_f64 v[31:32], v[31:32], v[41:42], v[37:38]
	global_load_dwordx4 v[35:38], v[71:72], off offset:48
	s_waitcnt vmcnt(0)
	v_fma_f64 v[39:40], v[27:28], v[35:36], v[63:64]
	v_fma_f64 v[41:42], v[29:30], v[35:36], v[65:66]
	;; [unrolled: 1-line block ×8, first 2 shown]
	v_fma_f64 v[35:36], -v[29:30], v[37:38], v[39:40]
	v_fma_f64 v[31:32], v[27:28], v[37:38], v[41:42]
	v_fma_f64 v[41:42], -v[57:58], v[37:38], v[59:60]
	v_fma_f64 v[33:34], v[55:56], v[37:38], v[61:62]
	;; [unrolled: 2-line block ×4, first 2 shown]
	s_andn2_b64 exec, exec, s[18:19]
	s_cbranch_execnz .LBB55_17
; %bb.18:
	s_or_b64 exec, exec, s[18:19]
.LBB55_19:
	s_or_b64 exec, exec, s[16:17]
	v_cmp_lt_u64_e32 vcc, 11, v[25:26]
	s_and_saveexec_b64 s[2:3], vcc
	s_cbranch_execz .LBB55_23
; %bb.20:
	v_lshlrev_b64 v[25:26], 3, v[19:20]
	v_mov_b32_e32 v43, s13
	v_add_co_u32_e32 v25, vcc, s12, v25
	v_addc_co_u32_e32 v26, vcc, v43, v26, vcc
	v_add_co_u32_e32 v25, vcc, 64, v25
	v_addc_co_u32_e32 v26, vcc, 0, v26, vcc
	s_mov_b64 s[6:7], 0
	v_mov_b32_e32 v43, s11
	s_movk_i32 s8, 0x1000
.LBB55_21:                              ; =>This Inner Loop Header: Depth=1
	global_load_dwordx2 v[44:45], v[25:26], off offset:-64
	s_waitcnt vmcnt(0)
	v_sub_co_u32_e32 v60, vcc, v44, v9
	v_subb_co_u32_e32 v61, vcc, v45, v10, vcc
	v_lshlrev_b64 v[60:61], 6, v[60:61]
	global_load_dwordx4 v[44:47], v[23:24], off offset:48
	global_load_dwordx4 v[48:51], v[23:24], off offset:32
	;; [unrolled: 1-line block ×3, first 2 shown]
	global_load_dwordx4 v[56:59], v[23:24], off
	v_add_co_u32_e32 v76, vcc, s10, v60
	v_addc_co_u32_e32 v77, vcc, v43, v61, vcc
	global_load_dwordx4 v[60:63], v[76:77], off offset:48
	global_load_dwordx4 v[64:67], v[76:77], off offset:32
	global_load_dwordx4 v[68:71], v[76:77], off offset:16
	global_load_dwordx4 v[72:75], v[76:77], off
	s_waitcnt vmcnt(0)
	v_fma_f64 v[35:36], v[56:57], v[72:73], v[35:36]
	v_fma_f64 v[31:32], v[58:59], v[72:73], v[31:32]
	v_fma_f64 v[35:36], -v[58:59], v[74:75], v[35:36]
	v_fma_f64 v[31:32], v[56:57], v[74:75], v[31:32]
	v_fma_f64 v[35:36], v[52:53], v[68:69], v[35:36]
	v_fma_f64 v[31:32], v[54:55], v[68:69], v[31:32]
	v_fma_f64 v[35:36], -v[54:55], v[70:71], v[35:36]
	v_fma_f64 v[31:32], v[52:53], v[70:71], v[31:32]
	;; [unrolled: 4-line block ×4, first 2 shown]
	global_load_dwordx4 v[44:47], v[23:24], off offset:112
	global_load_dwordx4 v[48:51], v[23:24], off offset:96
	;; [unrolled: 1-line block ×4, first 2 shown]
	s_waitcnt vmcnt(0)
	v_fma_f64 v[31:32], v[56:57], v[72:73], v[41:42]
	v_fma_f64 v[33:34], v[58:59], v[72:73], v[33:34]
	v_fma_f64 v[31:32], -v[58:59], v[74:75], v[31:32]
	v_fma_f64 v[33:34], v[56:57], v[74:75], v[33:34]
	v_fma_f64 v[31:32], v[52:53], v[68:69], v[31:32]
	v_fma_f64 v[33:34], v[54:55], v[68:69], v[33:34]
	v_fma_f64 v[31:32], -v[54:55], v[70:71], v[31:32]
	v_fma_f64 v[33:34], v[52:53], v[70:71], v[33:34]
	;; [unrolled: 4-line block ×3, first 2 shown]
	v_fma_f64 v[31:32], v[44:45], v[60:61], v[31:32]
	v_fma_f64 v[80:81], -v[46:47], v[62:63], v[31:32]
	v_fma_f64 v[31:32], v[46:47], v[60:61], v[33:34]
	v_fma_f64 v[82:83], v[44:45], v[62:63], v[31:32]
	global_load_dwordx4 v[31:34], v[23:24], off offset:176
	global_load_dwordx4 v[44:47], v[23:24], off offset:160
	;; [unrolled: 1-line block ×4, first 2 shown]
	s_waitcnt vmcnt(0)
	v_fma_f64 v[29:30], v[52:53], v[72:73], v[29:30]
	v_fma_f64 v[27:28], v[54:55], v[72:73], v[27:28]
	v_fma_f64 v[29:30], -v[54:55], v[74:75], v[29:30]
	v_fma_f64 v[27:28], v[52:53], v[74:75], v[27:28]
	v_fma_f64 v[29:30], v[48:49], v[68:69], v[29:30]
	v_fma_f64 v[27:28], v[50:51], v[68:69], v[27:28]
	v_fma_f64 v[29:30], -v[50:51], v[70:71], v[29:30]
	v_fma_f64 v[27:28], v[48:49], v[70:71], v[27:28]
	;; [unrolled: 4-line block ×4, first 2 shown]
	global_load_dwordx4 v[27:30], v[23:24], off offset:240
	global_load_dwordx4 v[31:34], v[23:24], off offset:224
	;; [unrolled: 1-line block ×4, first 2 shown]
	s_waitcnt vmcnt(0)
	v_fma_f64 v[35:36], v[48:49], v[72:73], v[39:40]
	v_fma_f64 v[37:38], v[50:51], v[72:73], v[37:38]
	v_fma_f64 v[35:36], -v[50:51], v[74:75], v[35:36]
	v_fma_f64 v[37:38], v[48:49], v[74:75], v[37:38]
	v_fma_f64 v[35:36], v[44:45], v[68:69], v[35:36]
	;; [unrolled: 1-line block ×3, first 2 shown]
	v_fma_f64 v[35:36], -v[46:47], v[70:71], v[35:36]
	v_fma_f64 v[37:38], v[44:45], v[70:71], v[37:38]
	v_fma_f64 v[35:36], v[31:32], v[64:65], v[35:36]
	v_fma_f64 v[35:36], -v[33:34], v[66:67], v[35:36]
	v_fma_f64 v[33:34], v[33:34], v[64:65], v[37:38]
	v_fma_f64 v[31:32], v[31:32], v[66:67], v[33:34]
	;; [unrolled: 1-line block ×3, first 2 shown]
	v_fma_f64 v[64:65], -v[29:30], v[62:63], v[33:34]
	v_fma_f64 v[29:30], v[29:30], v[60:61], v[31:32]
	v_fma_f64 v[60:61], v[27:28], v[62:63], v[29:30]
	global_load_dwordx2 v[27:28], v[25:26], off offset:-32
	s_waitcnt vmcnt(0)
	v_sub_co_u32_e32 v44, vcc, v27, v9
	v_subb_co_u32_e32 v45, vcc, v28, v10, vcc
	v_lshlrev_b64 v[44:45], 6, v[44:45]
	global_load_dwordx4 v[27:30], v[23:24], off offset:1072
	global_load_dwordx4 v[31:34], v[23:24], off offset:1056
	global_load_dwordx4 v[35:38], v[23:24], off offset:1040
	global_load_dwordx4 v[39:42], v[23:24], off offset:1024
	v_add_co_u32_e32 v62, vcc, s10, v44
	v_addc_co_u32_e32 v63, vcc, v43, v45, vcc
	global_load_dwordx4 v[44:47], v[62:63], off offset:48
	global_load_dwordx4 v[48:51], v[62:63], off offset:32
	;; [unrolled: 1-line block ×3, first 2 shown]
	global_load_dwordx4 v[56:59], v[62:63], off
	s_waitcnt vmcnt(0)
	v_fma_f64 v[62:63], v[39:40], v[56:57], v[76:77]
	v_fma_f64 v[62:63], -v[41:42], v[58:59], v[62:63]
	v_fma_f64 v[41:42], v[41:42], v[56:57], v[78:79]
	v_fma_f64 v[39:40], v[39:40], v[58:59], v[41:42]
	v_fma_f64 v[41:42], v[35:36], v[52:53], v[62:63]
	v_fma_f64 v[41:42], -v[37:38], v[54:55], v[41:42]
	v_fma_f64 v[37:38], v[37:38], v[52:53], v[39:40]
	v_fma_f64 v[35:36], v[35:36], v[54:55], v[37:38]
	v_fma_f64 v[37:38], v[31:32], v[48:49], v[41:42]
	v_fma_f64 v[37:38], -v[33:34], v[50:51], v[37:38]
	v_fma_f64 v[33:34], v[33:34], v[48:49], v[35:36]
	v_fma_f64 v[31:32], v[31:32], v[50:51], v[33:34]
	v_fma_f64 v[33:34], v[27:28], v[44:45], v[37:38]
	v_fma_f64 v[62:63], -v[29:30], v[46:47], v[33:34]
	v_fma_f64 v[29:30], v[29:30], v[44:45], v[31:32]
	v_fma_f64 v[66:67], v[27:28], v[46:47], v[29:30]
	global_load_dwordx4 v[27:30], v[23:24], off offset:1136
	global_load_dwordx4 v[31:34], v[23:24], off offset:1120
	global_load_dwordx4 v[35:38], v[23:24], off offset:1104
	global_load_dwordx4 v[39:42], v[23:24], off offset:1088
	s_waitcnt vmcnt(0)
	v_fma_f64 v[68:69], v[39:40], v[56:57], v[80:81]
	v_fma_f64 v[68:69], -v[41:42], v[58:59], v[68:69]
	v_fma_f64 v[41:42], v[41:42], v[56:57], v[82:83]
	v_fma_f64 v[39:40], v[39:40], v[58:59], v[41:42]
	v_fma_f64 v[41:42], v[35:36], v[52:53], v[68:69]
	v_fma_f64 v[41:42], -v[37:38], v[54:55], v[41:42]
	v_fma_f64 v[37:38], v[37:38], v[52:53], v[39:40]
	v_fma_f64 v[35:36], v[35:36], v[54:55], v[37:38]
	v_fma_f64 v[37:38], v[31:32], v[48:49], v[41:42]
	v_fma_f64 v[37:38], -v[33:34], v[50:51], v[37:38]
	v_fma_f64 v[33:34], v[33:34], v[48:49], v[35:36]
	v_fma_f64 v[31:32], v[31:32], v[50:51], v[33:34]
	v_fma_f64 v[33:34], v[27:28], v[44:45], v[37:38]
	v_fma_f64 v[68:69], -v[29:30], v[46:47], v[33:34]
	v_fma_f64 v[29:30], v[29:30], v[44:45], v[31:32]
	v_fma_f64 v[70:71], v[27:28], v[46:47], v[29:30]
	global_load_dwordx4 v[27:30], v[23:24], off offset:1200
	global_load_dwordx4 v[31:34], v[23:24], off offset:1184
	global_load_dwordx4 v[35:38], v[23:24], off offset:1168
	global_load_dwordx4 v[39:42], v[23:24], off offset:1152
	;; [unrolled: 21-line block ×3, first 2 shown]
	s_waitcnt vmcnt(0)
	v_fma_f64 v[64:65], v[39:40], v[56:57], v[64:65]
	v_fma_f64 v[64:65], -v[41:42], v[58:59], v[64:65]
	v_fma_f64 v[41:42], v[41:42], v[56:57], v[60:61]
	v_fma_f64 v[39:40], v[39:40], v[58:59], v[41:42]
	v_fma_f64 v[41:42], v[35:36], v[52:53], v[64:65]
	v_fma_f64 v[41:42], -v[37:38], v[54:55], v[41:42]
	v_fma_f64 v[37:38], v[37:38], v[52:53], v[39:40]
	v_fma_f64 v[35:36], v[35:36], v[54:55], v[37:38]
	;; [unrolled: 4-line block ×4, first 2 shown]
	global_load_dwordx2 v[27:28], v[25:26], off
	s_waitcnt vmcnt(0)
	v_sub_co_u32_e32 v44, vcc, v27, v9
	v_subb_co_u32_e32 v45, vcc, v28, v10, vcc
	v_lshlrev_b64 v[44:45], 6, v[44:45]
	global_load_dwordx4 v[27:30], v[23:24], off offset:2096
	global_load_dwordx4 v[31:34], v[23:24], off offset:2080
	;; [unrolled: 1-line block ×4, first 2 shown]
	v_add_co_u32_e32 v60, vcc, s10, v44
	v_addc_co_u32_e32 v61, vcc, v43, v45, vcc
	global_load_dwordx4 v[44:47], v[60:61], off offset:48
	global_load_dwordx4 v[48:51], v[60:61], off offset:32
	;; [unrolled: 1-line block ×3, first 2 shown]
	global_load_dwordx4 v[56:59], v[60:61], off
	s_waitcnt vmcnt(0)
	v_fma_f64 v[60:61], v[39:40], v[56:57], v[62:63]
	v_fma_f64 v[60:61], -v[41:42], v[58:59], v[60:61]
	v_fma_f64 v[41:42], v[41:42], v[56:57], v[66:67]
	v_fma_f64 v[39:40], v[39:40], v[58:59], v[41:42]
	v_fma_f64 v[41:42], v[35:36], v[52:53], v[60:61]
	v_fma_f64 v[41:42], -v[37:38], v[54:55], v[41:42]
	v_fma_f64 v[37:38], v[37:38], v[52:53], v[39:40]
	v_fma_f64 v[35:36], v[35:36], v[54:55], v[37:38]
	;; [unrolled: 4-line block ×4, first 2 shown]
	global_load_dwordx4 v[27:30], v[23:24], off offset:2160
	global_load_dwordx4 v[37:40], v[23:24], off offset:2144
	;; [unrolled: 1-line block ×4, first 2 shown]
	s_waitcnt vmcnt(0)
	v_fma_f64 v[33:34], v[64:65], v[56:57], v[68:69]
	v_fma_f64 v[41:42], v[66:67], v[56:57], v[70:71]
	v_fma_f64 v[33:34], -v[66:67], v[58:59], v[33:34]
	v_fma_f64 v[41:42], v[64:65], v[58:59], v[41:42]
	v_fma_f64 v[33:34], v[60:61], v[52:53], v[33:34]
	v_fma_f64 v[41:42], v[62:63], v[52:53], v[41:42]
	v_fma_f64 v[33:34], -v[62:63], v[54:55], v[33:34]
	v_fma_f64 v[41:42], v[60:61], v[54:55], v[41:42]
	v_fma_f64 v[33:34], v[37:38], v[48:49], v[33:34]
	v_fma_f64 v[33:34], -v[39:40], v[50:51], v[33:34]
	v_fma_f64 v[39:40], v[39:40], v[48:49], v[41:42]
	v_fma_f64 v[33:34], v[27:28], v[44:45], v[33:34]
	;; [unrolled: 1-line block ×3, first 2 shown]
	v_fma_f64 v[33:34], -v[29:30], v[46:47], v[33:34]
	v_fma_f64 v[29:30], v[29:30], v[44:45], v[37:38]
	v_fma_f64 v[41:42], v[27:28], v[46:47], v[29:30]
	global_load_dwordx4 v[37:40], v[23:24], off offset:2224
	global_load_dwordx4 v[27:30], v[23:24], off offset:2208
	;; [unrolled: 1-line block ×4, first 2 shown]
	s_waitcnt vmcnt(0)
	v_fma_f64 v[68:69], v[64:65], v[56:57], v[72:73]
	v_fma_f64 v[68:69], -v[66:67], v[58:59], v[68:69]
	v_fma_f64 v[66:67], v[66:67], v[56:57], v[74:75]
	v_fma_f64 v[64:65], v[64:65], v[58:59], v[66:67]
	v_fma_f64 v[66:67], v[60:61], v[52:53], v[68:69]
	v_fma_f64 v[66:67], -v[62:63], v[54:55], v[66:67]
	v_fma_f64 v[62:63], v[62:63], v[52:53], v[64:65]
	v_fma_f64 v[60:61], v[60:61], v[54:55], v[62:63]
	;; [unrolled: 4-line block ×3, first 2 shown]
	v_fma_f64 v[27:28], v[37:38], v[44:45], v[62:63]
	v_fma_f64 v[29:30], v[39:40], v[44:45], v[29:30]
	v_fma_f64 v[27:28], -v[39:40], v[46:47], v[27:28]
	v_fma_f64 v[29:30], v[37:38], v[46:47], v[29:30]
	global_load_dwordx4 v[60:63], v[23:24], off offset:2288
	global_load_dwordx4 v[37:40], v[23:24], off offset:2272
	;; [unrolled: 1-line block ×4, first 2 shown]
	s_waitcnt vmcnt(0)
	v_fma_f64 v[72:73], v[68:69], v[56:57], v[76:77]
	v_fma_f64 v[56:57], v[70:71], v[56:57], v[78:79]
	v_fma_f64 v[72:73], -v[70:71], v[58:59], v[72:73]
	v_fma_f64 v[56:57], v[68:69], v[58:59], v[56:57]
	v_fma_f64 v[58:59], v[64:65], v[52:53], v[72:73]
	;; [unrolled: 1-line block ×3, first 2 shown]
	v_fma_f64 v[58:59], -v[66:67], v[54:55], v[58:59]
	v_fma_f64 v[52:53], v[64:65], v[54:55], v[52:53]
	v_fma_f64 v[54:55], v[37:38], v[48:49], v[58:59]
	v_fma_f64 v[54:55], -v[39:40], v[50:51], v[54:55]
	v_fma_f64 v[39:40], v[39:40], v[48:49], v[52:53]
	v_fma_f64 v[37:38], v[37:38], v[50:51], v[39:40]
	;; [unrolled: 1-line block ×4, first 2 shown]
	global_load_dwordx2 v[44:45], v[25:26], off offset:32
	v_fma_f64 v[39:40], -v[62:63], v[46:47], v[39:40]
	v_fma_f64 v[37:38], v[60:61], v[46:47], v[37:38]
	s_waitcnt vmcnt(0)
	v_sub_co_u32_e32 v60, vcc, v44, v9
	v_subb_co_u32_e32 v61, vcc, v45, v10, vcc
	v_lshlrev_b64 v[60:61], 6, v[60:61]
	global_load_dwordx4 v[44:47], v[23:24], off offset:3120
	global_load_dwordx4 v[48:51], v[23:24], off offset:3104
	;; [unrolled: 1-line block ×4, first 2 shown]
	v_add_co_u32_e32 v76, vcc, s10, v60
	v_addc_co_u32_e32 v77, vcc, v43, v61, vcc
	global_load_dwordx4 v[60:63], v[76:77], off offset:48
	global_load_dwordx4 v[64:67], v[76:77], off offset:32
	;; [unrolled: 1-line block ×3, first 2 shown]
	global_load_dwordx4 v[72:75], v[76:77], off
	s_waitcnt vmcnt(0)
	v_fma_f64 v[31:32], v[56:57], v[72:73], v[31:32]
	v_fma_f64 v[35:36], v[58:59], v[72:73], v[35:36]
	v_fma_f64 v[31:32], -v[58:59], v[74:75], v[31:32]
	v_fma_f64 v[35:36], v[56:57], v[74:75], v[35:36]
	v_fma_f64 v[31:32], v[52:53], v[68:69], v[31:32]
	v_fma_f64 v[35:36], v[54:55], v[68:69], v[35:36]
	v_fma_f64 v[31:32], -v[54:55], v[70:71], v[31:32]
	v_fma_f64 v[35:36], v[52:53], v[70:71], v[35:36]
	v_fma_f64 v[31:32], v[48:49], v[64:65], v[31:32]
	v_fma_f64 v[35:36], v[50:51], v[64:65], v[35:36]
	v_fma_f64 v[31:32], -v[50:51], v[66:67], v[31:32]
	v_fma_f64 v[48:49], v[48:49], v[66:67], v[35:36]
	v_fma_f64 v[31:32], v[44:45], v[60:61], v[31:32]
	v_fma_f64 v[35:36], -v[46:47], v[62:63], v[31:32]
	v_fma_f64 v[31:32], v[46:47], v[60:61], v[48:49]
	v_fma_f64 v[31:32], v[44:45], v[62:63], v[31:32]
	global_load_dwordx4 v[44:47], v[23:24], off offset:3184
	global_load_dwordx4 v[48:51], v[23:24], off offset:3168
	global_load_dwordx4 v[52:55], v[23:24], off offset:3152
	global_load_dwordx4 v[56:59], v[23:24], off offset:3136
	s_waitcnt vmcnt(0)
	v_fma_f64 v[33:34], v[56:57], v[72:73], v[33:34]
	v_fma_f64 v[41:42], v[58:59], v[72:73], v[41:42]
	v_fma_f64 v[33:34], -v[58:59], v[74:75], v[33:34]
	v_fma_f64 v[41:42], v[56:57], v[74:75], v[41:42]
	v_fma_f64 v[33:34], v[52:53], v[68:69], v[33:34]
	v_fma_f64 v[41:42], v[54:55], v[68:69], v[41:42]
	v_fma_f64 v[33:34], -v[54:55], v[70:71], v[33:34]
	v_fma_f64 v[41:42], v[52:53], v[70:71], v[41:42]
	v_fma_f64 v[33:34], v[48:49], v[64:65], v[33:34]
	v_fma_f64 v[41:42], v[50:51], v[64:65], v[41:42]
	v_fma_f64 v[33:34], -v[50:51], v[66:67], v[33:34]
	v_fma_f64 v[48:49], v[48:49], v[66:67], v[41:42]
	v_fma_f64 v[33:34], v[44:45], v[60:61], v[33:34]
	v_fma_f64 v[41:42], -v[46:47], v[62:63], v[33:34]
	v_fma_f64 v[33:34], v[46:47], v[60:61], v[48:49]
	v_fma_f64 v[33:34], v[44:45], v[62:63], v[33:34]
	global_load_dwordx4 v[44:47], v[23:24], off offset:3248
	global_load_dwordx4 v[48:51], v[23:24], off offset:3232
	global_load_dwordx4 v[52:55], v[23:24], off offset:3216
	global_load_dwordx4 v[56:59], v[23:24], off offset:3200
	;; [unrolled: 21-line block ×3, first 2 shown]
	v_add_co_u32_e32 v23, vcc, s8, v23
	v_addc_co_u32_e32 v24, vcc, 0, v24, vcc
	v_add_co_u32_e32 v19, vcc, 16, v19
	v_addc_co_u32_e32 v20, vcc, 0, v20, vcc
	;; [unrolled: 2-line block ×3, first 2 shown]
	v_cmp_ge_i64_e32 vcc, v[19:20], v[13:14]
	s_or_b64 s[6:7], vcc, s[6:7]
	s_waitcnt vmcnt(0)
	v_fma_f64 v[39:40], v[56:57], v[72:73], v[39:40]
	v_fma_f64 v[37:38], v[58:59], v[72:73], v[37:38]
	v_fma_f64 v[39:40], -v[58:59], v[74:75], v[39:40]
	v_fma_f64 v[37:38], v[56:57], v[74:75], v[37:38]
	v_fma_f64 v[39:40], v[52:53], v[68:69], v[39:40]
	v_fma_f64 v[37:38], v[54:55], v[68:69], v[37:38]
	v_fma_f64 v[39:40], -v[54:55], v[70:71], v[39:40]
	v_fma_f64 v[37:38], v[52:53], v[70:71], v[37:38]
	;; [unrolled: 4-line block ×4, first 2 shown]
	s_andn2_b64 exec, exec, s[6:7]
	s_cbranch_execnz .LBB55_21
; %bb.22:
	s_or_b64 exec, exec, s[6:7]
.LBB55_23:
	s_or_b64 exec, exec, s[2:3]
.LBB55_24:
	s_or_b64 exec, exec, s[14:15]
	s_cbranch_execz .LBB55_26
	s_branch .LBB55_37
.LBB55_25:
                                        ; implicit-def: $vgpr31_vgpr32
                                        ; implicit-def: $vgpr35_vgpr36
                                        ; implicit-def: $vgpr39_vgpr40
                                        ; implicit-def: $vgpr37_vgpr38
                                        ; implicit-def: $vgpr29_vgpr30
                                        ; implicit-def: $vgpr27_vgpr28
                                        ; implicit-def: $vgpr41_vgpr42
                                        ; implicit-def: $vgpr33_vgpr34
.LBB55_26:
	v_mov_b32_e32 v31, 0
	v_mov_b32_e32 v35, 0
	;; [unrolled: 1-line block ×16, first 2 shown]
	s_and_saveexec_b64 s[2:3], s[0:1]
	s_cbranch_execz .LBB55_36
; %bb.27:
	v_or_b32_e32 v19, 4, v0
	v_sub_co_u32_e32 v19, vcc, v19, v9
	v_subb_co_u32_e32 v20, vcc, 0, v10, vcc
	v_add_co_u32_e32 v19, vcc, v19, v17
	v_addc_co_u32_e32 v20, vcc, v20, v18, vcc
	v_cmp_gt_i64_e32 vcc, v[19:20], v[13:14]
	v_not_b32_e32 v17, v17
	v_cndmask_b32_e32 v20, v14, v20, vcc
	v_cndmask_b32_e32 v19, v13, v19, vcc
	v_sub_co_u32_e32 v23, vcc, v9, v0
	v_subbrev_co_u32_e32 v24, vcc, 0, v10, vcc
	v_not_b32_e32 v18, v18
	v_add_co_u32_e32 v17, vcc, v23, v17
	v_addc_co_u32_e32 v18, vcc, v24, v18, vcc
	v_add_co_u32_e32 v17, vcc, v17, v19
	v_addc_co_u32_e32 v18, vcc, v18, v20, vcc
	v_and_b32_e32 v19, 12, v17
	v_mov_b32_e32 v20, 0
	v_cmp_ne_u64_e32 vcc, 12, v[19:20]
	v_mov_b32_e32 v33, 0
	v_mov_b32_e32 v41, 0
	;; [unrolled: 1-line block ×16, first 2 shown]
	s_and_saveexec_b64 s[0:1], vcc
	s_cbranch_execz .LBB55_31
; %bb.28:
	v_lshrrev_b32_e32 v19, 2, v17
	v_add_u32_e32 v19, 1, v19
	v_and_b32_e32 v23, 3, v19
	v_lshlrev_b64 v[19:20], 3, v[11:12]
	v_mov_b32_e32 v24, s13
	v_add_co_u32_e32 v19, vcc, s12, v19
	v_addc_co_u32_e32 v20, vcc, v24, v20, vcc
	v_sub_co_u32_e32 v23, vcc, 0, v23
	v_subb_co_u32_e64 v24, s[8:9], 0, 0, vcc
	v_mov_b32_e32 v31, 0
	v_mov_b32_e32 v35, 0
	;; [unrolled: 1-line block ×8, first 2 shown]
	s_mov_b64 s[6:7], 0
	v_mov_b32_e32 v32, 0
	v_mov_b32_e32 v36, 0
	;; [unrolled: 1-line block ×8, first 2 shown]
	s_movk_i32 s8, 0x400
.LBB55_29:                              ; =>This Inner Loop Header: Depth=1
	global_load_dwordx2 v[25:26], v[19:20], off
	v_mov_b32_e32 v59, s11
	global_load_dwordx4 v[43:46], v[15:16], off offset:48
	global_load_dwordx4 v[47:50], v[15:16], off offset:32
	;; [unrolled: 1-line block ×3, first 2 shown]
	global_load_dwordx4 v[55:58], v[15:16], off
	s_waitcnt vmcnt(4)
	v_sub_co_u32_e32 v25, vcc, v25, v9
	v_subb_co_u32_e32 v26, vcc, v26, v10, vcc
	v_lshlrev_b64 v[25:26], 6, v[25:26]
	v_add_co_u32_e32 v25, vcc, s10, v25
	v_addc_co_u32_e32 v26, vcc, v59, v26, vcc
	global_load_dwordx4 v[59:62], v[25:26], off offset:48
	global_load_dwordx4 v[63:66], v[25:26], off offset:32
	global_load_dwordx4 v[67:70], v[25:26], off offset:16
	global_load_dwordx4 v[71:74], v[25:26], off
	s_waitcnt vmcnt(0)
	v_fma_f64 v[25:26], v[55:56], v[71:72], v[35:36]
	v_fma_f64 v[75:76], -v[57:58], v[73:74], v[25:26]
	v_fma_f64 v[25:26], v[57:58], v[71:72], v[31:32]
	v_fma_f64 v[55:56], v[55:56], v[73:74], v[25:26]
	v_fma_f64 v[25:26], v[51:52], v[71:72], v[41:42]
	v_fma_f64 v[41:42], -v[53:54], v[73:74], v[25:26]
	v_fma_f64 v[25:26], v[53:54], v[71:72], v[33:34]
	v_fma_f64 v[51:52], v[51:52], v[73:74], v[25:26]
	v_fma_f64 v[25:26], v[47:48], v[71:72], v[29:30]
	v_fma_f64 v[53:54], -v[49:50], v[73:74], v[25:26]
	v_fma_f64 v[25:26], v[49:50], v[71:72], v[27:28]
	v_fma_f64 v[47:48], v[47:48], v[73:74], v[25:26]
	v_fma_f64 v[25:26], v[43:44], v[71:72], v[39:40]
	v_fma_f64 v[49:50], -v[45:46], v[73:74], v[25:26]
	v_fma_f64 v[25:26], v[45:46], v[71:72], v[37:38]
	v_fma_f64 v[43:44], v[43:44], v[73:74], v[25:26]
	global_load_dwordx4 v[25:28], v[15:16], off offset:112
	global_load_dwordx4 v[29:32], v[15:16], off offset:96
	global_load_dwordx4 v[33:36], v[15:16], off offset:80
	global_load_dwordx4 v[37:40], v[15:16], off offset:64
	s_waitcnt vmcnt(0)
	v_fma_f64 v[45:46], v[37:38], v[67:68], v[75:76]
	v_fma_f64 v[45:46], -v[39:40], v[69:70], v[45:46]
	v_fma_f64 v[39:40], v[39:40], v[67:68], v[55:56]
	v_fma_f64 v[55:56], v[37:38], v[69:70], v[39:40]
	v_fma_f64 v[37:38], v[33:34], v[67:68], v[41:42]
	v_fma_f64 v[41:42], -v[35:36], v[69:70], v[37:38]
	v_fma_f64 v[35:36], v[35:36], v[67:68], v[51:52]
	v_fma_f64 v[51:52], v[33:34], v[69:70], v[35:36]
	v_fma_f64 v[33:34], v[29:30], v[67:68], v[53:54]
	v_fma_f64 v[53:54], -v[31:32], v[69:70], v[33:34]
	v_fma_f64 v[31:32], v[31:32], v[67:68], v[47:48]
	v_fma_f64 v[47:48], v[29:30], v[69:70], v[31:32]
	v_fma_f64 v[29:30], v[25:26], v[67:68], v[49:50]
	v_fma_f64 v[49:50], -v[27:28], v[69:70], v[29:30]
	v_fma_f64 v[27:28], v[27:28], v[67:68], v[43:44]
	v_fma_f64 v[43:44], v[25:26], v[69:70], v[27:28]
	global_load_dwordx4 v[25:28], v[15:16], off offset:176
	global_load_dwordx4 v[29:32], v[15:16], off offset:160
	global_load_dwordx4 v[33:36], v[15:16], off offset:144
	global_load_dwordx4 v[37:40], v[15:16], off offset:128
	;; [unrolled: 21-line block ×3, first 2 shown]
	v_add_co_u32_e32 v15, vcc, s8, v15
	v_addc_co_u32_e32 v16, vcc, 0, v16, vcc
	v_add_co_u32_e32 v11, vcc, 4, v11
	v_addc_co_u32_e32 v12, vcc, 0, v12, vcc
	;; [unrolled: 2-line block ×4, first 2 shown]
	v_cmp_eq_u64_e32 vcc, 0, v[23:24]
	s_or_b64 s[6:7], vcc, s[6:7]
	s_waitcnt vmcnt(0)
	v_fma_f64 v[35:36], v[29:30], v[59:60], v[57:58]
	v_fma_f64 v[35:36], -v[31:32], v[61:62], v[35:36]
	v_fma_f64 v[31:32], v[31:32], v[59:60], v[55:56]
	v_fma_f64 v[31:32], v[29:30], v[61:62], v[31:32]
	v_fma_f64 v[29:30], v[37:38], v[59:60], v[41:42]
	v_fma_f64 v[41:42], -v[39:40], v[61:62], v[29:30]
	v_fma_f64 v[29:30], v[39:40], v[59:60], v[33:34]
	v_fma_f64 v[33:34], v[37:38], v[61:62], v[29:30]
	;; [unrolled: 4-line block ×4, first 2 shown]
	s_andn2_b64 exec, exec, s[6:7]
	s_cbranch_execnz .LBB55_29
; %bb.30:
	s_or_b64 exec, exec, s[6:7]
.LBB55_31:
	s_or_b64 exec, exec, s[0:1]
	v_cmp_lt_u64_e32 vcc, 11, v[17:18]
	s_and_saveexec_b64 s[0:1], vcc
	s_cbranch_execz .LBB55_35
; %bb.32:
	v_lshlrev_b64 v[17:18], 3, v[11:12]
	v_mov_b32_e32 v19, s13
	v_add_co_u32_e32 v17, vcc, s12, v17
	v_addc_co_u32_e32 v18, vcc, v19, v18, vcc
	v_add_co_u32_e32 v17, vcc, 64, v17
	v_addc_co_u32_e32 v18, vcc, 0, v18, vcc
	s_mov_b64 s[6:7], 0
	v_mov_b32_e32 v43, s11
	s_movk_i32 s8, 0x1000
.LBB55_33:                              ; =>This Inner Loop Header: Depth=1
	global_load_dwordx2 v[19:20], v[17:18], off offset:-64
	global_load_dwordx4 v[23:26], v[15:16], off offset:48
	global_load_dwordx4 v[44:47], v[15:16], off offset:32
	;; [unrolled: 1-line block ×3, first 2 shown]
	global_load_dwordx4 v[52:55], v[15:16], off
	s_waitcnt vmcnt(4)
	v_sub_co_u32_e32 v19, vcc, v19, v9
	v_subb_co_u32_e32 v20, vcc, v20, v10, vcc
	v_lshlrev_b64 v[19:20], 6, v[19:20]
	v_add_co_u32_e32 v19, vcc, s10, v19
	v_addc_co_u32_e32 v20, vcc, v43, v20, vcc
	global_load_dwordx4 v[56:59], v[19:20], off offset:48
	global_load_dwordx4 v[60:63], v[19:20], off offset:32
	;; [unrolled: 1-line block ×3, first 2 shown]
	global_load_dwordx4 v[68:71], v[19:20], off
	s_waitcnt vmcnt(0)
	v_fma_f64 v[31:32], v[54:55], v[68:69], v[31:32]
	v_fma_f64 v[27:28], v[46:47], v[68:69], v[27:28]
	;; [unrolled: 1-line block ×8, first 2 shown]
	v_fma_f64 v[19:20], -v[54:55], v[70:71], v[19:20]
	v_fma_f64 v[41:42], -v[50:51], v[70:71], v[31:32]
	v_fma_f64 v[31:32], v[50:51], v[68:69], v[33:34]
	v_fma_f64 v[39:40], -v[25:26], v[70:71], v[27:28]
	v_fma_f64 v[25:26], v[25:26], v[68:69], v[37:38]
	;; [unrolled: 2-line block ×3, first 2 shown]
	v_fma_f64 v[46:47], v[23:24], v[70:71], v[25:26]
	global_load_dwordx4 v[23:26], v[15:16], off offset:112
	global_load_dwordx4 v[27:30], v[15:16], off offset:96
	global_load_dwordx4 v[31:34], v[15:16], off offset:80
	global_load_dwordx4 v[35:38], v[15:16], off offset:64
	s_waitcnt vmcnt(0)
	v_fma_f64 v[19:20], v[35:36], v[64:65], v[19:20]
	v_fma_f64 v[19:20], -v[37:38], v[66:67], v[19:20]
	v_fma_f64 v[37:38], v[37:38], v[64:65], v[52:53]
	v_fma_f64 v[52:53], v[35:36], v[66:67], v[37:38]
	v_fma_f64 v[35:36], v[31:32], v[64:65], v[41:42]
	v_fma_f64 v[41:42], -v[33:34], v[66:67], v[35:36]
	v_fma_f64 v[33:34], v[33:34], v[64:65], v[48:49]
	v_fma_f64 v[48:49], v[31:32], v[66:67], v[33:34]
	v_fma_f64 v[31:32], v[27:28], v[64:65], v[50:51]
	v_fma_f64 v[50:51], -v[29:30], v[66:67], v[31:32]
	v_fma_f64 v[29:30], v[29:30], v[64:65], v[44:45]
	v_fma_f64 v[44:45], v[27:28], v[66:67], v[29:30]
	v_fma_f64 v[27:28], v[23:24], v[64:65], v[39:40]
	v_fma_f64 v[39:40], -v[25:26], v[66:67], v[27:28]
	v_fma_f64 v[25:26], v[25:26], v[64:65], v[46:47]
	v_fma_f64 v[46:47], v[23:24], v[66:67], v[25:26]
	global_load_dwordx4 v[23:26], v[15:16], off offset:176
	global_load_dwordx4 v[27:30], v[15:16], off offset:160
	global_load_dwordx4 v[31:34], v[15:16], off offset:144
	global_load_dwordx4 v[35:38], v[15:16], off offset:128
	s_waitcnt vmcnt(0)
	v_fma_f64 v[19:20], v[35:36], v[60:61], v[19:20]
	v_fma_f64 v[19:20], -v[37:38], v[62:63], v[19:20]
	v_fma_f64 v[37:38], v[37:38], v[60:61], v[52:53]
	v_fma_f64 v[52:53], v[35:36], v[62:63], v[37:38]
	v_fma_f64 v[35:36], v[31:32], v[60:61], v[41:42]
	v_fma_f64 v[41:42], -v[33:34], v[62:63], v[35:36]
	v_fma_f64 v[33:34], v[33:34], v[60:61], v[48:49]
	v_fma_f64 v[48:49], v[31:32], v[62:63], v[33:34]
	v_fma_f64 v[31:32], v[27:28], v[60:61], v[50:51]
	v_fma_f64 v[50:51], -v[29:30], v[62:63], v[31:32]
	v_fma_f64 v[29:30], v[29:30], v[60:61], v[44:45]
	v_fma_f64 v[44:45], v[27:28], v[62:63], v[29:30]
	v_fma_f64 v[27:28], v[23:24], v[60:61], v[39:40]
	v_fma_f64 v[39:40], -v[25:26], v[62:63], v[27:28]
	v_fma_f64 v[25:26], v[25:26], v[60:61], v[46:47]
	;; [unrolled: 21-line block ×3, first 2 shown]
	v_fma_f64 v[56:57], v[23:24], v[58:59], v[25:26]
	global_load_dwordx2 v[23:24], v[17:18], off offset:-32
	s_waitcnt vmcnt(0)
	v_sub_co_u32_e32 v39, vcc, v23, v9
	v_subb_co_u32_e32 v40, vcc, v24, v10, vcc
	v_lshlrev_b64 v[39:40], 6, v[39:40]
	global_load_dwordx4 v[23:26], v[15:16], off offset:1072
	global_load_dwordx4 v[27:30], v[15:16], off offset:1056
	;; [unrolled: 1-line block ×4, first 2 shown]
	v_add_co_u32_e32 v58, vcc, s10, v39
	v_addc_co_u32_e32 v59, vcc, v43, v40, vcc
	global_load_dwordx4 v[39:42], v[58:59], off offset:48
	global_load_dwordx4 v[44:47], v[58:59], off offset:32
	;; [unrolled: 1-line block ×3, first 2 shown]
	global_load_dwordx4 v[52:55], v[58:59], off
	s_waitcnt vmcnt(0)
	v_fma_f64 v[19:20], v[35:36], v[52:53], v[19:20]
	v_fma_f64 v[19:20], -v[37:38], v[54:55], v[19:20]
	v_fma_f64 v[37:38], v[37:38], v[52:53], v[60:61]
	v_fma_f64 v[58:59], v[35:36], v[54:55], v[37:38]
	v_fma_f64 v[35:36], v[31:32], v[52:53], v[62:63]
	v_fma_f64 v[60:61], -v[33:34], v[54:55], v[35:36]
	v_fma_f64 v[33:34], v[33:34], v[52:53], v[64:65]
	v_fma_f64 v[62:63], v[31:32], v[54:55], v[33:34]
	v_fma_f64 v[31:32], v[27:28], v[52:53], v[66:67]
	v_fma_f64 v[64:65], -v[29:30], v[54:55], v[31:32]
	v_fma_f64 v[29:30], v[29:30], v[52:53], v[68:69]
	v_fma_f64 v[66:67], v[27:28], v[54:55], v[29:30]
	v_fma_f64 v[27:28], v[23:24], v[52:53], v[70:71]
	v_fma_f64 v[68:69], -v[25:26], v[54:55], v[27:28]
	v_fma_f64 v[25:26], v[25:26], v[52:53], v[56:57]
	v_fma_f64 v[52:53], v[23:24], v[54:55], v[25:26]
	global_load_dwordx4 v[23:26], v[15:16], off offset:1136
	global_load_dwordx4 v[27:30], v[15:16], off offset:1120
	global_load_dwordx4 v[31:34], v[15:16], off offset:1104
	global_load_dwordx4 v[35:38], v[15:16], off offset:1088
	s_waitcnt vmcnt(0)
	v_fma_f64 v[19:20], v[35:36], v[48:49], v[19:20]
	v_fma_f64 v[19:20], -v[37:38], v[50:51], v[19:20]
	v_fma_f64 v[37:38], v[37:38], v[48:49], v[58:59]
	v_fma_f64 v[54:55], v[35:36], v[50:51], v[37:38]
	v_fma_f64 v[35:36], v[31:32], v[48:49], v[60:61]
	v_fma_f64 v[56:57], -v[33:34], v[50:51], v[35:36]
	v_fma_f64 v[33:34], v[33:34], v[48:49], v[62:63]
	v_fma_f64 v[58:59], v[31:32], v[50:51], v[33:34]
	v_fma_f64 v[31:32], v[27:28], v[48:49], v[64:65]
	v_fma_f64 v[60:61], -v[29:30], v[50:51], v[31:32]
	v_fma_f64 v[29:30], v[29:30], v[48:49], v[66:67]
	v_fma_f64 v[62:63], v[27:28], v[50:51], v[29:30]
	v_fma_f64 v[27:28], v[23:24], v[48:49], v[68:69]
	v_fma_f64 v[64:65], -v[25:26], v[50:51], v[27:28]
	v_fma_f64 v[25:26], v[25:26], v[48:49], v[52:53]
	v_fma_f64 v[48:49], v[23:24], v[50:51], v[25:26]
	global_load_dwordx4 v[23:26], v[15:16], off offset:1200
	global_load_dwordx4 v[27:30], v[15:16], off offset:1184
	global_load_dwordx4 v[31:34], v[15:16], off offset:1168
	global_load_dwordx4 v[35:38], v[15:16], off offset:1152
	;; [unrolled: 21-line block ×3, first 2 shown]
	s_waitcnt vmcnt(0)
	v_fma_f64 v[19:20], v[35:36], v[39:40], v[19:20]
	v_fma_f64 v[19:20], -v[37:38], v[41:42], v[19:20]
	v_fma_f64 v[37:38], v[37:38], v[39:40], v[50:51]
	v_fma_f64 v[62:63], v[35:36], v[41:42], v[37:38]
	v_fma_f64 v[35:36], v[31:32], v[39:40], v[52:53]
	v_fma_f64 v[64:65], -v[33:34], v[41:42], v[35:36]
	v_fma_f64 v[33:34], v[33:34], v[39:40], v[54:55]
	v_fma_f64 v[66:67], v[31:32], v[41:42], v[33:34]
	;; [unrolled: 4-line block ×4, first 2 shown]
	global_load_dwordx2 v[23:24], v[17:18], off
	s_waitcnt vmcnt(0)
	v_sub_co_u32_e32 v39, vcc, v23, v9
	v_subb_co_u32_e32 v40, vcc, v24, v10, vcc
	v_lshlrev_b64 v[39:40], 6, v[39:40]
	global_load_dwordx4 v[23:26], v[15:16], off offset:2096
	global_load_dwordx4 v[27:30], v[15:16], off offset:2080
	;; [unrolled: 1-line block ×4, first 2 shown]
	v_add_co_u32_e32 v70, vcc, s10, v39
	v_addc_co_u32_e32 v71, vcc, v43, v40, vcc
	global_load_dwordx4 v[39:42], v[70:71], off offset:48
	global_load_dwordx4 v[44:47], v[70:71], off offset:32
	;; [unrolled: 1-line block ×3, first 2 shown]
	global_load_dwordx4 v[52:55], v[70:71], off
	s_waitcnt vmcnt(0)
	v_fma_f64 v[19:20], v[35:36], v[52:53], v[19:20]
	v_fma_f64 v[19:20], -v[37:38], v[54:55], v[19:20]
	v_fma_f64 v[37:38], v[37:38], v[52:53], v[62:63]
	v_fma_f64 v[62:63], v[35:36], v[54:55], v[37:38]
	v_fma_f64 v[35:36], v[31:32], v[52:53], v[64:65]
	v_fma_f64 v[64:65], -v[33:34], v[54:55], v[35:36]
	v_fma_f64 v[33:34], v[33:34], v[52:53], v[66:67]
	v_fma_f64 v[66:67], v[31:32], v[54:55], v[33:34]
	v_fma_f64 v[31:32], v[27:28], v[52:53], v[56:57]
	v_fma_f64 v[56:57], -v[29:30], v[54:55], v[31:32]
	v_fma_f64 v[29:30], v[29:30], v[52:53], v[58:59]
	v_fma_f64 v[58:59], v[27:28], v[54:55], v[29:30]
	v_fma_f64 v[27:28], v[23:24], v[52:53], v[60:61]
	v_fma_f64 v[60:61], -v[25:26], v[54:55], v[27:28]
	v_fma_f64 v[25:26], v[25:26], v[52:53], v[68:69]
	v_fma_f64 v[52:53], v[23:24], v[54:55], v[25:26]
	global_load_dwordx4 v[23:26], v[15:16], off offset:2160
	global_load_dwordx4 v[27:30], v[15:16], off offset:2144
	global_load_dwordx4 v[31:34], v[15:16], off offset:2128
	global_load_dwordx4 v[35:38], v[15:16], off offset:2112
	s_waitcnt vmcnt(0)
	v_fma_f64 v[19:20], v[35:36], v[48:49], v[19:20]
	v_fma_f64 v[19:20], -v[37:38], v[50:51], v[19:20]
	v_fma_f64 v[37:38], v[37:38], v[48:49], v[62:63]
	v_fma_f64 v[54:55], v[35:36], v[50:51], v[37:38]
	v_fma_f64 v[35:36], v[31:32], v[48:49], v[64:65]
	v_fma_f64 v[62:63], -v[33:34], v[50:51], v[35:36]
	v_fma_f64 v[33:34], v[33:34], v[48:49], v[66:67]
	v_fma_f64 v[64:65], v[31:32], v[50:51], v[33:34]
	v_fma_f64 v[31:32], v[27:28], v[48:49], v[56:57]
	v_fma_f64 v[56:57], -v[29:30], v[50:51], v[31:32]
	v_fma_f64 v[29:30], v[29:30], v[48:49], v[58:59]
	v_fma_f64 v[58:59], v[27:28], v[50:51], v[29:30]
	v_fma_f64 v[27:28], v[23:24], v[48:49], v[60:61]
	v_fma_f64 v[60:61], -v[25:26], v[50:51], v[27:28]
	v_fma_f64 v[25:26], v[25:26], v[48:49], v[52:53]
	v_fma_f64 v[48:49], v[23:24], v[50:51], v[25:26]
	global_load_dwordx4 v[23:26], v[15:16], off offset:2224
	global_load_dwordx4 v[27:30], v[15:16], off offset:2208
	global_load_dwordx4 v[31:34], v[15:16], off offset:2192
	global_load_dwordx4 v[35:38], v[15:16], off offset:2176
	;; [unrolled: 21-line block ×3, first 2 shown]
	s_waitcnt vmcnt(0)
	v_fma_f64 v[19:20], v[23:24], v[39:40], v[19:20]
	v_fma_f64 v[19:20], -v[25:26], v[41:42], v[19:20]
	v_fma_f64 v[25:26], v[25:26], v[39:40], v[50:51]
	v_fma_f64 v[23:24], v[23:24], v[41:42], v[25:26]
	v_fma_f64 v[25:26], v[27:28], v[39:40], v[52:53]
	v_fma_f64 v[25:26], -v[29:30], v[41:42], v[25:26]
	v_fma_f64 v[29:30], v[29:30], v[39:40], v[54:55]
	v_fma_f64 v[27:28], v[27:28], v[41:42], v[29:30]
	;; [unrolled: 4-line block ×4, first 2 shown]
	global_load_dwordx2 v[37:38], v[17:18], off offset:32
	s_waitcnt vmcnt(0)
	v_sub_co_u32_e32 v41, vcc, v37, v9
	v_subb_co_u32_e32 v42, vcc, v38, v10, vcc
	v_lshlrev_b64 v[41:42], 6, v[41:42]
	global_load_dwordx4 v[37:40], v[15:16], off offset:3120
	global_load_dwordx4 v[44:47], v[15:16], off offset:3104
	;; [unrolled: 1-line block ×4, first 2 shown]
	v_add_co_u32_e32 v41, vcc, s10, v41
	v_addc_co_u32_e32 v42, vcc, v43, v42, vcc
	global_load_dwordx4 v[56:59], v[41:42], off offset:48
	global_load_dwordx4 v[60:63], v[41:42], off offset:32
	;; [unrolled: 1-line block ×3, first 2 shown]
	global_load_dwordx4 v[68:71], v[41:42], off
	s_waitcnt vmcnt(0)
	v_fma_f64 v[23:24], v[54:55], v[68:69], v[23:24]
	v_fma_f64 v[19:20], v[52:53], v[68:69], v[19:20]
	;; [unrolled: 1-line block ×4, first 2 shown]
	v_fma_f64 v[19:20], -v[54:55], v[70:71], v[19:20]
	v_fma_f64 v[52:53], -v[50:51], v[70:71], v[23:24]
	v_fma_f64 v[23:24], v[50:51], v[68:69], v[27:28]
	v_fma_f64 v[48:49], v[48:49], v[70:71], v[23:24]
	;; [unrolled: 1-line block ×3, first 2 shown]
	v_fma_f64 v[50:51], -v[46:47], v[70:71], v[23:24]
	v_fma_f64 v[23:24], v[46:47], v[68:69], v[31:32]
	v_fma_f64 v[44:45], v[44:45], v[70:71], v[23:24]
	;; [unrolled: 1-line block ×3, first 2 shown]
	v_fma_f64 v[46:47], -v[39:40], v[70:71], v[23:24]
	v_fma_f64 v[23:24], v[39:40], v[68:69], v[35:36]
	v_fma_f64 v[39:40], v[37:38], v[70:71], v[23:24]
	global_load_dwordx4 v[23:26], v[15:16], off offset:3184
	global_load_dwordx4 v[27:30], v[15:16], off offset:3168
	;; [unrolled: 1-line block ×4, first 2 shown]
	s_waitcnt vmcnt(0)
	v_fma_f64 v[19:20], v[35:36], v[64:65], v[19:20]
	v_fma_f64 v[19:20], -v[37:38], v[66:67], v[19:20]
	v_fma_f64 v[37:38], v[37:38], v[64:65], v[41:42]
	v_fma_f64 v[41:42], v[35:36], v[66:67], v[37:38]
	v_fma_f64 v[35:36], v[31:32], v[64:65], v[52:53]
	v_fma_f64 v[52:53], -v[33:34], v[66:67], v[35:36]
	v_fma_f64 v[33:34], v[33:34], v[64:65], v[48:49]
	v_fma_f64 v[48:49], v[31:32], v[66:67], v[33:34]
	;; [unrolled: 4-line block ×4, first 2 shown]
	global_load_dwordx4 v[23:26], v[15:16], off offset:3248
	global_load_dwordx4 v[27:30], v[15:16], off offset:3232
	;; [unrolled: 1-line block ×4, first 2 shown]
	s_waitcnt vmcnt(0)
	v_fma_f64 v[19:20], v[35:36], v[60:61], v[19:20]
	v_fma_f64 v[19:20], -v[37:38], v[62:63], v[19:20]
	v_fma_f64 v[37:38], v[37:38], v[60:61], v[41:42]
	v_fma_f64 v[41:42], v[35:36], v[62:63], v[37:38]
	v_fma_f64 v[35:36], v[31:32], v[60:61], v[52:53]
	v_fma_f64 v[52:53], -v[33:34], v[62:63], v[35:36]
	v_fma_f64 v[33:34], v[33:34], v[60:61], v[48:49]
	v_fma_f64 v[48:49], v[31:32], v[62:63], v[33:34]
	v_fma_f64 v[31:32], v[27:28], v[60:61], v[50:51]
	v_fma_f64 v[50:51], -v[29:30], v[62:63], v[31:32]
	v_fma_f64 v[29:30], v[29:30], v[60:61], v[44:45]
	v_fma_f64 v[44:45], v[27:28], v[62:63], v[29:30]
	v_fma_f64 v[27:28], v[23:24], v[60:61], v[46:47]
	v_fma_f64 v[46:47], -v[25:26], v[62:63], v[27:28]
	v_fma_f64 v[25:26], v[25:26], v[60:61], v[39:40]
	v_fma_f64 v[54:55], v[23:24], v[62:63], v[25:26]
	global_load_dwordx4 v[23:26], v[15:16], off offset:3312
	global_load_dwordx4 v[37:40], v[15:16], off offset:3296
	;; [unrolled: 1-line block ×4, first 2 shown]
	v_add_co_u32_e32 v15, vcc, s8, v15
	v_addc_co_u32_e32 v16, vcc, 0, v16, vcc
	v_add_co_u32_e32 v11, vcc, 16, v11
	v_addc_co_u32_e32 v12, vcc, 0, v12, vcc
	;; [unrolled: 2-line block ×3, first 2 shown]
	v_cmp_ge_i64_e32 vcc, v[11:12], v[13:14]
	s_or_b64 s[6:7], vcc, s[6:7]
	s_waitcnt vmcnt(0)
	v_fma_f64 v[19:20], v[31:32], v[56:57], v[19:20]
	v_fma_f64 v[35:36], -v[33:34], v[58:59], v[19:20]
	v_fma_f64 v[19:20], v[33:34], v[56:57], v[41:42]
	v_fma_f64 v[31:32], v[31:32], v[58:59], v[19:20]
	v_fma_f64 v[19:20], v[27:28], v[56:57], v[52:53]
	v_fma_f64 v[41:42], -v[29:30], v[58:59], v[19:20]
	v_fma_f64 v[19:20], v[29:30], v[56:57], v[48:49]
	v_fma_f64 v[33:34], v[27:28], v[58:59], v[19:20]
	;; [unrolled: 4-line block ×4, first 2 shown]
	s_andn2_b64 exec, exec, s[6:7]
	s_cbranch_execnz .LBB55_33
; %bb.34:
	s_or_b64 exec, exec, s[6:7]
.LBB55_35:
	s_or_b64 exec, exec, s[0:1]
.LBB55_36:
	s_or_b64 exec, exec, s[2:3]
.LBB55_37:
	v_mov_b32_dpp v25, v29 row_shr:1 row_mask:0xf bank_mask:0xf
	v_mov_b32_dpp v26, v30 row_shr:1 row_mask:0xf bank_mask:0xf
	;; [unrolled: 1-line block ×4, first 2 shown]
	v_add_f64 v[25:26], v[29:30], v[25:26]
	v_mov_b32_dpp v29, v27 row_shr:1 row_mask:0xf bank_mask:0xf
	v_mov_b32_dpp v30, v28 row_shr:1 row_mask:0xf bank_mask:0xf
	;; [unrolled: 1-line block ×8, first 2 shown]
	v_add_f64 v[15:16], v[33:34], v[15:16]
	v_add_f64 v[27:28], v[27:28], v[29:30]
	v_mov_b32_dpp v29, v39 row_shr:1 row_mask:0xf bank_mask:0xf
	v_mov_b32_dpp v30, v40 row_shr:1 row_mask:0xf bank_mask:0xf
	;; [unrolled: 1-line block ×4, first 2 shown]
	v_add_f64 v[9:10], v[35:36], v[9:10]
	v_add_f64 v[11:12], v[31:32], v[11:12]
	;; [unrolled: 1-line block ×5, first 2 shown]
	v_mov_b32_dpp v17, v15 row_shr:2 row_mask:0xf bank_mask:0xf
	v_mov_b32_dpp v18, v16 row_shr:2 row_mask:0xf bank_mask:0xf
	;; [unrolled: 1-line block ×16, first 2 shown]
	v_cmp_eq_u32_e32 vcc, 3, v0
	s_and_b64 exec, exec, vcc
	s_cbranch_execz .LBB55_8
; %bb.38:
	v_add_f64 v[11:12], v[11:12], v[23:24]
	v_add_f64 v[23:24], v[13:14], v[19:20]
	;; [unrolled: 1-line block ×8, first 2 shown]
	v_mul_f64 v[19:20], v[11:12], -v[7:8]
	v_mul_f64 v[11:12], v[5:6], v[11:12]
	v_mul_f64 v[29:30], v[13:14], -v[7:8]
	v_mul_f64 v[31:32], v[5:6], v[13:14]
	;; [unrolled: 2-line block ×4, first 2 shown]
	v_cmp_eq_f64_e32 vcc, 0, v[1:2]
	v_cmp_eq_f64_e64 s[0:1], 0, v[3:4]
	v_fma_f64 v[17:18], v[5:6], v[9:10], v[19:20]
	v_fma_f64 v[19:20], v[7:8], v[9:10], v[11:12]
	;; [unrolled: 1-line block ×8, first 2 shown]
	s_load_dwordx2 s[2:3], s[4:5], 0x68
	v_lshlrev_b64 v[21:22], 6, v[21:22]
	s_and_b64 s[0:1], vcc, s[0:1]
	s_and_saveexec_b64 s[4:5], s[0:1]
	s_xor_b64 s[0:1], exec, s[4:5]
	s_cbranch_execz .LBB55_40
; %bb.39:
	s_waitcnt lgkmcnt(0)
	v_mov_b32_e32 v1, s3
	v_add_co_u32_e32 v0, vcc, s2, v21
	v_addc_co_u32_e32 v1, vcc, v1, v22, vcc
	global_store_dwordx4 v[0:1], v[17:20], off
	global_store_dwordx4 v[0:1], v[13:16], off offset:16
	global_store_dwordx4 v[0:1], v[9:12], off offset:32
	;; [unrolled: 1-line block ×3, first 2 shown]
                                        ; implicit-def: $vgpr3_vgpr4
                                        ; implicit-def: $vgpr17_vgpr18
                                        ; implicit-def: $vgpr21_vgpr22
                                        ; implicit-def: $vgpr13_vgpr14
                                        ; implicit-def: $vgpr9_vgpr10
                                        ; implicit-def: $vgpr5_vgpr6
.LBB55_40:
	s_andn2_saveexec_b64 s[0:1], s[0:1]
	s_cbranch_execz .LBB55_8
; %bb.41:
	s_waitcnt lgkmcnt(0)
	v_mov_b32_e32 v0, s3
	v_add_co_u32_e32 v37, vcc, s2, v21
	v_addc_co_u32_e32 v38, vcc, v0, v22, vcc
	global_load_dwordx4 v[21:24], v[37:38], off
	global_load_dwordx4 v[25:28], v[37:38], off offset:16
	global_load_dwordx4 v[29:32], v[37:38], off offset:32
	;; [unrolled: 1-line block ×3, first 2 shown]
	s_waitcnt vmcnt(3)
	v_fma_f64 v[17:18], v[1:2], v[21:22], v[17:18]
	v_fma_f64 v[19:20], v[3:4], v[21:22], v[19:20]
	s_waitcnt vmcnt(2)
	v_fma_f64 v[13:14], v[1:2], v[25:26], v[13:14]
	v_fma_f64 v[15:16], v[3:4], v[25:26], v[15:16]
	;; [unrolled: 3-line block ×4, first 2 shown]
	v_fma_f64 v[5:6], -v[3:4], v[23:24], v[17:18]
	v_fma_f64 v[7:8], v[1:2], v[23:24], v[19:20]
	v_fma_f64 v[9:10], -v[3:4], v[27:28], v[13:14]
	v_fma_f64 v[11:12], v[1:2], v[27:28], v[15:16]
	;; [unrolled: 2-line block ×4, first 2 shown]
	global_store_dwordx4 v[37:38], v[5:8], off
	global_store_dwordx4 v[37:38], v[9:12], off offset:16
	global_store_dwordx4 v[37:38], v[13:16], off offset:32
	;; [unrolled: 1-line block ×3, first 2 shown]
	s_endpgm
	.section	.rodata,"a",@progbits
	.p2align	6, 0x0
	.amdhsa_kernel _ZN9rocsparseL18bsrxmvn_4x4_kernelILj128ELj4E21rocsparse_complex_numIdEllS2_S2_S2_EEvT3_20rocsparse_direction_NS_24const_host_device_scalarIT1_EES3_PKS3_PKT2_SC_S9_PKT4_PKT5_S7_PT6_21rocsparse_index_base_b
		.amdhsa_group_segment_fixed_size 0
		.amdhsa_private_segment_fixed_size 0
		.amdhsa_kernarg_size 120
		.amdhsa_user_sgpr_count 6
		.amdhsa_user_sgpr_private_segment_buffer 1
		.amdhsa_user_sgpr_dispatch_ptr 0
		.amdhsa_user_sgpr_queue_ptr 0
		.amdhsa_user_sgpr_kernarg_segment_ptr 1
		.amdhsa_user_sgpr_dispatch_id 0
		.amdhsa_user_sgpr_flat_scratch_init 0
		.amdhsa_user_sgpr_private_segment_size 0
		.amdhsa_uses_dynamic_stack 0
		.amdhsa_system_sgpr_private_segment_wavefront_offset 0
		.amdhsa_system_sgpr_workgroup_id_x 1
		.amdhsa_system_sgpr_workgroup_id_y 0
		.amdhsa_system_sgpr_workgroup_id_z 0
		.amdhsa_system_sgpr_workgroup_info 0
		.amdhsa_system_vgpr_workitem_id 0
		.amdhsa_next_free_vgpr 88
		.amdhsa_next_free_sgpr 21
		.amdhsa_reserve_vcc 1
		.amdhsa_reserve_flat_scratch 0
		.amdhsa_float_round_mode_32 0
		.amdhsa_float_round_mode_16_64 0
		.amdhsa_float_denorm_mode_32 3
		.amdhsa_float_denorm_mode_16_64 3
		.amdhsa_dx10_clamp 1
		.amdhsa_ieee_mode 1
		.amdhsa_fp16_overflow 0
		.amdhsa_exception_fp_ieee_invalid_op 0
		.amdhsa_exception_fp_denorm_src 0
		.amdhsa_exception_fp_ieee_div_zero 0
		.amdhsa_exception_fp_ieee_overflow 0
		.amdhsa_exception_fp_ieee_underflow 0
		.amdhsa_exception_fp_ieee_inexact 0
		.amdhsa_exception_int_div_zero 0
	.end_amdhsa_kernel
	.section	.text._ZN9rocsparseL18bsrxmvn_4x4_kernelILj128ELj4E21rocsparse_complex_numIdEllS2_S2_S2_EEvT3_20rocsparse_direction_NS_24const_host_device_scalarIT1_EES3_PKS3_PKT2_SC_S9_PKT4_PKT5_S7_PT6_21rocsparse_index_base_b,"axG",@progbits,_ZN9rocsparseL18bsrxmvn_4x4_kernelILj128ELj4E21rocsparse_complex_numIdEllS2_S2_S2_EEvT3_20rocsparse_direction_NS_24const_host_device_scalarIT1_EES3_PKS3_PKT2_SC_S9_PKT4_PKT5_S7_PT6_21rocsparse_index_base_b,comdat
.Lfunc_end55:
	.size	_ZN9rocsparseL18bsrxmvn_4x4_kernelILj128ELj4E21rocsparse_complex_numIdEllS2_S2_S2_EEvT3_20rocsparse_direction_NS_24const_host_device_scalarIT1_EES3_PKS3_PKT2_SC_S9_PKT4_PKT5_S7_PT6_21rocsparse_index_base_b, .Lfunc_end55-_ZN9rocsparseL18bsrxmvn_4x4_kernelILj128ELj4E21rocsparse_complex_numIdEllS2_S2_S2_EEvT3_20rocsparse_direction_NS_24const_host_device_scalarIT1_EES3_PKS3_PKT2_SC_S9_PKT4_PKT5_S7_PT6_21rocsparse_index_base_b
                                        ; -- End function
	.set _ZN9rocsparseL18bsrxmvn_4x4_kernelILj128ELj4E21rocsparse_complex_numIdEllS2_S2_S2_EEvT3_20rocsparse_direction_NS_24const_host_device_scalarIT1_EES3_PKS3_PKT2_SC_S9_PKT4_PKT5_S7_PT6_21rocsparse_index_base_b.num_vgpr, 88
	.set _ZN9rocsparseL18bsrxmvn_4x4_kernelILj128ELj4E21rocsparse_complex_numIdEllS2_S2_S2_EEvT3_20rocsparse_direction_NS_24const_host_device_scalarIT1_EES3_PKS3_PKT2_SC_S9_PKT4_PKT5_S7_PT6_21rocsparse_index_base_b.num_agpr, 0
	.set _ZN9rocsparseL18bsrxmvn_4x4_kernelILj128ELj4E21rocsparse_complex_numIdEllS2_S2_S2_EEvT3_20rocsparse_direction_NS_24const_host_device_scalarIT1_EES3_PKS3_PKT2_SC_S9_PKT4_PKT5_S7_PT6_21rocsparse_index_base_b.numbered_sgpr, 21
	.set _ZN9rocsparseL18bsrxmvn_4x4_kernelILj128ELj4E21rocsparse_complex_numIdEllS2_S2_S2_EEvT3_20rocsparse_direction_NS_24const_host_device_scalarIT1_EES3_PKS3_PKT2_SC_S9_PKT4_PKT5_S7_PT6_21rocsparse_index_base_b.num_named_barrier, 0
	.set _ZN9rocsparseL18bsrxmvn_4x4_kernelILj128ELj4E21rocsparse_complex_numIdEllS2_S2_S2_EEvT3_20rocsparse_direction_NS_24const_host_device_scalarIT1_EES3_PKS3_PKT2_SC_S9_PKT4_PKT5_S7_PT6_21rocsparse_index_base_b.private_seg_size, 0
	.set _ZN9rocsparseL18bsrxmvn_4x4_kernelILj128ELj4E21rocsparse_complex_numIdEllS2_S2_S2_EEvT3_20rocsparse_direction_NS_24const_host_device_scalarIT1_EES3_PKS3_PKT2_SC_S9_PKT4_PKT5_S7_PT6_21rocsparse_index_base_b.uses_vcc, 1
	.set _ZN9rocsparseL18bsrxmvn_4x4_kernelILj128ELj4E21rocsparse_complex_numIdEllS2_S2_S2_EEvT3_20rocsparse_direction_NS_24const_host_device_scalarIT1_EES3_PKS3_PKT2_SC_S9_PKT4_PKT5_S7_PT6_21rocsparse_index_base_b.uses_flat_scratch, 0
	.set _ZN9rocsparseL18bsrxmvn_4x4_kernelILj128ELj4E21rocsparse_complex_numIdEllS2_S2_S2_EEvT3_20rocsparse_direction_NS_24const_host_device_scalarIT1_EES3_PKS3_PKT2_SC_S9_PKT4_PKT5_S7_PT6_21rocsparse_index_base_b.has_dyn_sized_stack, 0
	.set _ZN9rocsparseL18bsrxmvn_4x4_kernelILj128ELj4E21rocsparse_complex_numIdEllS2_S2_S2_EEvT3_20rocsparse_direction_NS_24const_host_device_scalarIT1_EES3_PKS3_PKT2_SC_S9_PKT4_PKT5_S7_PT6_21rocsparse_index_base_b.has_recursion, 0
	.set _ZN9rocsparseL18bsrxmvn_4x4_kernelILj128ELj4E21rocsparse_complex_numIdEllS2_S2_S2_EEvT3_20rocsparse_direction_NS_24const_host_device_scalarIT1_EES3_PKS3_PKT2_SC_S9_PKT4_PKT5_S7_PT6_21rocsparse_index_base_b.has_indirect_call, 0
	.section	.AMDGPU.csdata,"",@progbits
; Kernel info:
; codeLenInByte = 9716
; TotalNumSgprs: 25
; NumVgprs: 88
; ScratchSize: 0
; MemoryBound: 1
; FloatMode: 240
; IeeeMode: 1
; LDSByteSize: 0 bytes/workgroup (compile time only)
; SGPRBlocks: 3
; VGPRBlocks: 21
; NumSGPRsForWavesPerEU: 25
; NumVGPRsForWavesPerEU: 88
; Occupancy: 2
; WaveLimiterHint : 1
; COMPUTE_PGM_RSRC2:SCRATCH_EN: 0
; COMPUTE_PGM_RSRC2:USER_SGPR: 6
; COMPUTE_PGM_RSRC2:TRAP_HANDLER: 0
; COMPUTE_PGM_RSRC2:TGID_X_EN: 1
; COMPUTE_PGM_RSRC2:TGID_Y_EN: 0
; COMPUTE_PGM_RSRC2:TGID_Z_EN: 0
; COMPUTE_PGM_RSRC2:TIDIG_COMP_CNT: 0
	.section	.text._ZN9rocsparseL18bsrxmvn_4x4_kernelILj128ELj8E21rocsparse_complex_numIdEllS2_S2_S2_EEvT3_20rocsparse_direction_NS_24const_host_device_scalarIT1_EES3_PKS3_PKT2_SC_S9_PKT4_PKT5_S7_PT6_21rocsparse_index_base_b,"axG",@progbits,_ZN9rocsparseL18bsrxmvn_4x4_kernelILj128ELj8E21rocsparse_complex_numIdEllS2_S2_S2_EEvT3_20rocsparse_direction_NS_24const_host_device_scalarIT1_EES3_PKS3_PKT2_SC_S9_PKT4_PKT5_S7_PT6_21rocsparse_index_base_b,comdat
	.globl	_ZN9rocsparseL18bsrxmvn_4x4_kernelILj128ELj8E21rocsparse_complex_numIdEllS2_S2_S2_EEvT3_20rocsparse_direction_NS_24const_host_device_scalarIT1_EES3_PKS3_PKT2_SC_S9_PKT4_PKT5_S7_PT6_21rocsparse_index_base_b ; -- Begin function _ZN9rocsparseL18bsrxmvn_4x4_kernelILj128ELj8E21rocsparse_complex_numIdEllS2_S2_S2_EEvT3_20rocsparse_direction_NS_24const_host_device_scalarIT1_EES3_PKS3_PKT2_SC_S9_PKT4_PKT5_S7_PT6_21rocsparse_index_base_b
	.p2align	8
	.type	_ZN9rocsparseL18bsrxmvn_4x4_kernelILj128ELj8E21rocsparse_complex_numIdEllS2_S2_S2_EEvT3_20rocsparse_direction_NS_24const_host_device_scalarIT1_EES3_PKS3_PKT2_SC_S9_PKT4_PKT5_S7_PT6_21rocsparse_index_base_b,@function
_ZN9rocsparseL18bsrxmvn_4x4_kernelILj128ELj8E21rocsparse_complex_numIdEllS2_S2_S2_EEvT3_20rocsparse_direction_NS_24const_host_device_scalarIT1_EES3_PKS3_PKT2_SC_S9_PKT4_PKT5_S7_PT6_21rocsparse_index_base_b: ; @_ZN9rocsparseL18bsrxmvn_4x4_kernelILj128ELj8E21rocsparse_complex_numIdEllS2_S2_S2_EEvT3_20rocsparse_direction_NS_24const_host_device_scalarIT1_EES3_PKS3_PKT2_SC_S9_PKT4_PKT5_S7_PT6_21rocsparse_index_base_b
; %bb.0:
	s_load_dwordx2 s[0:1], s[4:5], 0x10
	s_load_dwordx2 s[2:3], s[4:5], 0x70
	s_add_u32 s7, s4, 16
	s_addc_u32 s10, s5, 0
	s_add_u32 s11, s4, 0x58
	s_addc_u32 s12, s5, 0
	s_waitcnt lgkmcnt(0)
	s_bitcmp1_b32 s3, 0
	s_cselect_b32 s1, s10, s1
	s_cselect_b32 s0, s7, s0
	v_mov_b32_e32 v1, s0
	v_mov_b32_e32 v2, s1
	flat_load_dwordx4 v[5:8], v[1:2]
	s_load_dwordx2 s[8:9], s[4:5], 0x58
	s_waitcnt lgkmcnt(0)
	s_cselect_b32 s0, s12, s9
	s_cselect_b32 s1, s11, s8
	v_mov_b32_e32 v1, s1
	v_mov_b32_e32 v2, s0
	flat_load_dwordx4 v[1:4], v[1:2]
	s_waitcnt vmcnt(0)
	v_cmp_eq_f64_e32 vcc, 0, v[5:6]
	v_cmp_eq_f64_e64 s[0:1], 0, v[7:8]
	s_and_b64 s[10:11], vcc, s[0:1]
	s_mov_b64 s[0:1], -1
	s_and_saveexec_b64 s[8:9], s[10:11]
	s_cbranch_execz .LBB56_2
; %bb.1:
	s_waitcnt lgkmcnt(0)
	v_cmp_neq_f64_e32 vcc, 1.0, v[1:2]
	v_cmp_neq_f64_e64 s[0:1], 0, v[3:4]
	s_or_b64 s[0:1], vcc, s[0:1]
	s_orn2_b64 s[0:1], s[0:1], exec
.LBB56_2:
	s_or_b64 exec, exec, s[8:9]
	s_and_saveexec_b64 s[8:9], s[0:1]
	s_cbranch_execz .LBB56_8
; %bb.3:
	s_load_dwordx2 s[8:9], s[4:5], 0x28
	v_lshrrev_b32_e32 v9, 3, v0
	v_lshl_or_b32 v11, s6, 4, v9
	v_mov_b32_e32 v12, 0
	s_mov_b64 s[0:1], 0
	s_waitcnt lgkmcnt(0)
	s_cmp_lg_u64 s[8:9], 0
	s_cbranch_scc0 .LBB56_9
; %bb.4:
	s_load_dwordx2 s[6:7], s[4:5], 0x20
                                        ; implicit-def: $vgpr21_vgpr22
                                        ; implicit-def: $vgpr9_vgpr10
	s_waitcnt lgkmcnt(0)
	v_cmp_gt_i64_e32 vcc, s[6:7], v[11:12]
	s_and_saveexec_b64 s[6:7], vcc
	s_xor_b64 s[6:7], exec, s[6:7]
	s_cbranch_execz .LBB56_6
; %bb.5:
	v_lshlrev_b64 v[9:10], 3, v[11:12]
	v_mov_b32_e32 v13, s9
	v_add_co_u32_e32 v9, vcc, s8, v9
	v_addc_co_u32_e32 v10, vcc, v13, v10, vcc
	global_load_dwordx2 v[9:10], v[9:10], off
	s_mov_b32 s3, 0
	s_mov_b64 s[0:1], exec
	s_waitcnt vmcnt(0)
	v_subrev_co_u32_e32 v21, vcc, s2, v9
	v_subbrev_co_u32_e32 v22, vcc, 0, v10, vcc
	v_mov_b32_e32 v10, s3
	v_mov_b32_e32 v9, s2
.LBB56_6:
	s_or_b64 exec, exec, s[6:7]
.LBB56_7:
	s_and_b64 exec, exec, s[0:1]
	s_cbranch_execnz .LBB56_13
.LBB56_8:
	s_endpgm
.LBB56_9:
                                        ; implicit-def: $vgpr21_vgpr22
                                        ; implicit-def: $vgpr9_vgpr10
	s_cbranch_execz .LBB56_7
; %bb.10:
	s_load_dwordx2 s[6:7], s[4:5], 0x0
	s_waitcnt lgkmcnt(0)
	v_cmp_gt_i64_e32 vcc, s[6:7], v[11:12]
	s_and_saveexec_b64 s[6:7], vcc
; %bb.11:
	s_mov_b32 s3, 0
	s_or_b64 s[0:1], s[0:1], exec
; %bb.12:
	s_or_b64 exec, exec, s[6:7]
	v_mov_b32_e32 v10, s3
	v_mov_b32_e32 v22, v12
	;; [unrolled: 1-line block ×4, first 2 shown]
	s_and_b64 exec, exec, s[0:1]
	s_cbranch_execz .LBB56_8
.LBB56_13:
	s_load_dwordx8 s[8:15], s[4:5], 0x30
	v_lshlrev_b64 v[11:12], 3, v[21:22]
	v_and_b32_e32 v0, 7, v0
	s_waitcnt lgkmcnt(0)
	v_mov_b32_e32 v14, s9
	v_add_co_u32_e32 v13, vcc, s8, v11
	v_addc_co_u32_e32 v14, vcc, v14, v12, vcc
	global_load_dwordx2 v[17:18], v[13:14], off
	v_add_co_u32_e32 v13, vcc, 8, v13
	v_addc_co_u32_e32 v14, vcc, 0, v14, vcc
	v_mov_b32_e32 v15, s11
	v_add_co_u32_e32 v11, vcc, s10, v11
	s_cmp_eq_u64 s[10:11], 0
	v_addc_co_u32_e32 v12, vcc, v15, v12, vcc
	s_cselect_b64 vcc, -1, 0
	v_cndmask_b32_e32 v12, v12, v14, vcc
	v_cndmask_b32_e32 v11, v11, v13, vcc
	global_load_dwordx2 v[13:14], v[11:12], off
	s_load_dword s0, s[4:5], 0x8
	s_load_dwordx2 s[10:11], s[4:5], 0x50
	v_mov_b32_e32 v19, s15
	s_waitcnt lgkmcnt(0)
	s_cmp_eq_u32 s0, 1
	s_waitcnt vmcnt(1)
	v_sub_co_u32_e32 v11, vcc, v17, v9
	v_subb_co_u32_e32 v12, vcc, v18, v10, vcc
	v_add_co_u32_e32 v11, vcc, v11, v0
	v_addc_co_u32_e32 v12, vcc, 0, v12, vcc
	v_lshlrev_b64 v[15:16], 8, v[11:12]
	s_waitcnt vmcnt(0)
	v_sub_co_u32_e32 v13, vcc, v13, v9
	v_subb_co_u32_e32 v14, vcc, v14, v10, vcc
	v_cmp_lt_i64_e64 s[0:1], v[11:12], v[13:14]
	v_add_co_u32_e32 v15, vcc, s14, v15
	v_addc_co_u32_e32 v16, vcc, v19, v16, vcc
	s_cbranch_scc1 .LBB56_25
; %bb.14:
	v_mov_b32_e32 v33, 0
	v_mov_b32_e32 v41, 0
	;; [unrolled: 1-line block ×16, first 2 shown]
	s_and_saveexec_b64 s[14:15], s[0:1]
	s_cbranch_execz .LBB56_24
; %bb.15:
	v_or_b32_e32 v19, 8, v0
	v_sub_co_u32_e32 v19, vcc, v19, v9
	v_subb_co_u32_e32 v20, vcc, 0, v10, vcc
	v_add_co_u32_e32 v19, vcc, v19, v17
	v_addc_co_u32_e32 v20, vcc, v20, v18, vcc
	v_cmp_gt_i64_e32 vcc, v[19:20], v[13:14]
	v_not_b32_e32 v24, v17
	v_cndmask_b32_e32 v20, v14, v20, vcc
	v_cndmask_b32_e32 v19, v13, v19, vcc
	v_sub_co_u32_e32 v25, vcc, v9, v0
	v_subbrev_co_u32_e32 v26, vcc, 0, v10, vcc
	v_not_b32_e32 v23, v18
	v_add_co_u32_e32 v24, vcc, v25, v24
	v_addc_co_u32_e32 v23, vcc, v26, v23, vcc
	v_add_co_u32_e32 v25, vcc, v24, v19
	v_addc_co_u32_e32 v26, vcc, v23, v20, vcc
	v_and_b32_e32 v19, 24, v25
	v_mov_b32_e32 v20, 0
	v_cmp_ne_u64_e32 vcc, 24, v[19:20]
	v_mov_b32_e32 v37, 0
	v_mov_b32_e32 v39, 0
	;; [unrolled: 1-line block ×20, first 2 shown]
	s_and_saveexec_b64 s[16:17], vcc
	s_cbranch_execz .LBB56_19
; %bb.16:
	v_lshrrev_b32_e32 v19, 3, v25
	v_add_u32_e32 v19, 1, v19
	v_and_b32_e32 v23, 3, v19
	v_lshlrev_b64 v[19:20], 3, v[11:12]
	v_mov_b32_e32 v24, s13
	v_add_co_u32_e32 v43, vcc, s12, v19
	v_addc_co_u32_e32 v44, vcc, v24, v20, vcc
	v_sub_co_u32_e32 v45, vcc, 0, v23
	v_mov_b32_e32 v33, 0
	v_mov_b32_e32 v20, v12
	;; [unrolled: 1-line block ×10, first 2 shown]
	s_mov_b64 s[18:19], 0
	v_subb_co_u32_e64 v46, s[2:3], 0, 0, vcc
	v_mov_b32_e32 v34, 0
	s_movk_i32 s20, 0x800
	v_mov_b32_e32 v19, v11
	v_mov_b32_e32 v42, 0
	;; [unrolled: 1-line block ×9, first 2 shown]
.LBB56_17:                              ; =>This Inner Loop Header: Depth=1
	global_load_dwordx2 v[67:68], v[43:44], off
	global_load_dwordx4 v[47:50], v[23:24], off
	v_mov_b32_e32 v69, s11
	global_load_dwordx4 v[51:54], v[23:24], off offset:64
	global_load_dwordx4 v[55:58], v[23:24], off offset:128
	;; [unrolled: 1-line block ×4, first 2 shown]
	v_add_co_u32_e64 v19, s[2:3], 8, v19
	v_add_co_u32_e64 v43, s[6:7], 64, v43
	;; [unrolled: 1-line block ×3, first 2 shown]
	v_addc_co_u32_e64 v20, s[2:3], 0, v20, s[2:3]
	v_addc_co_u32_e64 v44, s[2:3], 0, v44, s[6:7]
	;; [unrolled: 1-line block ×3, first 2 shown]
	v_cmp_eq_u64_e64 s[2:3], 0, v[45:46]
	s_or_b64 s[18:19], s[2:3], s[18:19]
	s_waitcnt vmcnt(5)
	v_sub_co_u32_e32 v67, vcc, v67, v9
	v_subb_co_u32_e32 v68, vcc, v68, v10, vcc
	v_lshlrev_b64 v[67:68], 6, v[67:68]
	v_add_co_u32_e32 v71, vcc, s10, v67
	v_addc_co_u32_e32 v72, vcc, v69, v68, vcc
	global_load_dwordx4 v[67:70], v[71:72], off
	s_waitcnt vmcnt(0)
	v_fma_f64 v[33:34], v[49:50], v[67:68], v[33:34]
	v_fma_f64 v[41:42], v[47:48], v[67:68], v[41:42]
	;; [unrolled: 1-line block ×8, first 2 shown]
	v_fma_f64 v[41:42], -v[49:50], v[69:70], v[41:42]
	global_load_dwordx4 v[47:50], v[23:24], off offset:80
	v_fma_f64 v[77:78], v[51:52], v[69:70], v[37:38]
	global_load_dwordx4 v[37:40], v[23:24], off offset:144
	v_fma_f64 v[79:80], -v[57:58], v[69:70], v[29:30]
	v_fma_f64 v[81:82], v[55:56], v[69:70], v[27:28]
	global_load_dwordx4 v[27:30], v[23:24], off offset:208
	v_fma_f64 v[75:76], -v[53:54], v[69:70], v[33:34]
	v_fma_f64 v[33:34], v[59:60], v[67:68], v[35:36]
	v_fma_f64 v[59:60], v[59:60], v[69:70], v[31:32]
	v_fma_f64 v[61:62], -v[61:62], v[69:70], v[33:34]
	global_load_dwordx4 v[31:34], v[23:24], off offset:32
	global_load_dwordx4 v[51:54], v[71:72], off offset:16
	;; [unrolled: 1-line block ×3, first 2 shown]
	s_waitcnt vmcnt(1)
	v_fma_f64 v[35:36], v[63:64], v[51:52], v[41:42]
	v_fma_f64 v[41:42], v[65:66], v[51:52], v[73:74]
	v_fma_f64 v[65:66], -v[65:66], v[53:54], v[35:36]
	v_fma_f64 v[63:64], v[63:64], v[53:54], v[41:42]
	v_fma_f64 v[35:36], v[47:48], v[51:52], v[75:76]
	;; [unrolled: 1-line block ×3, first 2 shown]
	v_fma_f64 v[67:68], -v[49:50], v[53:54], v[35:36]
	v_fma_f64 v[69:70], v[47:48], v[53:54], v[41:42]
	v_fma_f64 v[35:36], v[37:38], v[51:52], v[79:80]
	;; [unrolled: 1-line block ×3, first 2 shown]
	global_load_dwordx4 v[47:50], v[23:24], off offset:160
	v_fma_f64 v[73:74], -v[39:40], v[53:54], v[35:36]
	v_fma_f64 v[75:76], v[37:38], v[53:54], v[41:42]
	v_fma_f64 v[39:40], v[27:28], v[51:52], v[61:62]
	;; [unrolled: 1-line block ×3, first 2 shown]
	global_load_dwordx4 v[35:38], v[23:24], off offset:224
	v_fma_f64 v[59:60], -v[29:30], v[53:54], v[39:40]
	v_fma_f64 v[61:62], v[27:28], v[53:54], v[41:42]
	global_load_dwordx4 v[27:30], v[23:24], off offset:48
	global_load_dwordx4 v[39:42], v[71:72], off offset:32
	s_waitcnt vmcnt(0)
	v_fma_f64 v[51:52], v[31:32], v[39:40], v[65:66]
	v_fma_f64 v[53:54], v[33:34], v[39:40], v[63:64]
	;; [unrolled: 1-line block ×8, first 2 shown]
	v_fma_f64 v[33:34], -v[33:34], v[41:42], v[51:52]
	v_fma_f64 v[31:32], v[31:32], v[41:42], v[53:54]
	global_load_dwordx4 v[51:54], v[23:24], off offset:112
	v_fma_f64 v[63:64], -v[57:58], v[41:42], v[63:64]
	v_fma_f64 v[65:66], v[55:56], v[41:42], v[65:66]
	global_load_dwordx4 v[55:58], v[23:24], off offset:176
	;; [unrolled: 3-line block ×3, first 2 shown]
	v_fma_f64 v[37:38], -v[37:38], v[41:42], v[59:60]
	global_load_dwordx4 v[59:62], v[71:72], off offset:48
	v_fma_f64 v[35:36], v[35:36], v[41:42], v[39:40]
	v_add_co_u32_e32 v23, vcc, s20, v23
	v_addc_co_u32_e32 v24, vcc, 0, v24, vcc
	s_waitcnt vmcnt(0)
	v_fma_f64 v[33:34], v[27:28], v[59:60], v[33:34]
	v_fma_f64 v[31:32], v[29:30], v[59:60], v[31:32]
	;; [unrolled: 1-line block ×8, first 2 shown]
	v_fma_f64 v[41:42], -v[29:30], v[61:62], v[33:34]
	v_fma_f64 v[33:34], v[27:28], v[61:62], v[31:32]
	v_fma_f64 v[39:40], -v[53:54], v[61:62], v[39:40]
	v_fma_f64 v[37:38], v[51:52], v[61:62], v[63:64]
	;; [unrolled: 2-line block ×4, first 2 shown]
	s_andn2_b64 exec, exec, s[18:19]
	s_cbranch_execnz .LBB56_17
; %bb.18:
	s_or_b64 exec, exec, s[18:19]
.LBB56_19:
	s_or_b64 exec, exec, s[16:17]
	v_cmp_lt_u64_e32 vcc, 23, v[25:26]
	s_and_saveexec_b64 s[6:7], vcc
	s_cbranch_execz .LBB56_23
; %bb.20:
	v_lshlrev_b64 v[25:26], 3, v[19:20]
	v_mov_b32_e32 v43, s13
	v_add_co_u32_e32 v25, vcc, s12, v25
	v_addc_co_u32_e32 v26, vcc, v43, v26, vcc
	v_add_co_u32_e32 v25, vcc, 0x80, v25
	v_addc_co_u32_e32 v26, vcc, 0, v26, vcc
	s_mov_b64 s[8:9], 0
	v_mov_b32_e32 v45, s11
	s_movk_i32 s16, 0x1000
.LBB56_21:                              ; =>This Inner Loop Header: Depth=1
	global_load_dwordx2 v[43:44], v[25:26], off offset:-128
	global_load_dwordx4 v[46:49], v[23:24], off offset:48
	global_load_dwordx4 v[50:53], v[23:24], off offset:32
	;; [unrolled: 1-line block ×3, first 2 shown]
	global_load_dwordx4 v[58:61], v[23:24], off
	s_waitcnt vmcnt(4)
	v_sub_co_u32_e32 v43, vcc, v43, v9
	v_subb_co_u32_e32 v44, vcc, v44, v10, vcc
	v_lshlrev_b64 v[43:44], 6, v[43:44]
	v_add_co_u32_e32 v43, vcc, s10, v43
	v_addc_co_u32_e32 v44, vcc, v45, v44, vcc
	global_load_dwordx4 v[62:65], v[43:44], off offset:48
	global_load_dwordx4 v[66:69], v[43:44], off offset:32
	;; [unrolled: 1-line block ×3, first 2 shown]
	global_load_dwordx4 v[74:77], v[43:44], off
	s_waitcnt vmcnt(0)
	v_fma_f64 v[41:42], v[58:59], v[74:75], v[41:42]
	v_fma_f64 v[33:34], v[60:61], v[74:75], v[33:34]
	v_fma_f64 v[41:42], -v[60:61], v[76:77], v[41:42]
	v_fma_f64 v[33:34], v[58:59], v[76:77], v[33:34]
	v_fma_f64 v[41:42], v[54:55], v[70:71], v[41:42]
	v_fma_f64 v[33:34], v[56:57], v[70:71], v[33:34]
	v_fma_f64 v[41:42], -v[56:57], v[72:73], v[41:42]
	v_fma_f64 v[33:34], v[54:55], v[72:73], v[33:34]
	;; [unrolled: 4-line block ×4, first 2 shown]
	global_load_dwordx4 v[41:44], v[23:24], off offset:112
	global_load_dwordx4 v[46:49], v[23:24], off offset:96
	;; [unrolled: 1-line block ×4, first 2 shown]
	s_waitcnt vmcnt(0)
	v_fma_f64 v[33:34], v[54:55], v[74:75], v[39:40]
	v_fma_f64 v[37:38], v[56:57], v[74:75], v[37:38]
	v_fma_f64 v[33:34], -v[56:57], v[76:77], v[33:34]
	v_fma_f64 v[37:38], v[54:55], v[76:77], v[37:38]
	v_fma_f64 v[33:34], v[50:51], v[70:71], v[33:34]
	v_fma_f64 v[37:38], v[52:53], v[70:71], v[37:38]
	v_fma_f64 v[33:34], -v[52:53], v[72:73], v[33:34]
	v_fma_f64 v[37:38], v[50:51], v[72:73], v[37:38]
	;; [unrolled: 4-line block ×3, first 2 shown]
	v_fma_f64 v[33:34], v[41:42], v[62:63], v[33:34]
	v_fma_f64 v[82:83], -v[43:44], v[64:65], v[33:34]
	v_fma_f64 v[33:34], v[43:44], v[62:63], v[37:38]
	v_fma_f64 v[84:85], v[41:42], v[64:65], v[33:34]
	global_load_dwordx4 v[37:40], v[23:24], off offset:176
	global_load_dwordx4 v[41:44], v[23:24], off offset:160
	;; [unrolled: 1-line block ×4, first 2 shown]
	s_waitcnt vmcnt(0)
	v_fma_f64 v[29:30], v[50:51], v[74:75], v[29:30]
	v_fma_f64 v[27:28], v[52:53], v[74:75], v[27:28]
	v_fma_f64 v[29:30], -v[52:53], v[76:77], v[29:30]
	v_fma_f64 v[27:28], v[50:51], v[76:77], v[27:28]
	v_fma_f64 v[29:30], v[46:47], v[70:71], v[29:30]
	v_fma_f64 v[27:28], v[48:49], v[70:71], v[27:28]
	v_fma_f64 v[29:30], -v[48:49], v[72:73], v[29:30]
	v_fma_f64 v[27:28], v[46:47], v[72:73], v[27:28]
	v_fma_f64 v[29:30], v[41:42], v[66:67], v[29:30]
	v_fma_f64 v[27:28], v[43:44], v[66:67], v[27:28]
	v_fma_f64 v[29:30], -v[43:44], v[68:69], v[29:30]
	v_fma_f64 v[27:28], v[41:42], v[68:69], v[27:28]
	v_fma_f64 v[29:30], v[37:38], v[62:63], v[29:30]
	v_fma_f64 v[27:28], v[39:40], v[62:63], v[27:28]
	v_fma_f64 v[86:87], -v[39:40], v[64:65], v[29:30]
	v_fma_f64 v[88:89], v[37:38], v[64:65], v[27:28]
	global_load_dwordx4 v[27:30], v[23:24], off offset:240
	global_load_dwordx4 v[37:40], v[23:24], off offset:224
	;; [unrolled: 1-line block ×4, first 2 shown]
	s_waitcnt vmcnt(0)
	v_fma_f64 v[33:34], v[46:47], v[74:75], v[35:36]
	v_fma_f64 v[31:32], v[48:49], v[74:75], v[31:32]
	v_fma_f64 v[33:34], -v[48:49], v[76:77], v[33:34]
	v_fma_f64 v[31:32], v[46:47], v[76:77], v[31:32]
	v_fma_f64 v[33:34], v[41:42], v[70:71], v[33:34]
	v_fma_f64 v[31:32], v[43:44], v[70:71], v[31:32]
	v_fma_f64 v[33:34], -v[43:44], v[72:73], v[33:34]
	v_fma_f64 v[31:32], v[41:42], v[72:73], v[31:32]
	;; [unrolled: 4-line block ×3, first 2 shown]
	v_fma_f64 v[33:34], v[27:28], v[62:63], v[33:34]
	v_fma_f64 v[43:44], -v[29:30], v[64:65], v[33:34]
	v_fma_f64 v[29:30], v[29:30], v[62:63], v[31:32]
	v_fma_f64 v[62:63], v[27:28], v[64:65], v[29:30]
	global_load_dwordx2 v[27:28], v[25:26], off offset:-64
	s_waitcnt vmcnt(0)
	v_sub_co_u32_e32 v46, vcc, v27, v9
	v_subb_co_u32_e32 v47, vcc, v28, v10, vcc
	v_lshlrev_b64 v[46:47], 6, v[46:47]
	global_load_dwordx4 v[27:30], v[23:24], off offset:2096
	global_load_dwordx4 v[31:34], v[23:24], off offset:2080
	;; [unrolled: 1-line block ×4, first 2 shown]
	v_add_co_u32_e32 v64, vcc, s10, v46
	v_addc_co_u32_e32 v65, vcc, v45, v47, vcc
	global_load_dwordx4 v[46:49], v[64:65], off offset:48
	global_load_dwordx4 v[50:53], v[64:65], off offset:32
	;; [unrolled: 1-line block ×3, first 2 shown]
	global_load_dwordx4 v[58:61], v[64:65], off
	s_waitcnt vmcnt(0)
	v_fma_f64 v[64:65], v[39:40], v[58:59], v[78:79]
	v_fma_f64 v[64:65], -v[41:42], v[60:61], v[64:65]
	v_fma_f64 v[41:42], v[41:42], v[58:59], v[80:81]
	v_fma_f64 v[39:40], v[39:40], v[60:61], v[41:42]
	v_fma_f64 v[41:42], v[35:36], v[54:55], v[64:65]
	v_fma_f64 v[41:42], -v[37:38], v[56:57], v[41:42]
	v_fma_f64 v[37:38], v[37:38], v[54:55], v[39:40]
	v_fma_f64 v[35:36], v[35:36], v[56:57], v[37:38]
	v_fma_f64 v[37:38], v[31:32], v[50:51], v[41:42]
	v_fma_f64 v[37:38], -v[33:34], v[52:53], v[37:38]
	v_fma_f64 v[33:34], v[33:34], v[50:51], v[35:36]
	v_fma_f64 v[31:32], v[31:32], v[52:53], v[33:34]
	v_fma_f64 v[33:34], v[27:28], v[46:47], v[37:38]
	v_fma_f64 v[66:67], -v[29:30], v[48:49], v[33:34]
	v_fma_f64 v[29:30], v[29:30], v[46:47], v[31:32]
	v_fma_f64 v[68:69], v[27:28], v[48:49], v[29:30]
	global_load_dwordx4 v[27:30], v[23:24], off offset:2160
	global_load_dwordx4 v[31:34], v[23:24], off offset:2144
	global_load_dwordx4 v[35:38], v[23:24], off offset:2128
	global_load_dwordx4 v[39:42], v[23:24], off offset:2112
	s_waitcnt vmcnt(0)
	v_fma_f64 v[64:65], v[39:40], v[58:59], v[82:83]
	v_fma_f64 v[64:65], -v[41:42], v[60:61], v[64:65]
	v_fma_f64 v[41:42], v[41:42], v[58:59], v[84:85]
	v_fma_f64 v[39:40], v[39:40], v[60:61], v[41:42]
	v_fma_f64 v[41:42], v[35:36], v[54:55], v[64:65]
	v_fma_f64 v[41:42], -v[37:38], v[56:57], v[41:42]
	v_fma_f64 v[37:38], v[37:38], v[54:55], v[39:40]
	v_fma_f64 v[35:36], v[35:36], v[56:57], v[37:38]
	v_fma_f64 v[37:38], v[31:32], v[50:51], v[41:42]
	v_fma_f64 v[37:38], -v[33:34], v[52:53], v[37:38]
	v_fma_f64 v[33:34], v[33:34], v[50:51], v[35:36]
	v_fma_f64 v[31:32], v[31:32], v[52:53], v[33:34]
	v_fma_f64 v[33:34], v[27:28], v[46:47], v[37:38]
	v_fma_f64 v[70:71], -v[29:30], v[48:49], v[33:34]
	v_fma_f64 v[29:30], v[29:30], v[46:47], v[31:32]
	v_fma_f64 v[72:73], v[27:28], v[48:49], v[29:30]
	global_load_dwordx4 v[27:30], v[23:24], off offset:2224
	global_load_dwordx4 v[31:34], v[23:24], off offset:2208
	global_load_dwordx4 v[35:38], v[23:24], off offset:2192
	global_load_dwordx4 v[39:42], v[23:24], off offset:2176
	s_waitcnt vmcnt(0)
	v_fma_f64 v[64:65], v[39:40], v[58:59], v[86:87]
	v_fma_f64 v[64:65], -v[41:42], v[60:61], v[64:65]
	v_fma_f64 v[41:42], v[41:42], v[58:59], v[88:89]
	v_fma_f64 v[39:40], v[39:40], v[60:61], v[41:42]
	v_fma_f64 v[41:42], v[35:36], v[54:55], v[64:65]
	v_fma_f64 v[41:42], -v[37:38], v[56:57], v[41:42]
	v_fma_f64 v[37:38], v[37:38], v[54:55], v[39:40]
	v_fma_f64 v[35:36], v[35:36], v[56:57], v[37:38]
	v_fma_f64 v[37:38], v[31:32], v[50:51], v[41:42]
	v_fma_f64 v[37:38], -v[33:34], v[52:53], v[37:38]
	v_fma_f64 v[33:34], v[33:34], v[50:51], v[35:36]
	v_fma_f64 v[31:32], v[31:32], v[52:53], v[33:34]
	v_fma_f64 v[33:34], v[27:28], v[46:47], v[37:38]
	v_fma_f64 v[74:75], -v[29:30], v[48:49], v[33:34]
	v_fma_f64 v[29:30], v[29:30], v[46:47], v[31:32]
	v_fma_f64 v[76:77], v[27:28], v[48:49], v[29:30]
	global_load_dwordx4 v[27:30], v[23:24], off offset:2288
	global_load_dwordx4 v[31:34], v[23:24], off offset:2272
	global_load_dwordx4 v[35:38], v[23:24], off offset:2256
	global_load_dwordx4 v[39:42], v[23:24], off offset:2240
	s_waitcnt vmcnt(0)
	v_fma_f64 v[43:44], v[39:40], v[58:59], v[43:44]
	v_fma_f64 v[43:44], -v[41:42], v[60:61], v[43:44]
	v_fma_f64 v[41:42], v[41:42], v[58:59], v[62:63]
	v_fma_f64 v[39:40], v[39:40], v[60:61], v[41:42]
	v_fma_f64 v[41:42], v[35:36], v[54:55], v[43:44]
	v_fma_f64 v[41:42], -v[37:38], v[56:57], v[41:42]
	v_fma_f64 v[37:38], v[37:38], v[54:55], v[39:40]
	v_fma_f64 v[35:36], v[35:36], v[56:57], v[37:38]
	;; [unrolled: 4-line block ×3, first 2 shown]
	v_fma_f64 v[33:34], v[27:28], v[46:47], v[37:38]
	v_fma_f64 v[43:44], -v[29:30], v[48:49], v[33:34]
	v_fma_f64 v[29:30], v[29:30], v[46:47], v[31:32]
	v_add_co_u32_e32 v31, vcc, s16, v23
	v_addc_co_u32_e32 v32, vcc, 0, v24, vcc
	v_fma_f64 v[78:79], v[27:28], v[48:49], v[29:30]
	global_load_dwordx2 v[27:28], v[25:26], off
	s_waitcnt vmcnt(0)
	v_sub_co_u32_e32 v33, vcc, v27, v9
	v_subb_co_u32_e32 v34, vcc, v28, v10, vcc
	v_lshlrev_b64 v[33:34], 6, v[33:34]
	global_load_dwordx4 v[27:30], v[31:32], off
	global_load_dwordx4 v[35:38], v[31:32], off offset:48
	global_load_dwordx4 v[39:42], v[31:32], off offset:32
	;; [unrolled: 1-line block ×3, first 2 shown]
	v_add_co_u32_e32 v33, vcc, s10, v33
	v_addc_co_u32_e32 v34, vcc, v45, v34, vcc
	global_load_dwordx4 v[50:53], v[33:34], off offset:48
	global_load_dwordx4 v[54:57], v[33:34], off offset:32
	;; [unrolled: 1-line block ×3, first 2 shown]
	global_load_dwordx4 v[62:65], v[33:34], off
	s_waitcnt vmcnt(0)
	v_fma_f64 v[33:34], v[27:28], v[62:63], v[66:67]
	v_fma_f64 v[33:34], -v[29:30], v[64:65], v[33:34]
	v_fma_f64 v[29:30], v[29:30], v[62:63], v[68:69]
	v_fma_f64 v[27:28], v[27:28], v[64:65], v[29:30]
	;; [unrolled: 1-line block ×4, first 2 shown]
	v_fma_f64 v[29:30], -v[48:49], v[60:61], v[29:30]
	v_fma_f64 v[27:28], v[46:47], v[60:61], v[27:28]
	v_fma_f64 v[29:30], v[39:40], v[54:55], v[29:30]
	;; [unrolled: 1-line block ×3, first 2 shown]
	v_fma_f64 v[29:30], -v[41:42], v[56:57], v[29:30]
	v_fma_f64 v[27:28], v[39:40], v[56:57], v[27:28]
	v_fma_f64 v[29:30], v[35:36], v[50:51], v[29:30]
	;; [unrolled: 1-line block ×3, first 2 shown]
	v_fma_f64 v[33:34], -v[37:38], v[52:53], v[29:30]
	v_fma_f64 v[41:42], v[35:36], v[52:53], v[27:28]
	global_load_dwordx4 v[27:30], v[31:32], off offset:112
	global_load_dwordx4 v[35:38], v[31:32], off offset:96
	;; [unrolled: 1-line block ×4, first 2 shown]
	s_waitcnt vmcnt(0)
	v_fma_f64 v[39:40], v[66:67], v[62:63], v[70:71]
	v_fma_f64 v[39:40], -v[68:69], v[64:65], v[39:40]
	v_fma_f64 v[68:69], v[68:69], v[62:63], v[72:73]
	v_fma_f64 v[39:40], v[46:47], v[58:59], v[39:40]
	v_fma_f64 v[66:67], v[66:67], v[64:65], v[68:69]
	v_fma_f64 v[39:40], -v[48:49], v[60:61], v[39:40]
	v_fma_f64 v[48:49], v[48:49], v[58:59], v[66:67]
	v_fma_f64 v[39:40], v[35:36], v[54:55], v[39:40]
	;; [unrolled: 4-line block ×4, first 2 shown]
	global_load_dwordx4 v[46:49], v[31:32], off offset:176
	global_load_dwordx4 v[27:30], v[31:32], off offset:160
	global_load_dwordx4 v[66:69], v[31:32], off offset:144
	global_load_dwordx4 v[70:73], v[31:32], off offset:128
	s_waitcnt vmcnt(0)
	v_fma_f64 v[35:36], v[70:71], v[62:63], v[74:75]
	v_fma_f64 v[35:36], -v[72:73], v[64:65], v[35:36]
	v_fma_f64 v[72:73], v[72:73], v[62:63], v[76:77]
	v_fma_f64 v[35:36], v[66:67], v[58:59], v[35:36]
	v_fma_f64 v[70:71], v[70:71], v[64:65], v[72:73]
	v_fma_f64 v[35:36], -v[68:69], v[60:61], v[35:36]
	v_fma_f64 v[68:69], v[68:69], v[58:59], v[70:71]
	v_fma_f64 v[35:36], v[27:28], v[54:55], v[35:36]
	;; [unrolled: 4-line block ×3, first 2 shown]
	v_fma_f64 v[27:28], v[46:47], v[50:51], v[35:36]
	v_fma_f64 v[29:30], v[48:49], v[50:51], v[29:30]
	v_fma_f64 v[27:28], -v[48:49], v[52:53], v[27:28]
	v_fma_f64 v[29:30], v[46:47], v[52:53], v[29:30]
	global_load_dwordx4 v[46:49], v[31:32], off offset:240
	global_load_dwordx4 v[66:69], v[31:32], off offset:224
	;; [unrolled: 1-line block ×4, first 2 shown]
	s_waitcnt vmcnt(0)
	v_fma_f64 v[35:36], v[74:75], v[62:63], v[43:44]
	v_fma_f64 v[43:44], v[76:77], v[62:63], v[78:79]
	v_fma_f64 v[35:36], -v[76:77], v[64:65], v[35:36]
	v_fma_f64 v[43:44], v[74:75], v[64:65], v[43:44]
	v_fma_f64 v[35:36], v[70:71], v[58:59], v[35:36]
	v_fma_f64 v[43:44], v[72:73], v[58:59], v[43:44]
	v_fma_f64 v[35:36], -v[72:73], v[60:61], v[35:36]
	v_fma_f64 v[43:44], v[70:71], v[60:61], v[43:44]
	;; [unrolled: 4-line block ×3, first 2 shown]
	v_fma_f64 v[35:36], v[46:47], v[50:51], v[35:36]
	v_fma_f64 v[43:44], -v[48:49], v[52:53], v[35:36]
	v_fma_f64 v[35:36], v[48:49], v[50:51], v[54:55]
	v_fma_f64 v[35:36], v[46:47], v[52:53], v[35:36]
	global_load_dwordx2 v[46:47], v[25:26], off offset:64
	s_waitcnt vmcnt(0)
	v_sub_co_u32_e32 v62, vcc, v46, v9
	v_subb_co_u32_e32 v63, vcc, v47, v10, vcc
	v_lshlrev_b64 v[62:63], 6, v[62:63]
	global_load_dwordx4 v[46:49], v[31:32], off offset:2096
	global_load_dwordx4 v[50:53], v[31:32], off offset:2080
	;; [unrolled: 1-line block ×4, first 2 shown]
	v_add_co_u32_e32 v78, vcc, s10, v62
	v_addc_co_u32_e32 v79, vcc, v45, v63, vcc
	global_load_dwordx4 v[62:65], v[78:79], off offset:48
	global_load_dwordx4 v[66:69], v[78:79], off offset:32
	;; [unrolled: 1-line block ×3, first 2 shown]
	global_load_dwordx4 v[74:77], v[78:79], off
	v_add_co_u32_e32 v19, vcc, 32, v19
	v_addc_co_u32_e32 v20, vcc, 0, v20, vcc
	v_add_co_u32_e32 v25, vcc, 0x100, v25
	v_addc_co_u32_e32 v26, vcc, 0, v26, vcc
	v_cmp_ge_i64_e64 s[2:3], v[19:20], v[13:14]
	v_add_co_u32_e32 v23, vcc, 0x2000, v23
	v_addc_co_u32_e32 v24, vcc, 0, v24, vcc
	s_or_b64 s[8:9], s[2:3], s[8:9]
	s_waitcnt vmcnt(0)
	v_fma_f64 v[33:34], v[58:59], v[74:75], v[33:34]
	v_fma_f64 v[41:42], v[60:61], v[74:75], v[41:42]
	v_fma_f64 v[33:34], -v[60:61], v[76:77], v[33:34]
	v_fma_f64 v[41:42], v[58:59], v[76:77], v[41:42]
	v_fma_f64 v[33:34], v[54:55], v[70:71], v[33:34]
	v_fma_f64 v[41:42], v[56:57], v[70:71], v[41:42]
	v_fma_f64 v[33:34], -v[56:57], v[72:73], v[33:34]
	v_fma_f64 v[41:42], v[54:55], v[72:73], v[41:42]
	v_fma_f64 v[33:34], v[50:51], v[66:67], v[33:34]
	v_fma_f64 v[41:42], v[52:53], v[66:67], v[41:42]
	v_fma_f64 v[33:34], -v[52:53], v[68:69], v[33:34]
	v_fma_f64 v[50:51], v[50:51], v[68:69], v[41:42]
	v_fma_f64 v[33:34], v[46:47], v[62:63], v[33:34]
	v_fma_f64 v[41:42], -v[48:49], v[64:65], v[33:34]
	v_fma_f64 v[33:34], v[48:49], v[62:63], v[50:51]
	v_fma_f64 v[33:34], v[46:47], v[64:65], v[33:34]
	global_load_dwordx4 v[46:49], v[31:32], off offset:2160
	global_load_dwordx4 v[50:53], v[31:32], off offset:2144
	global_load_dwordx4 v[54:57], v[31:32], off offset:2128
	global_load_dwordx4 v[58:61], v[31:32], off offset:2112
	s_waitcnt vmcnt(0)
	v_fma_f64 v[37:38], v[58:59], v[74:75], v[37:38]
	v_fma_f64 v[39:40], v[60:61], v[74:75], v[39:40]
	v_fma_f64 v[37:38], -v[60:61], v[76:77], v[37:38]
	v_fma_f64 v[39:40], v[58:59], v[76:77], v[39:40]
	v_fma_f64 v[37:38], v[54:55], v[70:71], v[37:38]
	v_fma_f64 v[39:40], v[56:57], v[70:71], v[39:40]
	v_fma_f64 v[37:38], -v[56:57], v[72:73], v[37:38]
	v_fma_f64 v[39:40], v[54:55], v[72:73], v[39:40]
	v_fma_f64 v[37:38], v[50:51], v[66:67], v[37:38]
	v_fma_f64 v[39:40], v[52:53], v[66:67], v[39:40]
	v_fma_f64 v[37:38], -v[52:53], v[68:69], v[37:38]
	v_fma_f64 v[50:51], v[50:51], v[68:69], v[39:40]
	v_fma_f64 v[37:38], v[46:47], v[62:63], v[37:38]
	v_fma_f64 v[39:40], -v[48:49], v[64:65], v[37:38]
	v_fma_f64 v[37:38], v[48:49], v[62:63], v[50:51]
	v_fma_f64 v[37:38], v[46:47], v[64:65], v[37:38]
	global_load_dwordx4 v[46:49], v[31:32], off offset:2224
	global_load_dwordx4 v[50:53], v[31:32], off offset:2208
	global_load_dwordx4 v[54:57], v[31:32], off offset:2192
	global_load_dwordx4 v[58:61], v[31:32], off offset:2176
	;; [unrolled: 21-line block ×3, first 2 shown]
	s_waitcnt vmcnt(0)
	v_fma_f64 v[31:32], v[58:59], v[74:75], v[43:44]
	v_fma_f64 v[35:36], v[60:61], v[74:75], v[35:36]
	v_fma_f64 v[31:32], -v[60:61], v[76:77], v[31:32]
	v_fma_f64 v[35:36], v[58:59], v[76:77], v[35:36]
	v_fma_f64 v[31:32], v[54:55], v[70:71], v[31:32]
	v_fma_f64 v[35:36], v[56:57], v[70:71], v[35:36]
	v_fma_f64 v[31:32], -v[56:57], v[72:73], v[31:32]
	v_fma_f64 v[35:36], v[54:55], v[72:73], v[35:36]
	v_fma_f64 v[31:32], v[50:51], v[66:67], v[31:32]
	v_fma_f64 v[35:36], v[52:53], v[66:67], v[35:36]
	v_fma_f64 v[31:32], -v[52:53], v[68:69], v[31:32]
	v_fma_f64 v[43:44], v[50:51], v[68:69], v[35:36]
	v_fma_f64 v[31:32], v[46:47], v[62:63], v[31:32]
	v_fma_f64 v[35:36], -v[48:49], v[64:65], v[31:32]
	v_fma_f64 v[31:32], v[48:49], v[62:63], v[43:44]
	v_fma_f64 v[31:32], v[46:47], v[64:65], v[31:32]
	s_andn2_b64 exec, exec, s[8:9]
	s_cbranch_execnz .LBB56_21
; %bb.22:
	s_or_b64 exec, exec, s[8:9]
.LBB56_23:
	s_or_b64 exec, exec, s[6:7]
.LBB56_24:
	s_or_b64 exec, exec, s[14:15]
	s_cbranch_execz .LBB56_26
	s_branch .LBB56_37
.LBB56_25:
                                        ; implicit-def: $vgpr33_vgpr34
                                        ; implicit-def: $vgpr41_vgpr42
                                        ; implicit-def: $vgpr35_vgpr36
                                        ; implicit-def: $vgpr31_vgpr32
                                        ; implicit-def: $vgpr29_vgpr30
                                        ; implicit-def: $vgpr27_vgpr28
                                        ; implicit-def: $vgpr39_vgpr40
                                        ; implicit-def: $vgpr37_vgpr38
.LBB56_26:
	v_mov_b32_e32 v33, 0
	v_mov_b32_e32 v41, 0
	;; [unrolled: 1-line block ×16, first 2 shown]
	s_and_saveexec_b64 s[2:3], s[0:1]
	s_cbranch_execz .LBB56_36
; %bb.27:
	v_or_b32_e32 v19, 8, v0
	v_sub_co_u32_e32 v19, vcc, v19, v9
	v_subb_co_u32_e32 v20, vcc, 0, v10, vcc
	v_add_co_u32_e32 v19, vcc, v19, v17
	v_addc_co_u32_e32 v20, vcc, v20, v18, vcc
	v_cmp_gt_i64_e32 vcc, v[19:20], v[13:14]
	v_not_b32_e32 v17, v17
	v_cndmask_b32_e32 v20, v14, v20, vcc
	v_cndmask_b32_e32 v19, v13, v19, vcc
	v_sub_co_u32_e32 v23, vcc, v9, v0
	v_subbrev_co_u32_e32 v24, vcc, 0, v10, vcc
	v_not_b32_e32 v18, v18
	v_add_co_u32_e32 v17, vcc, v23, v17
	v_addc_co_u32_e32 v18, vcc, v24, v18, vcc
	v_add_co_u32_e32 v17, vcc, v17, v19
	v_addc_co_u32_e32 v18, vcc, v18, v20, vcc
	v_and_b32_e32 v19, 24, v17
	v_mov_b32_e32 v20, 0
	v_cmp_ne_u64_e32 vcc, 24, v[19:20]
	v_mov_b32_e32 v37, 0
	v_mov_b32_e32 v39, 0
	;; [unrolled: 1-line block ×16, first 2 shown]
	s_and_saveexec_b64 s[0:1], vcc
	s_cbranch_execz .LBB56_31
; %bb.28:
	v_lshrrev_b32_e32 v19, 3, v17
	v_add_u32_e32 v19, 1, v19
	v_and_b32_e32 v23, 3, v19
	v_lshlrev_b64 v[19:20], 3, v[11:12]
	v_mov_b32_e32 v24, s13
	v_add_co_u32_e32 v19, vcc, s12, v19
	v_addc_co_u32_e32 v20, vcc, v24, v20, vcc
	v_sub_co_u32_e32 v23, vcc, 0, v23
	v_subb_co_u32_e64 v24, s[8:9], 0, 0, vcc
	v_mov_b32_e32 v33, 0
	v_mov_b32_e32 v41, 0
	;; [unrolled: 1-line block ×8, first 2 shown]
	s_mov_b64 s[6:7], 0
	v_mov_b32_e32 v34, 0
	v_mov_b32_e32 v42, 0
	;; [unrolled: 1-line block ×8, first 2 shown]
	s_movk_i32 s8, 0x800
.LBB56_29:                              ; =>This Inner Loop Header: Depth=1
	global_load_dwordx2 v[25:26], v[19:20], off
	v_mov_b32_e32 v59, s11
	global_load_dwordx4 v[43:46], v[15:16], off offset:48
	global_load_dwordx4 v[47:50], v[15:16], off offset:32
	;; [unrolled: 1-line block ×3, first 2 shown]
	global_load_dwordx4 v[55:58], v[15:16], off
	s_waitcnt vmcnt(4)
	v_sub_co_u32_e32 v25, vcc, v25, v9
	v_subb_co_u32_e32 v26, vcc, v26, v10, vcc
	v_lshlrev_b64 v[25:26], 6, v[25:26]
	v_add_co_u32_e32 v25, vcc, s10, v25
	v_addc_co_u32_e32 v26, vcc, v59, v26, vcc
	global_load_dwordx4 v[59:62], v[25:26], off offset:48
	global_load_dwordx4 v[63:66], v[25:26], off offset:32
	global_load_dwordx4 v[67:70], v[25:26], off offset:16
	global_load_dwordx4 v[71:74], v[25:26], off
	s_waitcnt vmcnt(0)
	v_fma_f64 v[25:26], v[55:56], v[71:72], v[41:42]
	v_fma_f64 v[41:42], -v[57:58], v[73:74], v[25:26]
	v_fma_f64 v[25:26], v[57:58], v[71:72], v[33:34]
	v_fma_f64 v[55:56], v[55:56], v[73:74], v[25:26]
	v_fma_f64 v[25:26], v[51:52], v[71:72], v[39:40]
	v_fma_f64 v[57:58], -v[53:54], v[73:74], v[25:26]
	v_fma_f64 v[25:26], v[53:54], v[71:72], v[37:38]
	v_fma_f64 v[51:52], v[51:52], v[73:74], v[25:26]
	v_fma_f64 v[25:26], v[47:48], v[71:72], v[29:30]
	v_fma_f64 v[53:54], -v[49:50], v[73:74], v[25:26]
	v_fma_f64 v[25:26], v[49:50], v[71:72], v[27:28]
	v_fma_f64 v[47:48], v[47:48], v[73:74], v[25:26]
	v_fma_f64 v[25:26], v[43:44], v[71:72], v[35:36]
	v_fma_f64 v[49:50], -v[45:46], v[73:74], v[25:26]
	v_fma_f64 v[25:26], v[45:46], v[71:72], v[31:32]
	v_fma_f64 v[43:44], v[43:44], v[73:74], v[25:26]
	global_load_dwordx4 v[25:28], v[15:16], off offset:112
	global_load_dwordx4 v[29:32], v[15:16], off offset:96
	global_load_dwordx4 v[33:36], v[15:16], off offset:80
	global_load_dwordx4 v[37:40], v[15:16], off offset:64
	s_waitcnt vmcnt(0)
	v_fma_f64 v[41:42], v[37:38], v[67:68], v[41:42]
	v_fma_f64 v[41:42], -v[39:40], v[69:70], v[41:42]
	v_fma_f64 v[39:40], v[39:40], v[67:68], v[55:56]
	v_fma_f64 v[45:46], v[37:38], v[69:70], v[39:40]
	v_fma_f64 v[37:38], v[33:34], v[67:68], v[57:58]
	v_fma_f64 v[55:56], -v[35:36], v[69:70], v[37:38]
	v_fma_f64 v[35:36], v[35:36], v[67:68], v[51:52]
	v_fma_f64 v[51:52], v[33:34], v[69:70], v[35:36]
	v_fma_f64 v[33:34], v[29:30], v[67:68], v[53:54]
	v_fma_f64 v[53:54], -v[31:32], v[69:70], v[33:34]
	v_fma_f64 v[31:32], v[31:32], v[67:68], v[47:48]
	v_fma_f64 v[47:48], v[29:30], v[69:70], v[31:32]
	v_fma_f64 v[29:30], v[25:26], v[67:68], v[49:50]
	v_fma_f64 v[49:50], -v[27:28], v[69:70], v[29:30]
	v_fma_f64 v[27:28], v[27:28], v[67:68], v[43:44]
	v_fma_f64 v[43:44], v[25:26], v[69:70], v[27:28]
	global_load_dwordx4 v[25:28], v[15:16], off offset:176
	global_load_dwordx4 v[29:32], v[15:16], off offset:160
	global_load_dwordx4 v[33:36], v[15:16], off offset:144
	global_load_dwordx4 v[37:40], v[15:16], off offset:128
	;; [unrolled: 21-line block ×3, first 2 shown]
	v_add_co_u32_e32 v15, vcc, s8, v15
	v_addc_co_u32_e32 v16, vcc, 0, v16, vcc
	v_add_co_u32_e32 v11, vcc, 8, v11
	v_addc_co_u32_e32 v12, vcc, 0, v12, vcc
	;; [unrolled: 2-line block ×4, first 2 shown]
	v_cmp_eq_u64_e32 vcc, 0, v[23:24]
	s_or_b64 s[6:7], vcc, s[6:7]
	s_waitcnt vmcnt(0)
	v_fma_f64 v[41:42], v[33:34], v[59:60], v[41:42]
	v_fma_f64 v[41:42], -v[35:36], v[61:62], v[41:42]
	v_fma_f64 v[35:36], v[35:36], v[59:60], v[37:38]
	v_fma_f64 v[33:34], v[33:34], v[61:62], v[35:36]
	v_fma_f64 v[35:36], v[29:30], v[59:60], v[39:40]
	v_fma_f64 v[39:40], -v[31:32], v[61:62], v[35:36]
	v_fma_f64 v[31:32], v[31:32], v[59:60], v[51:52]
	v_fma_f64 v[37:38], v[29:30], v[61:62], v[31:32]
	;; [unrolled: 4-line block ×4, first 2 shown]
	s_andn2_b64 exec, exec, s[6:7]
	s_cbranch_execnz .LBB56_29
; %bb.30:
	s_or_b64 exec, exec, s[6:7]
.LBB56_31:
	s_or_b64 exec, exec, s[0:1]
	v_cmp_lt_u64_e32 vcc, 23, v[17:18]
	s_and_saveexec_b64 s[6:7], vcc
	s_cbranch_execz .LBB56_35
; %bb.32:
	v_lshlrev_b64 v[17:18], 3, v[11:12]
	v_mov_b32_e32 v19, s13
	v_add_co_u32_e32 v17, vcc, s12, v17
	v_addc_co_u32_e32 v18, vcc, v19, v18, vcc
	v_add_co_u32_e32 v17, vcc, 0x80, v17
	v_addc_co_u32_e32 v18, vcc, 0, v18, vcc
	s_mov_b64 s[8:9], 0
	v_mov_b32_e32 v43, s11
	s_movk_i32 s11, 0x1000
.LBB56_33:                              ; =>This Inner Loop Header: Depth=1
	global_load_dwordx2 v[19:20], v[17:18], off offset:-128
	global_load_dwordx4 v[23:26], v[15:16], off offset:48
	global_load_dwordx4 v[44:47], v[15:16], off offset:32
	;; [unrolled: 1-line block ×3, first 2 shown]
	global_load_dwordx4 v[52:55], v[15:16], off
	s_waitcnt vmcnt(4)
	v_sub_co_u32_e32 v19, vcc, v19, v9
	v_subb_co_u32_e32 v20, vcc, v20, v10, vcc
	v_lshlrev_b64 v[19:20], 6, v[19:20]
	v_add_co_u32_e32 v19, vcc, s10, v19
	v_addc_co_u32_e32 v20, vcc, v43, v20, vcc
	global_load_dwordx4 v[56:59], v[19:20], off offset:48
	global_load_dwordx4 v[60:63], v[19:20], off offset:32
	;; [unrolled: 1-line block ×3, first 2 shown]
	global_load_dwordx4 v[68:71], v[19:20], off
	s_waitcnt vmcnt(0)
	v_fma_f64 v[33:34], v[54:55], v[68:69], v[33:34]
	v_fma_f64 v[27:28], v[46:47], v[68:69], v[27:28]
	;; [unrolled: 1-line block ×8, first 2 shown]
	v_fma_f64 v[19:20], -v[54:55], v[70:71], v[19:20]
	v_fma_f64 v[39:40], -v[50:51], v[70:71], v[33:34]
	v_fma_f64 v[33:34], v[50:51], v[68:69], v[37:38]
	v_fma_f64 v[50:51], -v[46:47], v[70:71], v[29:30]
	v_fma_f64 v[46:47], -v[25:26], v[70:71], v[27:28]
	v_fma_f64 v[25:26], v[25:26], v[68:69], v[31:32]
	v_fma_f64 v[48:49], v[48:49], v[70:71], v[33:34]
	;; [unrolled: 1-line block ×3, first 2 shown]
	global_load_dwordx4 v[23:26], v[15:16], off offset:112
	global_load_dwordx4 v[27:30], v[15:16], off offset:96
	global_load_dwordx4 v[31:34], v[15:16], off offset:80
	global_load_dwordx4 v[35:38], v[15:16], off offset:64
	s_waitcnt vmcnt(0)
	v_fma_f64 v[19:20], v[35:36], v[64:65], v[19:20]
	v_fma_f64 v[19:20], -v[37:38], v[66:67], v[19:20]
	v_fma_f64 v[37:38], v[37:38], v[64:65], v[41:42]
	v_fma_f64 v[41:42], v[35:36], v[66:67], v[37:38]
	v_fma_f64 v[35:36], v[31:32], v[64:65], v[39:40]
	v_fma_f64 v[39:40], -v[33:34], v[66:67], v[35:36]
	v_fma_f64 v[33:34], v[33:34], v[64:65], v[48:49]
	v_fma_f64 v[48:49], v[31:32], v[66:67], v[33:34]
	v_fma_f64 v[31:32], v[27:28], v[64:65], v[50:51]
	v_fma_f64 v[50:51], -v[29:30], v[66:67], v[31:32]
	v_fma_f64 v[29:30], v[29:30], v[64:65], v[44:45]
	v_fma_f64 v[44:45], v[27:28], v[66:67], v[29:30]
	v_fma_f64 v[27:28], v[23:24], v[64:65], v[46:47]
	v_fma_f64 v[46:47], -v[25:26], v[66:67], v[27:28]
	v_fma_f64 v[25:26], v[25:26], v[64:65], v[52:53]
	v_fma_f64 v[52:53], v[23:24], v[66:67], v[25:26]
	global_load_dwordx4 v[23:26], v[15:16], off offset:176
	global_load_dwordx4 v[27:30], v[15:16], off offset:160
	global_load_dwordx4 v[31:34], v[15:16], off offset:144
	global_load_dwordx4 v[35:38], v[15:16], off offset:128
	s_waitcnt vmcnt(0)
	v_fma_f64 v[19:20], v[35:36], v[60:61], v[19:20]
	v_fma_f64 v[19:20], -v[37:38], v[62:63], v[19:20]
	v_fma_f64 v[37:38], v[37:38], v[60:61], v[41:42]
	v_fma_f64 v[41:42], v[35:36], v[62:63], v[37:38]
	v_fma_f64 v[35:36], v[31:32], v[60:61], v[39:40]
	v_fma_f64 v[39:40], -v[33:34], v[62:63], v[35:36]
	v_fma_f64 v[33:34], v[33:34], v[60:61], v[48:49]
	v_fma_f64 v[48:49], v[31:32], v[62:63], v[33:34]
	v_fma_f64 v[31:32], v[27:28], v[60:61], v[50:51]
	v_fma_f64 v[50:51], -v[29:30], v[62:63], v[31:32]
	v_fma_f64 v[29:30], v[29:30], v[60:61], v[44:45]
	v_fma_f64 v[44:45], v[27:28], v[62:63], v[29:30]
	v_fma_f64 v[27:28], v[23:24], v[60:61], v[46:47]
	v_fma_f64 v[46:47], -v[25:26], v[62:63], v[27:28]
	v_fma_f64 v[25:26], v[25:26], v[60:61], v[52:53]
	v_fma_f64 v[52:53], v[23:24], v[62:63], v[25:26]
	;; [unrolled: 21-line block ×3, first 2 shown]
	global_load_dwordx2 v[23:24], v[17:18], off offset:-64
	s_waitcnt vmcnt(0)
	v_sub_co_u32_e32 v39, vcc, v23, v9
	v_subb_co_u32_e32 v40, vcc, v24, v10, vcc
	v_lshlrev_b64 v[39:40], 6, v[39:40]
	global_load_dwordx4 v[23:26], v[15:16], off offset:2096
	global_load_dwordx4 v[27:30], v[15:16], off offset:2080
	global_load_dwordx4 v[31:34], v[15:16], off offset:2064
	global_load_dwordx4 v[35:38], v[15:16], off offset:2048
	v_add_co_u32_e32 v58, vcc, s10, v39
	v_addc_co_u32_e32 v59, vcc, v43, v40, vcc
	global_load_dwordx4 v[39:42], v[58:59], off offset:48
	global_load_dwordx4 v[44:47], v[58:59], off offset:32
	;; [unrolled: 1-line block ×3, first 2 shown]
	global_load_dwordx4 v[52:55], v[58:59], off
	s_waitcnt vmcnt(0)
	v_fma_f64 v[19:20], v[35:36], v[52:53], v[19:20]
	v_fma_f64 v[19:20], -v[37:38], v[54:55], v[19:20]
	v_fma_f64 v[37:38], v[37:38], v[52:53], v[60:61]
	v_fma_f64 v[58:59], v[35:36], v[54:55], v[37:38]
	v_fma_f64 v[35:36], v[31:32], v[52:53], v[62:63]
	v_fma_f64 v[60:61], -v[33:34], v[54:55], v[35:36]
	v_fma_f64 v[33:34], v[33:34], v[52:53], v[64:65]
	v_fma_f64 v[62:63], v[31:32], v[54:55], v[33:34]
	v_fma_f64 v[31:32], v[27:28], v[52:53], v[66:67]
	v_fma_f64 v[64:65], -v[29:30], v[54:55], v[31:32]
	v_fma_f64 v[29:30], v[29:30], v[52:53], v[68:69]
	v_fma_f64 v[66:67], v[27:28], v[54:55], v[29:30]
	v_fma_f64 v[27:28], v[23:24], v[52:53], v[70:71]
	v_fma_f64 v[68:69], -v[25:26], v[54:55], v[27:28]
	v_fma_f64 v[25:26], v[25:26], v[52:53], v[56:57]
	v_fma_f64 v[52:53], v[23:24], v[54:55], v[25:26]
	global_load_dwordx4 v[23:26], v[15:16], off offset:2160
	global_load_dwordx4 v[27:30], v[15:16], off offset:2144
	global_load_dwordx4 v[31:34], v[15:16], off offset:2128
	global_load_dwordx4 v[35:38], v[15:16], off offset:2112
	s_waitcnt vmcnt(0)
	v_fma_f64 v[19:20], v[35:36], v[48:49], v[19:20]
	v_fma_f64 v[19:20], -v[37:38], v[50:51], v[19:20]
	v_fma_f64 v[37:38], v[37:38], v[48:49], v[58:59]
	v_fma_f64 v[54:55], v[35:36], v[50:51], v[37:38]
	v_fma_f64 v[35:36], v[31:32], v[48:49], v[60:61]
	v_fma_f64 v[56:57], -v[33:34], v[50:51], v[35:36]
	v_fma_f64 v[33:34], v[33:34], v[48:49], v[62:63]
	v_fma_f64 v[58:59], v[31:32], v[50:51], v[33:34]
	v_fma_f64 v[31:32], v[27:28], v[48:49], v[64:65]
	v_fma_f64 v[60:61], -v[29:30], v[50:51], v[31:32]
	v_fma_f64 v[29:30], v[29:30], v[48:49], v[66:67]
	v_fma_f64 v[62:63], v[27:28], v[50:51], v[29:30]
	v_fma_f64 v[27:28], v[23:24], v[48:49], v[68:69]
	v_fma_f64 v[64:65], -v[25:26], v[50:51], v[27:28]
	v_fma_f64 v[25:26], v[25:26], v[48:49], v[52:53]
	v_fma_f64 v[48:49], v[23:24], v[50:51], v[25:26]
	global_load_dwordx4 v[23:26], v[15:16], off offset:2224
	global_load_dwordx4 v[27:30], v[15:16], off offset:2208
	global_load_dwordx4 v[31:34], v[15:16], off offset:2192
	global_load_dwordx4 v[35:38], v[15:16], off offset:2176
	;; [unrolled: 21-line block ×3, first 2 shown]
	s_waitcnt vmcnt(0)
	v_fma_f64 v[19:20], v[35:36], v[39:40], v[19:20]
	v_fma_f64 v[62:63], -v[37:38], v[41:42], v[19:20]
	v_fma_f64 v[19:20], v[37:38], v[39:40], v[50:51]
	v_fma_f64 v[64:65], v[35:36], v[41:42], v[19:20]
	v_fma_f64 v[19:20], v[31:32], v[39:40], v[52:53]
	v_fma_f64 v[66:67], -v[33:34], v[41:42], v[19:20]
	v_fma_f64 v[19:20], v[33:34], v[39:40], v[54:55]
	v_fma_f64 v[68:69], v[31:32], v[41:42], v[19:20]
	;; [unrolled: 4-line block ×4, first 2 shown]
	global_load_dwordx2 v[23:24], v[17:18], off
	v_add_co_u32_e32 v19, vcc, s11, v15
	v_addc_co_u32_e32 v20, vcc, 0, v16, vcc
	s_waitcnt vmcnt(0)
	v_sub_co_u32_e32 v39, vcc, v23, v9
	v_subb_co_u32_e32 v40, vcc, v24, v10, vcc
	v_lshlrev_b64 v[39:40], 6, v[39:40]
	global_load_dwordx4 v[23:26], v[19:20], off
	global_load_dwordx4 v[27:30], v[19:20], off offset:48
	global_load_dwordx4 v[31:34], v[19:20], off offset:32
	global_load_dwordx4 v[35:38], v[19:20], off offset:16
	v_add_co_u32_e32 v72, vcc, s10, v39
	v_addc_co_u32_e32 v73, vcc, v43, v40, vcc
	global_load_dwordx4 v[39:42], v[72:73], off offset:48
	global_load_dwordx4 v[44:47], v[72:73], off offset:32
	;; [unrolled: 1-line block ×3, first 2 shown]
	global_load_dwordx4 v[52:55], v[72:73], off
	s_waitcnt vmcnt(0)
	v_fma_f64 v[62:63], v[23:24], v[52:53], v[62:63]
	v_fma_f64 v[62:63], -v[25:26], v[54:55], v[62:63]
	v_fma_f64 v[25:26], v[25:26], v[52:53], v[64:65]
	v_fma_f64 v[64:65], v[23:24], v[54:55], v[25:26]
	v_fma_f64 v[23:24], v[35:36], v[52:53], v[66:67]
	v_fma_f64 v[66:67], -v[37:38], v[54:55], v[23:24]
	v_fma_f64 v[23:24], v[37:38], v[52:53], v[68:69]
	v_fma_f64 v[68:69], v[35:36], v[54:55], v[23:24]
	v_fma_f64 v[23:24], v[31:32], v[52:53], v[56:57]
	v_fma_f64 v[56:57], -v[33:34], v[54:55], v[23:24]
	v_fma_f64 v[23:24], v[33:34], v[52:53], v[58:59]
	v_fma_f64 v[58:59], v[31:32], v[54:55], v[23:24]
	v_fma_f64 v[23:24], v[27:28], v[52:53], v[60:61]
	v_fma_f64 v[60:61], -v[29:30], v[54:55], v[23:24]
	v_fma_f64 v[23:24], v[29:30], v[52:53], v[70:71]
	v_fma_f64 v[52:53], v[27:28], v[54:55], v[23:24]
	global_load_dwordx4 v[23:26], v[19:20], off offset:112
	global_load_dwordx4 v[27:30], v[19:20], off offset:96
	global_load_dwordx4 v[31:34], v[19:20], off offset:80
	global_load_dwordx4 v[35:38], v[19:20], off offset:64
	s_waitcnt vmcnt(0)
	v_fma_f64 v[54:55], v[35:36], v[48:49], v[62:63]
	v_fma_f64 v[54:55], -v[37:38], v[50:51], v[54:55]
	v_fma_f64 v[37:38], v[37:38], v[48:49], v[64:65]
	v_fma_f64 v[62:63], v[35:36], v[50:51], v[37:38]
	v_fma_f64 v[35:36], v[31:32], v[48:49], v[66:67]
	v_fma_f64 v[64:65], -v[33:34], v[50:51], v[35:36]
	v_fma_f64 v[33:34], v[33:34], v[48:49], v[68:69]
	v_fma_f64 v[66:67], v[31:32], v[50:51], v[33:34]
	v_fma_f64 v[31:32], v[27:28], v[48:49], v[56:57]
	v_fma_f64 v[56:57], -v[29:30], v[50:51], v[31:32]
	v_fma_f64 v[29:30], v[29:30], v[48:49], v[58:59]
	v_fma_f64 v[58:59], v[27:28], v[50:51], v[29:30]
	v_fma_f64 v[27:28], v[23:24], v[48:49], v[60:61]
	v_fma_f64 v[60:61], -v[25:26], v[50:51], v[27:28]
	v_fma_f64 v[25:26], v[25:26], v[48:49], v[52:53]
	v_fma_f64 v[48:49], v[23:24], v[50:51], v[25:26]
	global_load_dwordx4 v[23:26], v[19:20], off offset:176
	global_load_dwordx4 v[27:30], v[19:20], off offset:160
	global_load_dwordx4 v[31:34], v[19:20], off offset:144
	global_load_dwordx4 v[35:38], v[19:20], off offset:128
	;; [unrolled: 21-line block ×3, first 2 shown]
	s_waitcnt vmcnt(0)
	v_fma_f64 v[23:24], v[25:26], v[39:40], v[50:51]
	v_fma_f64 v[23:24], -v[27:28], v[41:42], v[23:24]
	v_fma_f64 v[27:28], v[27:28], v[39:40], v[37:38]
	v_fma_f64 v[37:38], v[46:47], v[39:40], v[48:49]
	;; [unrolled: 1-line block ×5, first 2 shown]
	v_fma_f64 v[27:28], -v[31:32], v[41:42], v[27:28]
	v_fma_f64 v[31:32], v[31:32], v[39:40], v[54:55]
	v_fma_f64 v[29:30], v[29:30], v[41:42], v[31:32]
	;; [unrolled: 1-line block ×3, first 2 shown]
	v_fma_f64 v[31:32], -v[35:36], v[41:42], v[31:32]
	v_fma_f64 v[35:36], v[35:36], v[39:40], v[58:59]
	v_fma_f64 v[33:34], v[33:34], v[41:42], v[35:36]
	;; [unrolled: 1-line block ×3, first 2 shown]
	global_load_dwordx2 v[39:40], v[17:18], off offset:64
	v_fma_f64 v[35:36], -v[46:47], v[41:42], v[35:36]
	s_waitcnt vmcnt(0)
	v_sub_co_u32_e32 v56, vcc, v39, v9
	v_subb_co_u32_e32 v57, vcc, v40, v10, vcc
	v_lshlrev_b64 v[56:57], 6, v[56:57]
	global_load_dwordx4 v[39:42], v[19:20], off offset:2096
	global_load_dwordx4 v[44:47], v[19:20], off offset:2080
	;; [unrolled: 1-line block ×4, first 2 shown]
	v_add_co_u32_e32 v72, vcc, s10, v56
	v_addc_co_u32_e32 v73, vcc, v43, v57, vcc
	global_load_dwordx4 v[56:59], v[72:73], off offset:48
	global_load_dwordx4 v[60:63], v[72:73], off offset:32
	;; [unrolled: 1-line block ×3, first 2 shown]
	global_load_dwordx4 v[68:71], v[72:73], off
	v_add_co_u32_e32 v11, vcc, 32, v11
	v_addc_co_u32_e32 v12, vcc, 0, v12, vcc
	v_add_co_u32_e32 v17, vcc, 0x100, v17
	v_addc_co_u32_e32 v18, vcc, 0, v18, vcc
	v_cmp_ge_i64_e64 s[0:1], v[11:12], v[13:14]
	v_add_co_u32_e32 v15, vcc, 0x2000, v15
	v_addc_co_u32_e32 v16, vcc, 0, v16, vcc
	s_or_b64 s[8:9], s[0:1], s[8:9]
	s_waitcnt vmcnt(0)
	v_fma_f64 v[23:24], v[52:53], v[68:69], v[23:24]
	v_fma_f64 v[72:73], -v[54:55], v[70:71], v[23:24]
	v_fma_f64 v[23:24], v[54:55], v[68:69], v[25:26]
	v_fma_f64 v[52:53], v[52:53], v[70:71], v[23:24]
	v_fma_f64 v[23:24], v[48:49], v[68:69], v[27:28]
	v_fma_f64 v[54:55], -v[50:51], v[70:71], v[23:24]
	v_fma_f64 v[23:24], v[50:51], v[68:69], v[29:30]
	v_fma_f64 v[48:49], v[48:49], v[70:71], v[23:24]
	v_fma_f64 v[23:24], v[44:45], v[68:69], v[31:32]
	v_fma_f64 v[50:51], -v[46:47], v[70:71], v[23:24]
	v_fma_f64 v[23:24], v[46:47], v[68:69], v[33:34]
	v_fma_f64 v[44:45], v[44:45], v[70:71], v[23:24]
	v_fma_f64 v[23:24], v[39:40], v[68:69], v[35:36]
	v_fma_f64 v[46:47], -v[41:42], v[70:71], v[23:24]
	v_fma_f64 v[23:24], v[41:42], v[68:69], v[37:38]
	v_fma_f64 v[39:40], v[39:40], v[70:71], v[23:24]
	global_load_dwordx4 v[23:26], v[19:20], off offset:2160
	global_load_dwordx4 v[27:30], v[19:20], off offset:2144
	global_load_dwordx4 v[31:34], v[19:20], off offset:2128
	global_load_dwordx4 v[35:38], v[19:20], off offset:2112
	s_waitcnt vmcnt(0)
	v_fma_f64 v[41:42], v[35:36], v[64:65], v[72:73]
	v_fma_f64 v[41:42], -v[37:38], v[66:67], v[41:42]
	v_fma_f64 v[37:38], v[37:38], v[64:65], v[52:53]
	v_fma_f64 v[52:53], v[35:36], v[66:67], v[37:38]
	v_fma_f64 v[35:36], v[31:32], v[64:65], v[54:55]
	v_fma_f64 v[54:55], -v[33:34], v[66:67], v[35:36]
	v_fma_f64 v[33:34], v[33:34], v[64:65], v[48:49]
	v_fma_f64 v[48:49], v[31:32], v[66:67], v[33:34]
	v_fma_f64 v[31:32], v[27:28], v[64:65], v[50:51]
	v_fma_f64 v[50:51], -v[29:30], v[66:67], v[31:32]
	v_fma_f64 v[29:30], v[29:30], v[64:65], v[44:45]
	v_fma_f64 v[44:45], v[27:28], v[66:67], v[29:30]
	v_fma_f64 v[27:28], v[23:24], v[64:65], v[46:47]
	v_fma_f64 v[46:47], -v[25:26], v[66:67], v[27:28]
	v_fma_f64 v[25:26], v[25:26], v[64:65], v[39:40]
	v_fma_f64 v[39:40], v[23:24], v[66:67], v[25:26]
	global_load_dwordx4 v[23:26], v[19:20], off offset:2224
	global_load_dwordx4 v[27:30], v[19:20], off offset:2208
	global_load_dwordx4 v[31:34], v[19:20], off offset:2192
	global_load_dwordx4 v[35:38], v[19:20], off offset:2176
	;; [unrolled: 21-line block ×3, first 2 shown]
	s_waitcnt vmcnt(0)
	v_fma_f64 v[19:20], v[31:32], v[56:57], v[41:42]
	v_fma_f64 v[41:42], -v[33:34], v[58:59], v[19:20]
	v_fma_f64 v[19:20], v[33:34], v[56:57], v[35:36]
	v_fma_f64 v[33:34], v[31:32], v[58:59], v[19:20]
	v_fma_f64 v[19:20], v[27:28], v[56:57], v[37:38]
	v_fma_f64 v[39:40], -v[29:30], v[58:59], v[19:20]
	v_fma_f64 v[19:20], v[29:30], v[56:57], v[48:49]
	v_fma_f64 v[37:38], v[27:28], v[58:59], v[19:20]
	;; [unrolled: 4-line block ×4, first 2 shown]
	s_andn2_b64 exec, exec, s[8:9]
	s_cbranch_execnz .LBB56_33
; %bb.34:
	s_or_b64 exec, exec, s[8:9]
.LBB56_35:
	s_or_b64 exec, exec, s[6:7]
.LBB56_36:
	s_or_b64 exec, exec, s[2:3]
.LBB56_37:
	v_mov_b32_dpp v9, v41 row_shr:1 row_mask:0xf bank_mask:0xf
	v_mov_b32_dpp v10, v42 row_shr:1 row_mask:0xf bank_mask:0xf
	v_add_f64 v[9:10], v[41:42], v[9:10]
	v_mov_b32_dpp v11, v33 row_shr:1 row_mask:0xf bank_mask:0xf
	v_mov_b32_dpp v12, v34 row_shr:1 row_mask:0xf bank_mask:0xf
	v_mov_b32_dpp v13, v39 row_shr:1 row_mask:0xf bank_mask:0xf
	v_mov_b32_dpp v14, v40 row_shr:1 row_mask:0xf bank_mask:0xf
	v_add_f64 v[11:12], v[33:34], v[11:12]
	v_add_f64 v[13:14], v[39:40], v[13:14]
	v_mov_b32_dpp v17, v37 row_shr:1 row_mask:0xf bank_mask:0xf
	v_mov_b32_dpp v18, v38 row_shr:1 row_mask:0xf bank_mask:0xf
	v_add_f64 v[17:18], v[37:38], v[17:18]
	v_mov_b32_dpp v15, v9 row_shr:2 row_mask:0xf bank_mask:0xf
	v_mov_b32_dpp v16, v10 row_shr:2 row_mask:0xf bank_mask:0xf
	;; [unrolled: 3-line block ×5, first 2 shown]
	v_mov_b32_dpp v37, v27 row_shr:1 row_mask:0xf bank_mask:0xf
	v_mov_b32_dpp v38, v28 row_shr:1 row_mask:0xf bank_mask:0xf
	v_add_f64 v[15:16], v[17:18], v[15:16]
	v_mov_b32_dpp v17, v29 row_shr:1 row_mask:0xf bank_mask:0xf
	v_mov_b32_dpp v18, v30 row_shr:1 row_mask:0xf bank_mask:0xf
	v_add_f64 v[37:38], v[27:28], v[37:38]
	;; [unrolled: 3-line block ×3, first 2 shown]
	v_add_f64 v[35:36], v[35:36], v[27:28]
	v_mov_b32_dpp v27, v31 row_shr:1 row_mask:0xf bank_mask:0xf
	v_mov_b32_dpp v28, v32 row_shr:1 row_mask:0xf bank_mask:0xf
	v_add_f64 v[39:40], v[31:32], v[27:28]
	v_mov_b32_dpp v25, v9 row_shr:4 row_mask:0xf bank_mask:0xe
	v_mov_b32_dpp v26, v10 row_shr:4 row_mask:0xf bank_mask:0xe
	;; [unrolled: 1-line block ×5, first 2 shown]
	v_add_f64 v[27:28], v[29:30], v[33:34]
	v_mov_b32_dpp v29, v37 row_shr:2 row_mask:0xf bank_mask:0xf
	v_mov_b32_dpp v30, v38 row_shr:2 row_mask:0xf bank_mask:0xf
	;; [unrolled: 1-line block ×6, first 2 shown]
	v_add_f64 v[29:30], v[37:38], v[29:30]
	v_add_f64 v[31:32], v[35:36], v[31:32]
	;; [unrolled: 1-line block ×3, first 2 shown]
	v_mov_b32_dpp v24, v12 row_shr:4 row_mask:0xf bank_mask:0xe
	v_mov_b32_dpp v19, v13 row_shr:4 row_mask:0xf bank_mask:0xe
	;; [unrolled: 1-line block ×13, first 2 shown]
	v_cmp_eq_u32_e32 vcc, 7, v0
	s_and_b64 exec, exec, vcc
	s_cbranch_execz .LBB56_8
; %bb.38:
	v_add_f64 v[11:12], v[11:12], v[23:24]
	v_add_f64 v[23:24], v[13:14], v[19:20]
	v_add_f64 v[13:14], v[15:16], v[17:18]
	v_add_f64 v[15:16], v[29:30], v[39:40]
	v_add_f64 v[17:18], v[33:34], v[35:36]
	v_add_f64 v[9:10], v[9:10], v[25:26]
	v_add_f64 v[25:26], v[27:28], v[41:42]
	v_add_f64 v[27:28], v[31:32], v[37:38]
	v_mul_f64 v[19:20], v[11:12], -v[7:8]
	v_mul_f64 v[11:12], v[5:6], v[11:12]
	v_mul_f64 v[29:30], v[13:14], -v[7:8]
	v_mul_f64 v[31:32], v[5:6], v[13:14]
	v_mul_f64 v[33:34], v[15:16], -v[7:8]
	v_mul_f64 v[35:36], v[5:6], v[15:16]
	v_mul_f64 v[37:38], v[17:18], -v[7:8]
	v_mul_f64 v[39:40], v[5:6], v[17:18]
	v_cmp_eq_f64_e32 vcc, 0, v[1:2]
	v_cmp_eq_f64_e64 s[0:1], 0, v[3:4]
	v_fma_f64 v[17:18], v[5:6], v[9:10], v[19:20]
	v_fma_f64 v[19:20], v[7:8], v[9:10], v[11:12]
	;; [unrolled: 1-line block ×8, first 2 shown]
	s_load_dwordx2 s[2:3], s[4:5], 0x68
	v_lshlrev_b64 v[21:22], 6, v[21:22]
	s_and_b64 s[0:1], vcc, s[0:1]
	s_and_saveexec_b64 s[4:5], s[0:1]
	s_xor_b64 s[0:1], exec, s[4:5]
	s_cbranch_execz .LBB56_40
; %bb.39:
	s_waitcnt lgkmcnt(0)
	v_mov_b32_e32 v1, s3
	v_add_co_u32_e32 v0, vcc, s2, v21
	v_addc_co_u32_e32 v1, vcc, v1, v22, vcc
	global_store_dwordx4 v[0:1], v[17:20], off
	global_store_dwordx4 v[0:1], v[13:16], off offset:16
	global_store_dwordx4 v[0:1], v[9:12], off offset:32
	;; [unrolled: 1-line block ×3, first 2 shown]
                                        ; implicit-def: $vgpr3_vgpr4
                                        ; implicit-def: $vgpr17_vgpr18
                                        ; implicit-def: $vgpr21_vgpr22
                                        ; implicit-def: $vgpr13_vgpr14
                                        ; implicit-def: $vgpr9_vgpr10
                                        ; implicit-def: $vgpr5_vgpr6
.LBB56_40:
	s_andn2_saveexec_b64 s[0:1], s[0:1]
	s_cbranch_execz .LBB56_8
; %bb.41:
	s_waitcnt lgkmcnt(0)
	v_mov_b32_e32 v0, s3
	v_add_co_u32_e32 v37, vcc, s2, v21
	v_addc_co_u32_e32 v38, vcc, v0, v22, vcc
	global_load_dwordx4 v[21:24], v[37:38], off
	global_load_dwordx4 v[25:28], v[37:38], off offset:16
	global_load_dwordx4 v[29:32], v[37:38], off offset:32
	;; [unrolled: 1-line block ×3, first 2 shown]
	s_waitcnt vmcnt(3)
	v_fma_f64 v[17:18], v[1:2], v[21:22], v[17:18]
	v_fma_f64 v[19:20], v[3:4], v[21:22], v[19:20]
	s_waitcnt vmcnt(2)
	v_fma_f64 v[13:14], v[1:2], v[25:26], v[13:14]
	v_fma_f64 v[15:16], v[3:4], v[25:26], v[15:16]
	;; [unrolled: 3-line block ×4, first 2 shown]
	v_fma_f64 v[5:6], -v[3:4], v[23:24], v[17:18]
	v_fma_f64 v[7:8], v[1:2], v[23:24], v[19:20]
	v_fma_f64 v[9:10], -v[3:4], v[27:28], v[13:14]
	v_fma_f64 v[11:12], v[1:2], v[27:28], v[15:16]
	;; [unrolled: 2-line block ×4, first 2 shown]
	global_store_dwordx4 v[37:38], v[5:8], off
	global_store_dwordx4 v[37:38], v[9:12], off offset:16
	global_store_dwordx4 v[37:38], v[13:16], off offset:32
	;; [unrolled: 1-line block ×3, first 2 shown]
	s_endpgm
	.section	.rodata,"a",@progbits
	.p2align	6, 0x0
	.amdhsa_kernel _ZN9rocsparseL18bsrxmvn_4x4_kernelILj128ELj8E21rocsparse_complex_numIdEllS2_S2_S2_EEvT3_20rocsparse_direction_NS_24const_host_device_scalarIT1_EES3_PKS3_PKT2_SC_S9_PKT4_PKT5_S7_PT6_21rocsparse_index_base_b
		.amdhsa_group_segment_fixed_size 0
		.amdhsa_private_segment_fixed_size 0
		.amdhsa_kernarg_size 120
		.amdhsa_user_sgpr_count 6
		.amdhsa_user_sgpr_private_segment_buffer 1
		.amdhsa_user_sgpr_dispatch_ptr 0
		.amdhsa_user_sgpr_queue_ptr 0
		.amdhsa_user_sgpr_kernarg_segment_ptr 1
		.amdhsa_user_sgpr_dispatch_id 0
		.amdhsa_user_sgpr_flat_scratch_init 0
		.amdhsa_user_sgpr_private_segment_size 0
		.amdhsa_uses_dynamic_stack 0
		.amdhsa_system_sgpr_private_segment_wavefront_offset 0
		.amdhsa_system_sgpr_workgroup_id_x 1
		.amdhsa_system_sgpr_workgroup_id_y 0
		.amdhsa_system_sgpr_workgroup_id_z 0
		.amdhsa_system_sgpr_workgroup_info 0
		.amdhsa_system_vgpr_workitem_id 0
		.amdhsa_next_free_vgpr 90
		.amdhsa_next_free_sgpr 21
		.amdhsa_reserve_vcc 1
		.amdhsa_reserve_flat_scratch 0
		.amdhsa_float_round_mode_32 0
		.amdhsa_float_round_mode_16_64 0
		.amdhsa_float_denorm_mode_32 3
		.amdhsa_float_denorm_mode_16_64 3
		.amdhsa_dx10_clamp 1
		.amdhsa_ieee_mode 1
		.amdhsa_fp16_overflow 0
		.amdhsa_exception_fp_ieee_invalid_op 0
		.amdhsa_exception_fp_denorm_src 0
		.amdhsa_exception_fp_ieee_div_zero 0
		.amdhsa_exception_fp_ieee_overflow 0
		.amdhsa_exception_fp_ieee_underflow 0
		.amdhsa_exception_fp_ieee_inexact 0
		.amdhsa_exception_int_div_zero 0
	.end_amdhsa_kernel
	.section	.text._ZN9rocsparseL18bsrxmvn_4x4_kernelILj128ELj8E21rocsparse_complex_numIdEllS2_S2_S2_EEvT3_20rocsparse_direction_NS_24const_host_device_scalarIT1_EES3_PKS3_PKT2_SC_S9_PKT4_PKT5_S7_PT6_21rocsparse_index_base_b,"axG",@progbits,_ZN9rocsparseL18bsrxmvn_4x4_kernelILj128ELj8E21rocsparse_complex_numIdEllS2_S2_S2_EEvT3_20rocsparse_direction_NS_24const_host_device_scalarIT1_EES3_PKS3_PKT2_SC_S9_PKT4_PKT5_S7_PT6_21rocsparse_index_base_b,comdat
.Lfunc_end56:
	.size	_ZN9rocsparseL18bsrxmvn_4x4_kernelILj128ELj8E21rocsparse_complex_numIdEllS2_S2_S2_EEvT3_20rocsparse_direction_NS_24const_host_device_scalarIT1_EES3_PKS3_PKT2_SC_S9_PKT4_PKT5_S7_PT6_21rocsparse_index_base_b, .Lfunc_end56-_ZN9rocsparseL18bsrxmvn_4x4_kernelILj128ELj8E21rocsparse_complex_numIdEllS2_S2_S2_EEvT3_20rocsparse_direction_NS_24const_host_device_scalarIT1_EES3_PKS3_PKT2_SC_S9_PKT4_PKT5_S7_PT6_21rocsparse_index_base_b
                                        ; -- End function
	.set _ZN9rocsparseL18bsrxmvn_4x4_kernelILj128ELj8E21rocsparse_complex_numIdEllS2_S2_S2_EEvT3_20rocsparse_direction_NS_24const_host_device_scalarIT1_EES3_PKS3_PKT2_SC_S9_PKT4_PKT5_S7_PT6_21rocsparse_index_base_b.num_vgpr, 90
	.set _ZN9rocsparseL18bsrxmvn_4x4_kernelILj128ELj8E21rocsparse_complex_numIdEllS2_S2_S2_EEvT3_20rocsparse_direction_NS_24const_host_device_scalarIT1_EES3_PKS3_PKT2_SC_S9_PKT4_PKT5_S7_PT6_21rocsparse_index_base_b.num_agpr, 0
	.set _ZN9rocsparseL18bsrxmvn_4x4_kernelILj128ELj8E21rocsparse_complex_numIdEllS2_S2_S2_EEvT3_20rocsparse_direction_NS_24const_host_device_scalarIT1_EES3_PKS3_PKT2_SC_S9_PKT4_PKT5_S7_PT6_21rocsparse_index_base_b.numbered_sgpr, 21
	.set _ZN9rocsparseL18bsrxmvn_4x4_kernelILj128ELj8E21rocsparse_complex_numIdEllS2_S2_S2_EEvT3_20rocsparse_direction_NS_24const_host_device_scalarIT1_EES3_PKS3_PKT2_SC_S9_PKT4_PKT5_S7_PT6_21rocsparse_index_base_b.num_named_barrier, 0
	.set _ZN9rocsparseL18bsrxmvn_4x4_kernelILj128ELj8E21rocsparse_complex_numIdEllS2_S2_S2_EEvT3_20rocsparse_direction_NS_24const_host_device_scalarIT1_EES3_PKS3_PKT2_SC_S9_PKT4_PKT5_S7_PT6_21rocsparse_index_base_b.private_seg_size, 0
	.set _ZN9rocsparseL18bsrxmvn_4x4_kernelILj128ELj8E21rocsparse_complex_numIdEllS2_S2_S2_EEvT3_20rocsparse_direction_NS_24const_host_device_scalarIT1_EES3_PKS3_PKT2_SC_S9_PKT4_PKT5_S7_PT6_21rocsparse_index_base_b.uses_vcc, 1
	.set _ZN9rocsparseL18bsrxmvn_4x4_kernelILj128ELj8E21rocsparse_complex_numIdEllS2_S2_S2_EEvT3_20rocsparse_direction_NS_24const_host_device_scalarIT1_EES3_PKS3_PKT2_SC_S9_PKT4_PKT5_S7_PT6_21rocsparse_index_base_b.uses_flat_scratch, 0
	.set _ZN9rocsparseL18bsrxmvn_4x4_kernelILj128ELj8E21rocsparse_complex_numIdEllS2_S2_S2_EEvT3_20rocsparse_direction_NS_24const_host_device_scalarIT1_EES3_PKS3_PKT2_SC_S9_PKT4_PKT5_S7_PT6_21rocsparse_index_base_b.has_dyn_sized_stack, 0
	.set _ZN9rocsparseL18bsrxmvn_4x4_kernelILj128ELj8E21rocsparse_complex_numIdEllS2_S2_S2_EEvT3_20rocsparse_direction_NS_24const_host_device_scalarIT1_EES3_PKS3_PKT2_SC_S9_PKT4_PKT5_S7_PT6_21rocsparse_index_base_b.has_recursion, 0
	.set _ZN9rocsparseL18bsrxmvn_4x4_kernelILj128ELj8E21rocsparse_complex_numIdEllS2_S2_S2_EEvT3_20rocsparse_direction_NS_24const_host_device_scalarIT1_EES3_PKS3_PKT2_SC_S9_PKT4_PKT5_S7_PT6_21rocsparse_index_base_b.has_indirect_call, 0
	.section	.AMDGPU.csdata,"",@progbits
; Kernel info:
; codeLenInByte = 9948
; TotalNumSgprs: 25
; NumVgprs: 90
; ScratchSize: 0
; MemoryBound: 1
; FloatMode: 240
; IeeeMode: 1
; LDSByteSize: 0 bytes/workgroup (compile time only)
; SGPRBlocks: 3
; VGPRBlocks: 22
; NumSGPRsForWavesPerEU: 25
; NumVGPRsForWavesPerEU: 90
; Occupancy: 2
; WaveLimiterHint : 1
; COMPUTE_PGM_RSRC2:SCRATCH_EN: 0
; COMPUTE_PGM_RSRC2:USER_SGPR: 6
; COMPUTE_PGM_RSRC2:TRAP_HANDLER: 0
; COMPUTE_PGM_RSRC2:TGID_X_EN: 1
; COMPUTE_PGM_RSRC2:TGID_Y_EN: 0
; COMPUTE_PGM_RSRC2:TGID_Z_EN: 0
; COMPUTE_PGM_RSRC2:TIDIG_COMP_CNT: 0
	.section	.text._ZN9rocsparseL18bsrxmvn_4x4_kernelILj128ELj16E21rocsparse_complex_numIdEllS2_S2_S2_EEvT3_20rocsparse_direction_NS_24const_host_device_scalarIT1_EES3_PKS3_PKT2_SC_S9_PKT4_PKT5_S7_PT6_21rocsparse_index_base_b,"axG",@progbits,_ZN9rocsparseL18bsrxmvn_4x4_kernelILj128ELj16E21rocsparse_complex_numIdEllS2_S2_S2_EEvT3_20rocsparse_direction_NS_24const_host_device_scalarIT1_EES3_PKS3_PKT2_SC_S9_PKT4_PKT5_S7_PT6_21rocsparse_index_base_b,comdat
	.globl	_ZN9rocsparseL18bsrxmvn_4x4_kernelILj128ELj16E21rocsparse_complex_numIdEllS2_S2_S2_EEvT3_20rocsparse_direction_NS_24const_host_device_scalarIT1_EES3_PKS3_PKT2_SC_S9_PKT4_PKT5_S7_PT6_21rocsparse_index_base_b ; -- Begin function _ZN9rocsparseL18bsrxmvn_4x4_kernelILj128ELj16E21rocsparse_complex_numIdEllS2_S2_S2_EEvT3_20rocsparse_direction_NS_24const_host_device_scalarIT1_EES3_PKS3_PKT2_SC_S9_PKT4_PKT5_S7_PT6_21rocsparse_index_base_b
	.p2align	8
	.type	_ZN9rocsparseL18bsrxmvn_4x4_kernelILj128ELj16E21rocsparse_complex_numIdEllS2_S2_S2_EEvT3_20rocsparse_direction_NS_24const_host_device_scalarIT1_EES3_PKS3_PKT2_SC_S9_PKT4_PKT5_S7_PT6_21rocsparse_index_base_b,@function
_ZN9rocsparseL18bsrxmvn_4x4_kernelILj128ELj16E21rocsparse_complex_numIdEllS2_S2_S2_EEvT3_20rocsparse_direction_NS_24const_host_device_scalarIT1_EES3_PKS3_PKT2_SC_S9_PKT4_PKT5_S7_PT6_21rocsparse_index_base_b: ; @_ZN9rocsparseL18bsrxmvn_4x4_kernelILj128ELj16E21rocsparse_complex_numIdEllS2_S2_S2_EEvT3_20rocsparse_direction_NS_24const_host_device_scalarIT1_EES3_PKS3_PKT2_SC_S9_PKT4_PKT5_S7_PT6_21rocsparse_index_base_b
; %bb.0:
	s_load_dwordx2 s[0:1], s[4:5], 0x10
	s_load_dwordx2 s[2:3], s[4:5], 0x70
	s_add_u32 s7, s4, 16
	s_addc_u32 s10, s5, 0
	s_add_u32 s11, s4, 0x58
	s_addc_u32 s12, s5, 0
	s_waitcnt lgkmcnt(0)
	s_bitcmp1_b32 s3, 0
	s_cselect_b32 s1, s10, s1
	s_cselect_b32 s0, s7, s0
	v_mov_b32_e32 v1, s0
	v_mov_b32_e32 v2, s1
	flat_load_dwordx4 v[5:8], v[1:2]
	s_load_dwordx2 s[8:9], s[4:5], 0x58
	s_waitcnt lgkmcnt(0)
	s_cselect_b32 s0, s12, s9
	s_cselect_b32 s1, s11, s8
	v_mov_b32_e32 v1, s1
	v_mov_b32_e32 v2, s0
	flat_load_dwordx4 v[1:4], v[1:2]
	s_waitcnt vmcnt(0)
	v_cmp_eq_f64_e32 vcc, 0, v[5:6]
	v_cmp_eq_f64_e64 s[0:1], 0, v[7:8]
	s_and_b64 s[10:11], vcc, s[0:1]
	s_mov_b64 s[0:1], -1
	s_and_saveexec_b64 s[8:9], s[10:11]
	s_cbranch_execz .LBB57_2
; %bb.1:
	s_waitcnt lgkmcnt(0)
	v_cmp_neq_f64_e32 vcc, 1.0, v[1:2]
	v_cmp_neq_f64_e64 s[0:1], 0, v[3:4]
	s_or_b64 s[0:1], vcc, s[0:1]
	s_orn2_b64 s[0:1], s[0:1], exec
.LBB57_2:
	s_or_b64 exec, exec, s[8:9]
	s_and_saveexec_b64 s[8:9], s[0:1]
	s_cbranch_execz .LBB57_8
; %bb.3:
	s_load_dwordx2 s[8:9], s[4:5], 0x28
	v_lshrrev_b32_e32 v9, 4, v0
	v_lshl_or_b32 v11, s6, 3, v9
	v_mov_b32_e32 v12, 0
	s_mov_b64 s[0:1], 0
	s_waitcnt lgkmcnt(0)
	s_cmp_lg_u64 s[8:9], 0
	s_cbranch_scc0 .LBB57_9
; %bb.4:
	s_load_dwordx2 s[6:7], s[4:5], 0x20
                                        ; implicit-def: $vgpr21_vgpr22
                                        ; implicit-def: $vgpr9_vgpr10
	s_waitcnt lgkmcnt(0)
	v_cmp_gt_i64_e32 vcc, s[6:7], v[11:12]
	s_and_saveexec_b64 s[6:7], vcc
	s_xor_b64 s[6:7], exec, s[6:7]
	s_cbranch_execz .LBB57_6
; %bb.5:
	v_lshlrev_b64 v[9:10], 3, v[11:12]
	v_mov_b32_e32 v13, s9
	v_add_co_u32_e32 v9, vcc, s8, v9
	v_addc_co_u32_e32 v10, vcc, v13, v10, vcc
	global_load_dwordx2 v[9:10], v[9:10], off
	s_mov_b32 s3, 0
	s_mov_b64 s[0:1], exec
	s_waitcnt vmcnt(0)
	v_subrev_co_u32_e32 v21, vcc, s2, v9
	v_subbrev_co_u32_e32 v22, vcc, 0, v10, vcc
	v_mov_b32_e32 v10, s3
	v_mov_b32_e32 v9, s2
.LBB57_6:
	s_or_b64 exec, exec, s[6:7]
.LBB57_7:
	s_and_b64 exec, exec, s[0:1]
	s_cbranch_execnz .LBB57_13
.LBB57_8:
	s_endpgm
.LBB57_9:
                                        ; implicit-def: $vgpr21_vgpr22
                                        ; implicit-def: $vgpr9_vgpr10
	s_cbranch_execz .LBB57_7
; %bb.10:
	s_load_dwordx2 s[6:7], s[4:5], 0x0
	s_waitcnt lgkmcnt(0)
	v_cmp_gt_i64_e32 vcc, s[6:7], v[11:12]
	s_and_saveexec_b64 s[6:7], vcc
; %bb.11:
	s_mov_b32 s3, 0
	s_or_b64 s[0:1], s[0:1], exec
; %bb.12:
	s_or_b64 exec, exec, s[6:7]
	v_mov_b32_e32 v10, s3
	v_mov_b32_e32 v22, v12
	;; [unrolled: 1-line block ×4, first 2 shown]
	s_and_b64 exec, exec, s[0:1]
	s_cbranch_execz .LBB57_8
.LBB57_13:
	s_load_dwordx8 s[8:15], s[4:5], 0x30
	v_lshlrev_b64 v[11:12], 3, v[21:22]
	v_and_b32_e32 v0, 15, v0
	s_waitcnt lgkmcnt(0)
	v_mov_b32_e32 v14, s9
	v_add_co_u32_e32 v13, vcc, s8, v11
	v_addc_co_u32_e32 v14, vcc, v14, v12, vcc
	global_load_dwordx2 v[17:18], v[13:14], off
	v_add_co_u32_e32 v13, vcc, 8, v13
	v_addc_co_u32_e32 v14, vcc, 0, v14, vcc
	v_mov_b32_e32 v15, s11
	v_add_co_u32_e32 v11, vcc, s10, v11
	s_cmp_eq_u64 s[10:11], 0
	v_addc_co_u32_e32 v12, vcc, v15, v12, vcc
	s_cselect_b64 vcc, -1, 0
	v_cndmask_b32_e32 v12, v12, v14, vcc
	v_cndmask_b32_e32 v11, v11, v13, vcc
	global_load_dwordx2 v[13:14], v[11:12], off
	s_load_dword s0, s[4:5], 0x8
	s_load_dwordx2 s[8:9], s[4:5], 0x50
	v_mov_b32_e32 v19, s15
	s_waitcnt lgkmcnt(0)
	s_cmp_eq_u32 s0, 1
	s_waitcnt vmcnt(1)
	v_sub_co_u32_e32 v11, vcc, v17, v9
	v_subb_co_u32_e32 v12, vcc, v18, v10, vcc
	v_add_co_u32_e32 v11, vcc, v11, v0
	v_addc_co_u32_e32 v12, vcc, 0, v12, vcc
	v_lshlrev_b64 v[15:16], 8, v[11:12]
	s_waitcnt vmcnt(0)
	v_sub_co_u32_e32 v13, vcc, v13, v9
	v_subb_co_u32_e32 v14, vcc, v14, v10, vcc
	v_cmp_lt_i64_e64 s[0:1], v[11:12], v[13:14]
	v_add_co_u32_e32 v15, vcc, s14, v15
	v_addc_co_u32_e32 v16, vcc, v19, v16, vcc
	s_cbranch_scc1 .LBB57_25
; %bb.14:
	v_mov_b32_e32 v39, 0
	v_mov_b32_e32 v41, 0
	;; [unrolled: 1-line block ×16, first 2 shown]
	s_and_saveexec_b64 s[10:11], s[0:1]
	s_cbranch_execz .LBB57_24
; %bb.15:
	v_or_b32_e32 v19, 16, v0
	v_sub_co_u32_e32 v19, vcc, v19, v9
	v_subb_co_u32_e32 v20, vcc, 0, v10, vcc
	v_add_co_u32_e32 v19, vcc, v19, v17
	v_addc_co_u32_e32 v20, vcc, v20, v18, vcc
	v_cmp_gt_i64_e32 vcc, v[19:20], v[13:14]
	v_not_b32_e32 v24, v17
	v_cndmask_b32_e32 v20, v14, v20, vcc
	v_cndmask_b32_e32 v19, v13, v19, vcc
	v_sub_co_u32_e32 v25, vcc, v9, v0
	v_subbrev_co_u32_e32 v26, vcc, 0, v10, vcc
	v_not_b32_e32 v23, v18
	v_add_co_u32_e32 v24, vcc, v25, v24
	v_addc_co_u32_e32 v23, vcc, v26, v23, vcc
	v_add_co_u32_e32 v25, vcc, v24, v19
	v_addc_co_u32_e32 v26, vcc, v23, v20, vcc
	v_and_b32_e32 v19, 48, v25
	v_mov_b32_e32 v20, 0
	v_cmp_ne_u64_e32 vcc, 48, v[19:20]
	v_mov_b32_e32 v35, 0
	v_mov_b32_e32 v37, 0
	;; [unrolled: 1-line block ×20, first 2 shown]
	s_and_saveexec_b64 s[14:15], vcc
	s_cbranch_execz .LBB57_19
; %bb.16:
	v_lshrrev_b32_e32 v19, 4, v25
	v_add_u32_e32 v19, 1, v19
	v_and_b32_e32 v23, 3, v19
	v_lshlrev_b64 v[19:20], 3, v[11:12]
	v_mov_b32_e32 v24, s13
	v_add_co_u32_e32 v43, vcc, s12, v19
	v_addc_co_u32_e32 v44, vcc, v24, v20, vcc
	v_sub_co_u32_e32 v45, vcc, 0, v23
	v_mov_b32_e32 v39, 0
	v_mov_b32_e32 v20, v12
	;; [unrolled: 1-line block ×10, first 2 shown]
	s_mov_b64 s[16:17], 0
	v_subb_co_u32_e64 v46, s[2:3], 0, 0, vcc
	v_mov_b32_e32 v40, 0
	s_movk_i32 s18, 0x1000
	v_mov_b32_e32 v19, v11
	v_mov_b32_e32 v42, 0
	;; [unrolled: 1-line block ×9, first 2 shown]
.LBB57_17:                              ; =>This Inner Loop Header: Depth=1
	global_load_dwordx2 v[67:68], v[43:44], off
	global_load_dwordx4 v[47:50], v[23:24], off
	v_mov_b32_e32 v69, s9
	global_load_dwordx4 v[51:54], v[23:24], off offset:64
	global_load_dwordx4 v[55:58], v[23:24], off offset:128
	;; [unrolled: 1-line block ×4, first 2 shown]
	v_add_co_u32_e64 v45, s[6:7], 1, v45
	s_waitcnt vmcnt(5)
	v_sub_co_u32_e32 v67, vcc, v67, v9
	v_subb_co_u32_e32 v68, vcc, v68, v10, vcc
	v_lshlrev_b64 v[67:68], 6, v[67:68]
	v_add_co_u32_e32 v71, vcc, s8, v67
	v_addc_co_u32_e32 v72, vcc, v69, v68, vcc
	global_load_dwordx4 v[67:70], v[71:72], off
	s_waitcnt vmcnt(0)
	v_fma_f64 v[27:28], v[57:58], v[67:68], v[27:28]
	v_fma_f64 v[41:42], v[47:48], v[67:68], v[41:42]
	;; [unrolled: 1-line block ×9, first 2 shown]
	v_fma_f64 v[73:74], -v[49:50], v[69:70], v[41:42]
	v_fma_f64 v[75:76], v[47:48], v[69:70], v[39:40]
	global_load_dwordx4 v[39:42], v[23:24], off offset:80
	v_fma_f64 v[77:78], -v[53:54], v[69:70], v[37:38]
	v_fma_f64 v[79:80], v[51:52], v[69:70], v[35:36]
	global_load_dwordx4 v[35:38], v[23:24], off offset:144
	v_fma_f64 v[57:58], -v[57:58], v[69:70], v[33:34]
	global_load_dwordx4 v[47:50], v[23:24], off offset:208
	v_fma_f64 v[61:62], -v[61:62], v[69:70], v[27:28]
	v_fma_f64 v[59:60], v[59:60], v[69:70], v[29:30]
	global_load_dwordx4 v[27:30], v[23:24], off offset:32
	global_load_dwordx4 v[31:34], v[71:72], off offset:16
	s_waitcnt vmcnt(0)
	v_fma_f64 v[51:52], v[63:64], v[31:32], v[73:74]
	v_fma_f64 v[53:54], v[65:66], v[31:32], v[75:76]
	;; [unrolled: 1-line block ×8, first 2 shown]
	v_fma_f64 v[65:66], -v[65:66], v[33:34], v[51:52]
	v_fma_f64 v[63:64], v[63:64], v[33:34], v[53:54]
	global_load_dwordx4 v[51:54], v[23:24], off offset:96
	v_fma_f64 v[67:68], -v[41:42], v[33:34], v[67:68]
	v_fma_f64 v[69:70], v[39:40], v[33:34], v[69:70]
	global_load_dwordx4 v[39:42], v[23:24], off offset:160
	;; [unrolled: 3-line block ×4, first 2 shown]
	global_load_dwordx4 v[47:50], v[71:72], off offset:32
	s_waitcnt vmcnt(0)
	v_fma_f64 v[65:66], v[27:28], v[47:48], v[65:66]
	v_fma_f64 v[63:64], v[29:30], v[47:48], v[63:64]
	v_fma_f64 v[67:68], v[51:52], v[47:48], v[67:68]
	v_fma_f64 v[69:70], v[53:54], v[47:48], v[69:70]
	v_fma_f64 v[57:58], v[39:40], v[47:48], v[57:58]
	v_fma_f64 v[55:56], v[41:42], v[47:48], v[55:56]
	v_fma_f64 v[59:60], v[35:36], v[47:48], v[59:60]
	v_fma_f64 v[47:48], v[37:38], v[47:48], v[61:62]
	v_fma_f64 v[65:66], -v[29:30], v[49:50], v[65:66]
	v_fma_f64 v[63:64], v[27:28], v[49:50], v[63:64]
	global_load_dwordx4 v[27:30], v[23:24], off offset:112
	v_fma_f64 v[67:68], -v[53:54], v[49:50], v[67:68]
	v_fma_f64 v[69:70], v[51:52], v[49:50], v[69:70]
	global_load_dwordx4 v[51:54], v[23:24], off offset:176
	v_fma_f64 v[41:42], -v[41:42], v[49:50], v[57:58]
	v_fma_f64 v[39:40], v[39:40], v[49:50], v[55:56]
	global_load_dwordx4 v[55:58], v[23:24], off offset:240
	v_fma_f64 v[37:38], -v[37:38], v[49:50], v[59:60]
	v_fma_f64 v[35:36], v[35:36], v[49:50], v[47:48]
	global_load_dwordx4 v[47:50], v[71:72], off offset:48
	v_add_co_u32_e32 v23, vcc, s18, v23
	s_mov_b64 s[2:3], vcc
	v_add_co_u32_e32 v19, vcc, 16, v19
	v_addc_co_u32_e32 v20, vcc, 0, v20, vcc
	v_addc_co_u32_e64 v46, vcc, 0, v46, s[6:7]
	v_cmp_eq_u64_e64 s[6:7], 0, v[45:46]
	v_add_co_u32_e32 v43, vcc, 0x80, v43
	v_addc_co_u32_e64 v24, s[2:3], 0, v24, s[2:3]
	s_or_b64 s[16:17], s[6:7], s[16:17]
	v_addc_co_u32_e32 v44, vcc, 0, v44, vcc
	s_waitcnt vmcnt(0)
	v_fma_f64 v[59:60], v[31:32], v[47:48], v[65:66]
	v_fma_f64 v[61:62], v[33:34], v[47:48], v[63:64]
	v_fma_f64 v[63:64], v[27:28], v[47:48], v[67:68]
	v_fma_f64 v[65:66], v[29:30], v[47:48], v[69:70]
	v_fma_f64 v[67:68], v[51:52], v[47:48], v[41:42]
	v_fma_f64 v[69:70], v[53:54], v[47:48], v[39:40]
	v_fma_f64 v[71:72], v[55:56], v[47:48], v[37:38]
	v_fma_f64 v[47:48], v[57:58], v[47:48], v[35:36]
	v_fma_f64 v[41:42], -v[33:34], v[49:50], v[59:60]
	v_fma_f64 v[39:40], v[31:32], v[49:50], v[61:62]
	v_fma_f64 v[37:38], -v[29:30], v[49:50], v[63:64]
	v_fma_f64 v[35:36], v[27:28], v[49:50], v[65:66]
	;; [unrolled: 2-line block ×4, first 2 shown]
	s_andn2_b64 exec, exec, s[16:17]
	s_cbranch_execnz .LBB57_17
; %bb.18:
	s_or_b64 exec, exec, s[16:17]
.LBB57_19:
	s_or_b64 exec, exec, s[14:15]
	v_cmp_lt_u64_e32 vcc, 47, v[25:26]
	s_and_saveexec_b64 s[6:7], vcc
	s_cbranch_execz .LBB57_23
; %bb.20:
	v_lshlrev_b64 v[25:26], 3, v[19:20]
	v_mov_b32_e32 v43, s13
	v_add_co_u32_e32 v25, vcc, s12, v25
	v_addc_co_u32_e32 v26, vcc, v43, v26, vcc
	v_add_co_u32_e32 v25, vcc, 0x100, v25
	v_addc_co_u32_e32 v26, vcc, 0, v26, vcc
	s_mov_b64 s[14:15], 0
	v_mov_b32_e32 v45, s9
	s_movk_i32 s16, 0x1000
	s_movk_i32 s17, 0x2000
	;; [unrolled: 1-line block ×3, first 2 shown]
.LBB57_21:                              ; =>This Inner Loop Header: Depth=1
	global_load_dwordx2 v[43:44], v[25:26], off offset:-256
	global_load_dwordx4 v[46:49], v[23:24], off offset:48
	global_load_dwordx4 v[50:53], v[23:24], off offset:32
	global_load_dwordx4 v[54:57], v[23:24], off offset:16
	global_load_dwordx4 v[58:61], v[23:24], off
	s_waitcnt vmcnt(4)
	v_sub_co_u32_e32 v43, vcc, v43, v9
	v_subb_co_u32_e32 v44, vcc, v44, v10, vcc
	v_lshlrev_b64 v[43:44], 6, v[43:44]
	v_add_co_u32_e32 v43, vcc, s8, v43
	v_addc_co_u32_e32 v44, vcc, v45, v44, vcc
	global_load_dwordx4 v[62:65], v[43:44], off offset:48
	global_load_dwordx4 v[66:69], v[43:44], off offset:32
	;; [unrolled: 1-line block ×3, first 2 shown]
	global_load_dwordx4 v[74:77], v[43:44], off
	s_waitcnt vmcnt(0)
	v_fma_f64 v[41:42], v[58:59], v[74:75], v[41:42]
	v_fma_f64 v[39:40], v[60:61], v[74:75], v[39:40]
	v_fma_f64 v[41:42], -v[60:61], v[76:77], v[41:42]
	v_fma_f64 v[39:40], v[58:59], v[76:77], v[39:40]
	v_fma_f64 v[41:42], v[54:55], v[70:71], v[41:42]
	v_fma_f64 v[39:40], v[56:57], v[70:71], v[39:40]
	v_fma_f64 v[41:42], -v[56:57], v[72:73], v[41:42]
	v_fma_f64 v[39:40], v[54:55], v[72:73], v[39:40]
	v_fma_f64 v[41:42], v[50:51], v[66:67], v[41:42]
	v_fma_f64 v[39:40], v[52:53], v[66:67], v[39:40]
	v_fma_f64 v[41:42], -v[52:53], v[68:69], v[41:42]
	v_fma_f64 v[39:40], v[50:51], v[68:69], v[39:40]
	v_fma_f64 v[41:42], v[46:47], v[62:63], v[41:42]
	v_fma_f64 v[39:40], v[48:49], v[62:63], v[39:40]
	v_fma_f64 v[78:79], -v[48:49], v[64:65], v[41:42]
	v_fma_f64 v[80:81], v[46:47], v[64:65], v[39:40]
	global_load_dwordx4 v[39:42], v[23:24], off offset:112
	global_load_dwordx4 v[46:49], v[23:24], off offset:96
	global_load_dwordx4 v[50:53], v[23:24], off offset:80
	global_load_dwordx4 v[54:57], v[23:24], off offset:64
	s_waitcnt vmcnt(0)
	v_fma_f64 v[37:38], v[54:55], v[74:75], v[37:38]
	v_fma_f64 v[35:36], v[56:57], v[74:75], v[35:36]
	v_fma_f64 v[37:38], -v[56:57], v[76:77], v[37:38]
	v_fma_f64 v[35:36], v[54:55], v[76:77], v[35:36]
	v_fma_f64 v[37:38], v[50:51], v[70:71], v[37:38]
	v_fma_f64 v[35:36], v[52:53], v[70:71], v[35:36]
	v_fma_f64 v[37:38], -v[52:53], v[72:73], v[37:38]
	v_fma_f64 v[35:36], v[50:51], v[72:73], v[35:36]
	v_fma_f64 v[37:38], v[46:47], v[66:67], v[37:38]
	v_fma_f64 v[35:36], v[48:49], v[66:67], v[35:36]
	v_fma_f64 v[37:38], -v[48:49], v[68:69], v[37:38]
	v_fma_f64 v[35:36], v[46:47], v[68:69], v[35:36]
	v_fma_f64 v[37:38], v[39:40], v[62:63], v[37:38]
	v_fma_f64 v[35:36], v[41:42], v[62:63], v[35:36]
	v_fma_f64 v[82:83], -v[41:42], v[64:65], v[37:38]
	v_fma_f64 v[84:85], v[39:40], v[64:65], v[35:36]
	global_load_dwordx4 v[35:38], v[23:24], off offset:176
	global_load_dwordx4 v[39:42], v[23:24], off offset:160
	global_load_dwordx4 v[46:49], v[23:24], off offset:144
	global_load_dwordx4 v[50:53], v[23:24], off offset:128
	;; [unrolled: 21-line block ×3, first 2 shown]
	s_waitcnt vmcnt(0)
	v_fma_f64 v[27:28], v[46:47], v[74:75], v[31:32]
	v_fma_f64 v[29:30], v[48:49], v[74:75], v[29:30]
	v_fma_f64 v[27:28], -v[48:49], v[76:77], v[27:28]
	v_fma_f64 v[29:30], v[46:47], v[76:77], v[29:30]
	v_fma_f64 v[27:28], v[41:42], v[70:71], v[27:28]
	v_fma_f64 v[29:30], v[43:44], v[70:71], v[29:30]
	v_fma_f64 v[27:28], -v[43:44], v[72:73], v[27:28]
	v_fma_f64 v[29:30], v[41:42], v[72:73], v[29:30]
	;; [unrolled: 4-line block ×3, first 2 shown]
	v_fma_f64 v[27:28], v[33:34], v[62:63], v[27:28]
	v_fma_f64 v[43:44], -v[35:36], v[64:65], v[27:28]
	v_fma_f64 v[27:28], v[35:36], v[62:63], v[29:30]
	v_fma_f64 v[62:63], v[33:34], v[64:65], v[27:28]
	global_load_dwordx2 v[27:28], v[25:26], off offset:-128
	v_add_co_u32_e32 v64, vcc, s16, v23
	v_addc_co_u32_e32 v65, vcc, 0, v24, vcc
	s_waitcnt vmcnt(0)
	v_sub_co_u32_e32 v46, vcc, v27, v9
	v_subb_co_u32_e32 v47, vcc, v28, v10, vcc
	v_add_co_u32_e32 v74, vcc, s17, v23
	v_lshlrev_b64 v[46:47], 6, v[46:47]
	v_addc_co_u32_e32 v75, vcc, 0, v24, vcc
	v_add_co_u32_e32 v66, vcc, s8, v46
	v_addc_co_u32_e32 v67, vcc, v45, v47, vcc
	global_load_dwordx4 v[27:30], v[74:75], off offset:-4096
	global_load_dwordx4 v[31:34], v[64:65], off offset:48
	global_load_dwordx4 v[35:38], v[64:65], off offset:32
	;; [unrolled: 1-line block ×6, first 2 shown]
	global_load_dwordx4 v[58:61], v[66:67], off
	s_waitcnt vmcnt(0)
	v_fma_f64 v[66:67], v[27:28], v[58:59], v[78:79]
	v_fma_f64 v[66:67], -v[29:30], v[60:61], v[66:67]
	v_fma_f64 v[29:30], v[29:30], v[58:59], v[80:81]
	v_fma_f64 v[27:28], v[27:28], v[60:61], v[29:30]
	;; [unrolled: 1-line block ×4, first 2 shown]
	v_fma_f64 v[29:30], -v[41:42], v[56:57], v[29:30]
	v_fma_f64 v[27:28], v[39:40], v[56:57], v[27:28]
	v_fma_f64 v[29:30], v[35:36], v[50:51], v[29:30]
	v_fma_f64 v[27:28], v[37:38], v[50:51], v[27:28]
	v_fma_f64 v[29:30], -v[37:38], v[52:53], v[29:30]
	v_fma_f64 v[27:28], v[35:36], v[52:53], v[27:28]
	v_fma_f64 v[29:30], v[31:32], v[46:47], v[29:30]
	;; [unrolled: 1-line block ×3, first 2 shown]
	v_fma_f64 v[66:67], -v[33:34], v[48:49], v[29:30]
	v_fma_f64 v[68:69], v[31:32], v[48:49], v[27:28]
	global_load_dwordx4 v[27:30], v[64:65], off offset:112
	global_load_dwordx4 v[31:34], v[64:65], off offset:96
	global_load_dwordx4 v[35:38], v[64:65], off offset:80
	global_load_dwordx4 v[39:42], v[64:65], off offset:64
	s_waitcnt vmcnt(0)
	v_fma_f64 v[70:71], v[39:40], v[58:59], v[82:83]
	v_fma_f64 v[70:71], -v[41:42], v[60:61], v[70:71]
	v_fma_f64 v[41:42], v[41:42], v[58:59], v[84:85]
	v_fma_f64 v[39:40], v[39:40], v[60:61], v[41:42]
	v_fma_f64 v[41:42], v[35:36], v[54:55], v[70:71]
	v_fma_f64 v[41:42], -v[37:38], v[56:57], v[41:42]
	v_fma_f64 v[37:38], v[37:38], v[54:55], v[39:40]
	v_fma_f64 v[35:36], v[35:36], v[56:57], v[37:38]
	v_fma_f64 v[37:38], v[31:32], v[50:51], v[41:42]
	v_fma_f64 v[37:38], -v[33:34], v[52:53], v[37:38]
	v_fma_f64 v[33:34], v[33:34], v[50:51], v[35:36]
	v_fma_f64 v[31:32], v[31:32], v[52:53], v[33:34]
	v_fma_f64 v[33:34], v[27:28], v[46:47], v[37:38]
	v_fma_f64 v[70:71], -v[29:30], v[48:49], v[33:34]
	v_fma_f64 v[29:30], v[29:30], v[46:47], v[31:32]
	v_fma_f64 v[72:73], v[27:28], v[48:49], v[29:30]
	global_load_dwordx4 v[27:30], v[64:65], off offset:176
	global_load_dwordx4 v[31:34], v[64:65], off offset:160
	global_load_dwordx4 v[35:38], v[64:65], off offset:144
	global_load_dwordx4 v[39:42], v[64:65], off offset:128
	s_waitcnt vmcnt(0)
	v_fma_f64 v[76:77], v[39:40], v[58:59], v[86:87]
	v_fma_f64 v[76:77], -v[41:42], v[60:61], v[76:77]
	v_fma_f64 v[41:42], v[41:42], v[58:59], v[88:89]
	v_fma_f64 v[39:40], v[39:40], v[60:61], v[41:42]
	v_fma_f64 v[41:42], v[35:36], v[54:55], v[76:77]
	v_fma_f64 v[41:42], -v[37:38], v[56:57], v[41:42]
	v_fma_f64 v[37:38], v[37:38], v[54:55], v[39:40]
	v_fma_f64 v[35:36], v[35:36], v[56:57], v[37:38]
	v_fma_f64 v[37:38], v[31:32], v[50:51], v[41:42]
	v_fma_f64 v[37:38], -v[33:34], v[52:53], v[37:38]
	v_fma_f64 v[33:34], v[33:34], v[50:51], v[35:36]
	v_fma_f64 v[31:32], v[31:32], v[52:53], v[33:34]
	v_fma_f64 v[33:34], v[27:28], v[46:47], v[37:38]
	v_fma_f64 v[76:77], -v[29:30], v[48:49], v[33:34]
	v_fma_f64 v[29:30], v[29:30], v[46:47], v[31:32]
	;; [unrolled: 21-line block ×3, first 2 shown]
	v_fma_f64 v[80:81], v[27:28], v[48:49], v[29:30]
	global_load_dwordx2 v[27:28], v[25:26], off
	s_waitcnt vmcnt(0)
	v_sub_co_u32_e32 v46, vcc, v27, v9
	v_subb_co_u32_e32 v47, vcc, v28, v10, vcc
	v_lshlrev_b64 v[46:47], 6, v[46:47]
	global_load_dwordx4 v[27:30], v[74:75], off
	global_load_dwordx4 v[31:34], v[74:75], off offset:48
	global_load_dwordx4 v[35:38], v[74:75], off offset:32
	;; [unrolled: 1-line block ×3, first 2 shown]
	v_add_co_u32_e32 v62, vcc, s8, v46
	v_addc_co_u32_e32 v63, vcc, v45, v47, vcc
	global_load_dwordx4 v[46:49], v[62:63], off offset:48
	global_load_dwordx4 v[50:53], v[62:63], off offset:32
	;; [unrolled: 1-line block ×3, first 2 shown]
	global_load_dwordx4 v[58:61], v[62:63], off
	s_waitcnt vmcnt(0)
	v_fma_f64 v[62:63], v[27:28], v[58:59], v[66:67]
	v_fma_f64 v[62:63], -v[29:30], v[60:61], v[62:63]
	v_fma_f64 v[29:30], v[29:30], v[58:59], v[68:69]
	v_fma_f64 v[27:28], v[27:28], v[60:61], v[29:30]
	;; [unrolled: 1-line block ×4, first 2 shown]
	v_fma_f64 v[29:30], -v[41:42], v[56:57], v[29:30]
	v_fma_f64 v[27:28], v[39:40], v[56:57], v[27:28]
	v_fma_f64 v[29:30], v[35:36], v[50:51], v[29:30]
	;; [unrolled: 1-line block ×3, first 2 shown]
	v_fma_f64 v[29:30], -v[37:38], v[52:53], v[29:30]
	v_fma_f64 v[27:28], v[35:36], v[52:53], v[27:28]
	v_fma_f64 v[29:30], v[31:32], v[46:47], v[29:30]
	;; [unrolled: 1-line block ×3, first 2 shown]
	v_fma_f64 v[39:40], -v[33:34], v[48:49], v[29:30]
	v_fma_f64 v[41:42], v[31:32], v[48:49], v[27:28]
	global_load_dwordx4 v[27:30], v[74:75], off offset:112
	global_load_dwordx4 v[31:34], v[74:75], off offset:96
	global_load_dwordx4 v[35:38], v[74:75], off offset:80
	global_load_dwordx4 v[62:65], v[74:75], off offset:64
	s_waitcnt vmcnt(0)
	v_fma_f64 v[66:67], v[62:63], v[58:59], v[70:71]
	v_fma_f64 v[66:67], -v[64:65], v[60:61], v[66:67]
	v_fma_f64 v[64:65], v[64:65], v[58:59], v[72:73]
	v_fma_f64 v[62:63], v[62:63], v[60:61], v[64:65]
	v_fma_f64 v[64:65], v[35:36], v[54:55], v[66:67]
	v_fma_f64 v[64:65], -v[37:38], v[56:57], v[64:65]
	v_fma_f64 v[37:38], v[37:38], v[54:55], v[62:63]
	v_fma_f64 v[35:36], v[35:36], v[56:57], v[37:38]
	;; [unrolled: 4-line block ×4, first 2 shown]
	global_load_dwordx4 v[29:32], v[74:75], off offset:176
	global_load_dwordx4 v[62:65], v[74:75], off offset:160
	;; [unrolled: 1-line block ×4, first 2 shown]
	s_waitcnt vmcnt(0)
	v_fma_f64 v[27:28], v[70:71], v[58:59], v[76:77]
	v_fma_f64 v[33:34], v[72:73], v[58:59], v[78:79]
	v_fma_f64 v[27:28], -v[72:73], v[60:61], v[27:28]
	v_fma_f64 v[33:34], v[70:71], v[60:61], v[33:34]
	v_fma_f64 v[27:28], v[66:67], v[54:55], v[27:28]
	v_fma_f64 v[33:34], v[68:69], v[54:55], v[33:34]
	v_fma_f64 v[27:28], -v[68:69], v[56:57], v[27:28]
	v_fma_f64 v[33:34], v[66:67], v[56:57], v[33:34]
	;; [unrolled: 4-line block ×3, first 2 shown]
	v_fma_f64 v[27:28], v[29:30], v[46:47], v[27:28]
	v_fma_f64 v[27:28], -v[31:32], v[48:49], v[27:28]
	v_fma_f64 v[31:32], v[31:32], v[46:47], v[33:34]
	v_fma_f64 v[33:34], v[29:30], v[48:49], v[31:32]
	global_load_dwordx4 v[62:65], v[74:75], off offset:240
	global_load_dwordx4 v[29:32], v[74:75], off offset:224
	;; [unrolled: 1-line block ×4, first 2 shown]
	s_waitcnt vmcnt(0)
	v_fma_f64 v[43:44], v[70:71], v[58:59], v[43:44]
	v_fma_f64 v[58:59], v[72:73], v[58:59], v[80:81]
	v_fma_f64 v[43:44], -v[72:73], v[60:61], v[43:44]
	v_fma_f64 v[58:59], v[70:71], v[60:61], v[58:59]
	v_fma_f64 v[43:44], v[66:67], v[54:55], v[43:44]
	;; [unrolled: 1-line block ×3, first 2 shown]
	v_fma_f64 v[43:44], -v[68:69], v[56:57], v[43:44]
	v_fma_f64 v[54:55], v[66:67], v[56:57], v[54:55]
	v_fma_f64 v[43:44], v[29:30], v[50:51], v[43:44]
	v_fma_f64 v[43:44], -v[31:32], v[52:53], v[43:44]
	v_fma_f64 v[31:32], v[31:32], v[50:51], v[54:55]
	v_fma_f64 v[29:30], v[29:30], v[52:53], v[31:32]
	v_fma_f64 v[31:32], v[62:63], v[46:47], v[43:44]
	global_load_dwordx2 v[43:44], v[25:26], off offset:128
	v_fma_f64 v[29:30], v[64:65], v[46:47], v[29:30]
	v_fma_f64 v[31:32], -v[64:65], v[48:49], v[31:32]
	v_fma_f64 v[29:30], v[62:63], v[48:49], v[29:30]
	s_waitcnt vmcnt(0)
	v_sub_co_u32_e32 v62, vcc, v43, v9
	v_subb_co_u32_e32 v63, vcc, v44, v10, vcc
	v_add_co_u32_e32 v43, vcc, s18, v23
	v_lshlrev_b64 v[62:63], 6, v[62:63]
	v_addc_co_u32_e32 v44, vcc, 0, v24, vcc
	v_add_co_u32_e32 v78, vcc, s8, v62
	v_addc_co_u32_e32 v79, vcc, v45, v63, vcc
	global_load_dwordx4 v[46:49], v[43:44], off
	global_load_dwordx4 v[50:53], v[43:44], off offset:48
	global_load_dwordx4 v[54:57], v[43:44], off offset:32
	;; [unrolled: 1-line block ×6, first 2 shown]
	global_load_dwordx4 v[74:77], v[78:79], off
	v_add_co_u32_e32 v19, vcc, 64, v19
	v_addc_co_u32_e32 v20, vcc, 0, v20, vcc
	v_add_co_u32_e32 v25, vcc, 0x200, v25
	v_addc_co_u32_e32 v26, vcc, 0, v26, vcc
	v_cmp_ge_i64_e64 s[2:3], v[19:20], v[13:14]
	v_add_co_u32_e32 v23, vcc, 0x4000, v23
	v_addc_co_u32_e32 v24, vcc, 0, v24, vcc
	s_or_b64 s[14:15], s[2:3], s[14:15]
	s_waitcnt vmcnt(0)
	v_fma_f64 v[39:40], v[46:47], v[74:75], v[39:40]
	v_fma_f64 v[41:42], v[48:49], v[74:75], v[41:42]
	v_fma_f64 v[39:40], -v[48:49], v[76:77], v[39:40]
	v_fma_f64 v[41:42], v[46:47], v[76:77], v[41:42]
	v_fma_f64 v[39:40], v[58:59], v[70:71], v[39:40]
	v_fma_f64 v[41:42], v[60:61], v[70:71], v[41:42]
	v_fma_f64 v[39:40], -v[60:61], v[72:73], v[39:40]
	v_fma_f64 v[41:42], v[58:59], v[72:73], v[41:42]
	v_fma_f64 v[39:40], v[54:55], v[66:67], v[39:40]
	v_fma_f64 v[41:42], v[56:57], v[66:67], v[41:42]
	v_fma_f64 v[39:40], -v[56:57], v[68:69], v[39:40]
	v_fma_f64 v[46:47], v[54:55], v[68:69], v[41:42]
	v_fma_f64 v[39:40], v[50:51], v[62:63], v[39:40]
	v_fma_f64 v[41:42], -v[52:53], v[64:65], v[39:40]
	v_fma_f64 v[39:40], v[52:53], v[62:63], v[46:47]
	v_fma_f64 v[39:40], v[50:51], v[64:65], v[39:40]
	global_load_dwordx4 v[46:49], v[43:44], off offset:112
	global_load_dwordx4 v[50:53], v[43:44], off offset:96
	global_load_dwordx4 v[54:57], v[43:44], off offset:80
	global_load_dwordx4 v[58:61], v[43:44], off offset:64
	s_waitcnt vmcnt(0)
	v_fma_f64 v[35:36], v[58:59], v[74:75], v[35:36]
	v_fma_f64 v[37:38], v[60:61], v[74:75], v[37:38]
	v_fma_f64 v[35:36], -v[60:61], v[76:77], v[35:36]
	v_fma_f64 v[37:38], v[58:59], v[76:77], v[37:38]
	v_fma_f64 v[35:36], v[54:55], v[70:71], v[35:36]
	v_fma_f64 v[37:38], v[56:57], v[70:71], v[37:38]
	v_fma_f64 v[35:36], -v[56:57], v[72:73], v[35:36]
	v_fma_f64 v[37:38], v[54:55], v[72:73], v[37:38]
	v_fma_f64 v[35:36], v[50:51], v[66:67], v[35:36]
	v_fma_f64 v[37:38], v[52:53], v[66:67], v[37:38]
	v_fma_f64 v[35:36], -v[52:53], v[68:69], v[35:36]
	v_fma_f64 v[50:51], v[50:51], v[68:69], v[37:38]
	v_fma_f64 v[35:36], v[46:47], v[62:63], v[35:36]
	v_fma_f64 v[37:38], -v[48:49], v[64:65], v[35:36]
	v_fma_f64 v[35:36], v[48:49], v[62:63], v[50:51]
	v_fma_f64 v[35:36], v[46:47], v[64:65], v[35:36]
	global_load_dwordx4 v[46:49], v[43:44], off offset:176
	global_load_dwordx4 v[50:53], v[43:44], off offset:160
	global_load_dwordx4 v[54:57], v[43:44], off offset:144
	global_load_dwordx4 v[58:61], v[43:44], off offset:128
	;; [unrolled: 21-line block ×3, first 2 shown]
	s_waitcnt vmcnt(0)
	v_fma_f64 v[31:32], v[58:59], v[74:75], v[31:32]
	v_fma_f64 v[29:30], v[60:61], v[74:75], v[29:30]
	v_fma_f64 v[31:32], -v[60:61], v[76:77], v[31:32]
	v_fma_f64 v[29:30], v[58:59], v[76:77], v[29:30]
	v_fma_f64 v[31:32], v[54:55], v[70:71], v[31:32]
	v_fma_f64 v[29:30], v[56:57], v[70:71], v[29:30]
	v_fma_f64 v[31:32], -v[56:57], v[72:73], v[31:32]
	v_fma_f64 v[29:30], v[54:55], v[72:73], v[29:30]
	;; [unrolled: 4-line block ×4, first 2 shown]
	s_andn2_b64 exec, exec, s[14:15]
	s_cbranch_execnz .LBB57_21
; %bb.22:
	s_or_b64 exec, exec, s[14:15]
.LBB57_23:
	s_or_b64 exec, exec, s[6:7]
.LBB57_24:
	s_or_b64 exec, exec, s[10:11]
	s_cbranch_execz .LBB57_26
	s_branch .LBB57_37
.LBB57_25:
                                        ; implicit-def: $vgpr39_vgpr40
                                        ; implicit-def: $vgpr41_vgpr42
                                        ; implicit-def: $vgpr31_vgpr32
                                        ; implicit-def: $vgpr29_vgpr30
                                        ; implicit-def: $vgpr33_vgpr34
                                        ; implicit-def: $vgpr27_vgpr28
                                        ; implicit-def: $vgpr37_vgpr38
                                        ; implicit-def: $vgpr35_vgpr36
.LBB57_26:
	v_mov_b32_e32 v39, 0
	v_mov_b32_e32 v41, 0
	;; [unrolled: 1-line block ×16, first 2 shown]
	s_and_saveexec_b64 s[2:3], s[0:1]
	s_cbranch_execz .LBB57_36
; %bb.27:
	v_or_b32_e32 v19, 16, v0
	v_sub_co_u32_e32 v19, vcc, v19, v9
	v_subb_co_u32_e32 v20, vcc, 0, v10, vcc
	v_add_co_u32_e32 v19, vcc, v19, v17
	v_addc_co_u32_e32 v20, vcc, v20, v18, vcc
	v_cmp_gt_i64_e32 vcc, v[19:20], v[13:14]
	v_not_b32_e32 v17, v17
	v_cndmask_b32_e32 v20, v14, v20, vcc
	v_cndmask_b32_e32 v19, v13, v19, vcc
	v_sub_co_u32_e32 v23, vcc, v9, v0
	v_subbrev_co_u32_e32 v24, vcc, 0, v10, vcc
	v_not_b32_e32 v18, v18
	v_add_co_u32_e32 v17, vcc, v23, v17
	v_addc_co_u32_e32 v18, vcc, v24, v18, vcc
	v_add_co_u32_e32 v17, vcc, v17, v19
	v_addc_co_u32_e32 v18, vcc, v18, v20, vcc
	v_and_b32_e32 v19, 48, v17
	v_mov_b32_e32 v20, 0
	v_cmp_ne_u64_e32 vcc, 48, v[19:20]
	v_mov_b32_e32 v35, 0
	v_mov_b32_e32 v37, 0
	v_mov_b32_e32 v27, 0
	v_mov_b32_e32 v33, 0
	v_mov_b32_e32 v29, 0
	v_mov_b32_e32 v31, 0
	v_mov_b32_e32 v41, 0
	v_mov_b32_e32 v39, 0
	v_mov_b32_e32 v36, 0
	v_mov_b32_e32 v38, 0
	v_mov_b32_e32 v28, 0
	v_mov_b32_e32 v34, 0
	v_mov_b32_e32 v30, 0
	v_mov_b32_e32 v32, 0
	v_mov_b32_e32 v42, 0
	v_mov_b32_e32 v40, 0
	s_and_saveexec_b64 s[0:1], vcc
	s_cbranch_execz .LBB57_31
; %bb.28:
	v_lshrrev_b32_e32 v19, 4, v17
	v_add_u32_e32 v19, 1, v19
	v_and_b32_e32 v23, 3, v19
	v_lshlrev_b64 v[19:20], 3, v[11:12]
	v_mov_b32_e32 v24, s13
	v_add_co_u32_e32 v19, vcc, s12, v19
	v_addc_co_u32_e32 v20, vcc, v24, v20, vcc
	v_sub_co_u32_e32 v23, vcc, 0, v23
	v_subb_co_u32_e64 v24, s[10:11], 0, 0, vcc
	v_mov_b32_e32 v39, 0
	v_mov_b32_e32 v41, 0
	;; [unrolled: 1-line block ×8, first 2 shown]
	s_mov_b64 s[6:7], 0
	v_mov_b32_e32 v40, 0
	v_mov_b32_e32 v42, 0
	;; [unrolled: 1-line block ×8, first 2 shown]
	s_movk_i32 s10, 0x1000
.LBB57_29:                              ; =>This Inner Loop Header: Depth=1
	global_load_dwordx2 v[25:26], v[19:20], off
	v_mov_b32_e32 v59, s9
	global_load_dwordx4 v[43:46], v[15:16], off offset:48
	global_load_dwordx4 v[47:50], v[15:16], off offset:32
	;; [unrolled: 1-line block ×3, first 2 shown]
	global_load_dwordx4 v[55:58], v[15:16], off
	s_waitcnt vmcnt(4)
	v_sub_co_u32_e32 v25, vcc, v25, v9
	v_subb_co_u32_e32 v26, vcc, v26, v10, vcc
	v_lshlrev_b64 v[25:26], 6, v[25:26]
	v_add_co_u32_e32 v25, vcc, s8, v25
	v_addc_co_u32_e32 v26, vcc, v59, v26, vcc
	global_load_dwordx4 v[59:62], v[25:26], off offset:48
	global_load_dwordx4 v[63:66], v[25:26], off offset:32
	global_load_dwordx4 v[67:70], v[25:26], off offset:16
	global_load_dwordx4 v[71:74], v[25:26], off
	s_waitcnt vmcnt(0)
	v_fma_f64 v[25:26], v[55:56], v[71:72], v[41:42]
	v_fma_f64 v[41:42], -v[57:58], v[73:74], v[25:26]
	v_fma_f64 v[25:26], v[57:58], v[71:72], v[39:40]
	v_fma_f64 v[55:56], v[55:56], v[73:74], v[25:26]
	v_fma_f64 v[25:26], v[51:52], v[71:72], v[37:38]
	v_fma_f64 v[57:58], -v[53:54], v[73:74], v[25:26]
	v_fma_f64 v[25:26], v[53:54], v[71:72], v[35:36]
	v_fma_f64 v[51:52], v[51:52], v[73:74], v[25:26]
	v_fma_f64 v[25:26], v[47:48], v[71:72], v[33:34]
	v_fma_f64 v[53:54], -v[49:50], v[73:74], v[25:26]
	v_fma_f64 v[25:26], v[49:50], v[71:72], v[27:28]
	v_fma_f64 v[47:48], v[47:48], v[73:74], v[25:26]
	v_fma_f64 v[25:26], v[43:44], v[71:72], v[31:32]
	v_fma_f64 v[49:50], -v[45:46], v[73:74], v[25:26]
	v_fma_f64 v[25:26], v[45:46], v[71:72], v[29:30]
	v_fma_f64 v[43:44], v[43:44], v[73:74], v[25:26]
	global_load_dwordx4 v[25:28], v[15:16], off offset:112
	global_load_dwordx4 v[29:32], v[15:16], off offset:96
	global_load_dwordx4 v[33:36], v[15:16], off offset:80
	global_load_dwordx4 v[37:40], v[15:16], off offset:64
	s_waitcnt vmcnt(0)
	v_fma_f64 v[41:42], v[37:38], v[67:68], v[41:42]
	v_fma_f64 v[41:42], -v[39:40], v[69:70], v[41:42]
	v_fma_f64 v[39:40], v[39:40], v[67:68], v[55:56]
	v_fma_f64 v[45:46], v[37:38], v[69:70], v[39:40]
	v_fma_f64 v[37:38], v[33:34], v[67:68], v[57:58]
	v_fma_f64 v[55:56], -v[35:36], v[69:70], v[37:38]
	v_fma_f64 v[35:36], v[35:36], v[67:68], v[51:52]
	v_fma_f64 v[51:52], v[33:34], v[69:70], v[35:36]
	v_fma_f64 v[33:34], v[29:30], v[67:68], v[53:54]
	v_fma_f64 v[53:54], -v[31:32], v[69:70], v[33:34]
	v_fma_f64 v[31:32], v[31:32], v[67:68], v[47:48]
	v_fma_f64 v[47:48], v[29:30], v[69:70], v[31:32]
	v_fma_f64 v[29:30], v[25:26], v[67:68], v[49:50]
	v_fma_f64 v[49:50], -v[27:28], v[69:70], v[29:30]
	v_fma_f64 v[27:28], v[27:28], v[67:68], v[43:44]
	v_fma_f64 v[43:44], v[25:26], v[69:70], v[27:28]
	global_load_dwordx4 v[25:28], v[15:16], off offset:176
	global_load_dwordx4 v[29:32], v[15:16], off offset:160
	global_load_dwordx4 v[33:36], v[15:16], off offset:144
	global_load_dwordx4 v[37:40], v[15:16], off offset:128
	;; [unrolled: 21-line block ×3, first 2 shown]
	v_add_co_u32_e32 v15, vcc, s10, v15
	v_addc_co_u32_e32 v16, vcc, 0, v16, vcc
	v_add_co_u32_e32 v11, vcc, 16, v11
	v_addc_co_u32_e32 v12, vcc, 0, v12, vcc
	;; [unrolled: 2-line block ×4, first 2 shown]
	v_cmp_eq_u64_e32 vcc, 0, v[23:24]
	s_or_b64 s[6:7], vcc, s[6:7]
	s_waitcnt vmcnt(0)
	v_fma_f64 v[39:40], v[33:34], v[59:60], v[41:42]
	v_fma_f64 v[41:42], -v[35:36], v[61:62], v[39:40]
	v_fma_f64 v[35:36], v[35:36], v[59:60], v[37:38]
	v_fma_f64 v[39:40], v[33:34], v[61:62], v[35:36]
	v_fma_f64 v[33:34], v[29:30], v[59:60], v[55:56]
	v_fma_f64 v[37:38], -v[31:32], v[61:62], v[33:34]
	v_fma_f64 v[31:32], v[31:32], v[59:60], v[51:52]
	v_fma_f64 v[35:36], v[29:30], v[61:62], v[31:32]
	;; [unrolled: 4-line block ×4, first 2 shown]
	s_andn2_b64 exec, exec, s[6:7]
	s_cbranch_execnz .LBB57_29
; %bb.30:
	s_or_b64 exec, exec, s[6:7]
.LBB57_31:
	s_or_b64 exec, exec, s[0:1]
	v_cmp_lt_u64_e32 vcc, 47, v[17:18]
	s_and_saveexec_b64 s[6:7], vcc
	s_cbranch_execz .LBB57_35
; %bb.32:
	v_lshlrev_b64 v[17:18], 3, v[11:12]
	v_mov_b32_e32 v19, s13
	v_add_co_u32_e32 v17, vcc, s12, v17
	v_addc_co_u32_e32 v18, vcc, v19, v18, vcc
	v_add_co_u32_e32 v17, vcc, 0x100, v17
	v_addc_co_u32_e32 v18, vcc, 0, v18, vcc
	s_mov_b64 s[10:11], 0
	v_mov_b32_e32 v43, s9
	s_movk_i32 s9, 0x1000
	s_movk_i32 s12, 0x2000
	s_movk_i32 s13, 0x3000
.LBB57_33:                              ; =>This Inner Loop Header: Depth=1
	global_load_dwordx2 v[19:20], v[17:18], off offset:-256
	global_load_dwordx4 v[23:26], v[15:16], off offset:48
	global_load_dwordx4 v[44:47], v[15:16], off offset:32
	;; [unrolled: 1-line block ×3, first 2 shown]
	global_load_dwordx4 v[52:55], v[15:16], off
	s_waitcnt vmcnt(4)
	v_sub_co_u32_e32 v19, vcc, v19, v9
	v_subb_co_u32_e32 v20, vcc, v20, v10, vcc
	v_lshlrev_b64 v[19:20], 6, v[19:20]
	v_add_co_u32_e32 v19, vcc, s8, v19
	v_addc_co_u32_e32 v20, vcc, v43, v20, vcc
	global_load_dwordx4 v[56:59], v[19:20], off offset:48
	global_load_dwordx4 v[60:63], v[19:20], off offset:32
	;; [unrolled: 1-line block ×3, first 2 shown]
	global_load_dwordx4 v[68:71], v[19:20], off
	s_waitcnt vmcnt(0)
	v_fma_f64 v[27:28], v[46:47], v[68:69], v[27:28]
	v_fma_f64 v[37:38], v[48:49], v[68:69], v[37:38]
	;; [unrolled: 1-line block ×8, first 2 shown]
	v_fma_f64 v[41:42], -v[50:51], v[70:71], v[37:38]
	v_fma_f64 v[50:51], -v[46:47], v[70:71], v[33:34]
	v_fma_f64 v[39:40], v[52:53], v[70:71], v[39:40]
	v_fma_f64 v[48:49], v[48:49], v[70:71], v[35:36]
	v_fma_f64 v[19:20], -v[54:55], v[70:71], v[19:20]
	v_fma_f64 v[46:47], -v[25:26], v[70:71], v[27:28]
	v_fma_f64 v[25:26], v[25:26], v[68:69], v[29:30]
	v_fma_f64 v[52:53], v[23:24], v[70:71], v[25:26]
	global_load_dwordx4 v[23:26], v[15:16], off offset:112
	global_load_dwordx4 v[27:30], v[15:16], off offset:96
	global_load_dwordx4 v[31:34], v[15:16], off offset:80
	global_load_dwordx4 v[35:38], v[15:16], off offset:64
	s_waitcnt vmcnt(0)
	v_fma_f64 v[19:20], v[35:36], v[64:65], v[19:20]
	v_fma_f64 v[19:20], -v[37:38], v[66:67], v[19:20]
	v_fma_f64 v[37:38], v[37:38], v[64:65], v[39:40]
	v_fma_f64 v[39:40], v[35:36], v[66:67], v[37:38]
	v_fma_f64 v[35:36], v[31:32], v[64:65], v[41:42]
	v_fma_f64 v[41:42], -v[33:34], v[66:67], v[35:36]
	v_fma_f64 v[33:34], v[33:34], v[64:65], v[48:49]
	v_fma_f64 v[48:49], v[31:32], v[66:67], v[33:34]
	v_fma_f64 v[31:32], v[27:28], v[64:65], v[50:51]
	v_fma_f64 v[50:51], -v[29:30], v[66:67], v[31:32]
	v_fma_f64 v[29:30], v[29:30], v[64:65], v[44:45]
	v_fma_f64 v[44:45], v[27:28], v[66:67], v[29:30]
	v_fma_f64 v[27:28], v[23:24], v[64:65], v[46:47]
	v_fma_f64 v[46:47], -v[25:26], v[66:67], v[27:28]
	v_fma_f64 v[25:26], v[25:26], v[64:65], v[52:53]
	v_fma_f64 v[52:53], v[23:24], v[66:67], v[25:26]
	global_load_dwordx4 v[23:26], v[15:16], off offset:176
	global_load_dwordx4 v[27:30], v[15:16], off offset:160
	global_load_dwordx4 v[31:34], v[15:16], off offset:144
	global_load_dwordx4 v[35:38], v[15:16], off offset:128
	s_waitcnt vmcnt(0)
	v_fma_f64 v[19:20], v[35:36], v[60:61], v[19:20]
	v_fma_f64 v[19:20], -v[37:38], v[62:63], v[19:20]
	v_fma_f64 v[37:38], v[37:38], v[60:61], v[39:40]
	v_fma_f64 v[39:40], v[35:36], v[62:63], v[37:38]
	v_fma_f64 v[35:36], v[31:32], v[60:61], v[41:42]
	v_fma_f64 v[41:42], -v[33:34], v[62:63], v[35:36]
	v_fma_f64 v[33:34], v[33:34], v[60:61], v[48:49]
	v_fma_f64 v[48:49], v[31:32], v[62:63], v[33:34]
	v_fma_f64 v[31:32], v[27:28], v[60:61], v[50:51]
	v_fma_f64 v[50:51], -v[29:30], v[62:63], v[31:32]
	v_fma_f64 v[29:30], v[29:30], v[60:61], v[44:45]
	v_fma_f64 v[44:45], v[27:28], v[62:63], v[29:30]
	v_fma_f64 v[27:28], v[23:24], v[60:61], v[46:47]
	;; [unrolled: 21-line block ×3, first 2 shown]
	v_fma_f64 v[70:71], -v[25:26], v[58:59], v[27:28]
	v_fma_f64 v[25:26], v[25:26], v[56:57], v[52:53]
	v_fma_f64 v[56:57], v[23:24], v[58:59], v[25:26]
	global_load_dwordx2 v[23:24], v[17:18], off offset:-128
	v_add_co_u32_e32 v58, vcc, s9, v15
	v_addc_co_u32_e32 v59, vcc, 0, v16, vcc
	s_waitcnt vmcnt(0)
	v_sub_co_u32_e32 v39, vcc, v23, v9
	v_subb_co_u32_e32 v40, vcc, v24, v10, vcc
	v_add_co_u32_e32 v72, vcc, s12, v15
	v_lshlrev_b64 v[39:40], 6, v[39:40]
	v_addc_co_u32_e32 v73, vcc, 0, v16, vcc
	v_add_co_u32_e32 v74, vcc, s8, v39
	v_addc_co_u32_e32 v75, vcc, v43, v40, vcc
	global_load_dwordx4 v[23:26], v[72:73], off offset:-4096
	global_load_dwordx4 v[27:30], v[58:59], off offset:48
	global_load_dwordx4 v[31:34], v[58:59], off offset:32
	;; [unrolled: 1-line block ×6, first 2 shown]
	global_load_dwordx4 v[52:55], v[74:75], off
	s_waitcnt vmcnt(0)
	v_fma_f64 v[19:20], v[23:24], v[52:53], v[19:20]
	v_fma_f64 v[19:20], -v[25:26], v[54:55], v[19:20]
	v_fma_f64 v[25:26], v[25:26], v[52:53], v[60:61]
	v_fma_f64 v[60:61], v[23:24], v[54:55], v[25:26]
	v_fma_f64 v[23:24], v[35:36], v[52:53], v[62:63]
	v_fma_f64 v[62:63], -v[37:38], v[54:55], v[23:24]
	v_fma_f64 v[23:24], v[37:38], v[52:53], v[64:65]
	v_fma_f64 v[64:65], v[35:36], v[54:55], v[23:24]
	v_fma_f64 v[23:24], v[31:32], v[52:53], v[66:67]
	v_fma_f64 v[66:67], -v[33:34], v[54:55], v[23:24]
	v_fma_f64 v[23:24], v[33:34], v[52:53], v[68:69]
	v_fma_f64 v[68:69], v[31:32], v[54:55], v[23:24]
	v_fma_f64 v[23:24], v[27:28], v[52:53], v[70:71]
	v_fma_f64 v[70:71], -v[29:30], v[54:55], v[23:24]
	v_fma_f64 v[23:24], v[29:30], v[52:53], v[56:57]
	v_fma_f64 v[52:53], v[27:28], v[54:55], v[23:24]
	global_load_dwordx4 v[23:26], v[58:59], off offset:112
	global_load_dwordx4 v[27:30], v[58:59], off offset:96
	global_load_dwordx4 v[31:34], v[58:59], off offset:80
	global_load_dwordx4 v[35:38], v[58:59], off offset:64
	s_waitcnt vmcnt(0)
	v_fma_f64 v[19:20], v[35:36], v[48:49], v[19:20]
	v_fma_f64 v[19:20], -v[37:38], v[50:51], v[19:20]
	v_fma_f64 v[37:38], v[37:38], v[48:49], v[60:61]
	v_fma_f64 v[54:55], v[35:36], v[50:51], v[37:38]
	v_fma_f64 v[35:36], v[31:32], v[48:49], v[62:63]
	v_fma_f64 v[56:57], -v[33:34], v[50:51], v[35:36]
	v_fma_f64 v[33:34], v[33:34], v[48:49], v[64:65]
	v_fma_f64 v[60:61], v[31:32], v[50:51], v[33:34]
	v_fma_f64 v[31:32], v[27:28], v[48:49], v[66:67]
	v_fma_f64 v[62:63], -v[29:30], v[50:51], v[31:32]
	v_fma_f64 v[29:30], v[29:30], v[48:49], v[68:69]
	v_fma_f64 v[64:65], v[27:28], v[50:51], v[29:30]
	v_fma_f64 v[27:28], v[23:24], v[48:49], v[70:71]
	v_fma_f64 v[66:67], -v[25:26], v[50:51], v[27:28]
	v_fma_f64 v[25:26], v[25:26], v[48:49], v[52:53]
	v_fma_f64 v[48:49], v[23:24], v[50:51], v[25:26]
	global_load_dwordx4 v[23:26], v[58:59], off offset:176
	global_load_dwordx4 v[27:30], v[58:59], off offset:160
	global_load_dwordx4 v[31:34], v[58:59], off offset:144
	global_load_dwordx4 v[35:38], v[58:59], off offset:128
	;; [unrolled: 21-line block ×3, first 2 shown]
	s_waitcnt vmcnt(0)
	v_fma_f64 v[19:20], v[35:36], v[39:40], v[19:20]
	v_fma_f64 v[19:20], -v[37:38], v[41:42], v[19:20]
	v_fma_f64 v[37:38], v[37:38], v[39:40], v[50:51]
	v_fma_f64 v[58:59], v[35:36], v[41:42], v[37:38]
	v_fma_f64 v[35:36], v[31:32], v[39:40], v[52:53]
	v_fma_f64 v[64:65], -v[33:34], v[41:42], v[35:36]
	v_fma_f64 v[33:34], v[33:34], v[39:40], v[54:55]
	v_fma_f64 v[66:67], v[31:32], v[41:42], v[33:34]
	;; [unrolled: 4-line block ×4, first 2 shown]
	global_load_dwordx2 v[23:24], v[17:18], off
	s_waitcnt vmcnt(0)
	v_sub_co_u32_e32 v39, vcc, v23, v9
	v_subb_co_u32_e32 v40, vcc, v24, v10, vcc
	v_lshlrev_b64 v[39:40], 6, v[39:40]
	global_load_dwordx4 v[23:26], v[72:73], off
	global_load_dwordx4 v[27:30], v[72:73], off offset:48
	global_load_dwordx4 v[31:34], v[72:73], off offset:32
	;; [unrolled: 1-line block ×3, first 2 shown]
	v_add_co_u32_e32 v70, vcc, s8, v39
	v_addc_co_u32_e32 v71, vcc, v43, v40, vcc
	global_load_dwordx4 v[39:42], v[70:71], off offset:48
	global_load_dwordx4 v[44:47], v[70:71], off offset:32
	;; [unrolled: 1-line block ×3, first 2 shown]
	global_load_dwordx4 v[52:55], v[70:71], off
	s_waitcnt vmcnt(0)
	v_fma_f64 v[19:20], v[23:24], v[52:53], v[19:20]
	v_fma_f64 v[19:20], -v[25:26], v[54:55], v[19:20]
	v_fma_f64 v[25:26], v[25:26], v[52:53], v[58:59]
	v_fma_f64 v[58:59], v[23:24], v[54:55], v[25:26]
	v_fma_f64 v[23:24], v[35:36], v[52:53], v[64:65]
	v_fma_f64 v[64:65], -v[37:38], v[54:55], v[23:24]
	v_fma_f64 v[23:24], v[37:38], v[52:53], v[66:67]
	v_fma_f64 v[66:67], v[35:36], v[54:55], v[23:24]
	v_fma_f64 v[23:24], v[31:32], v[52:53], v[56:57]
	v_fma_f64 v[56:57], -v[33:34], v[54:55], v[23:24]
	v_fma_f64 v[23:24], v[33:34], v[52:53], v[60:61]
	v_fma_f64 v[60:61], v[31:32], v[54:55], v[23:24]
	v_fma_f64 v[23:24], v[27:28], v[52:53], v[62:63]
	v_fma_f64 v[62:63], -v[29:30], v[54:55], v[23:24]
	v_fma_f64 v[23:24], v[29:30], v[52:53], v[68:69]
	v_fma_f64 v[52:53], v[27:28], v[54:55], v[23:24]
	global_load_dwordx4 v[23:26], v[72:73], off offset:112
	global_load_dwordx4 v[27:30], v[72:73], off offset:96
	global_load_dwordx4 v[31:34], v[72:73], off offset:80
	global_load_dwordx4 v[35:38], v[72:73], off offset:64
	s_waitcnt vmcnt(0)
	v_fma_f64 v[19:20], v[35:36], v[48:49], v[19:20]
	v_fma_f64 v[19:20], -v[37:38], v[50:51], v[19:20]
	v_fma_f64 v[37:38], v[37:38], v[48:49], v[58:59]
	v_fma_f64 v[54:55], v[35:36], v[50:51], v[37:38]
	v_fma_f64 v[35:36], v[31:32], v[48:49], v[64:65]
	v_fma_f64 v[58:59], -v[33:34], v[50:51], v[35:36]
	v_fma_f64 v[33:34], v[33:34], v[48:49], v[66:67]
	v_fma_f64 v[64:65], v[31:32], v[50:51], v[33:34]
	v_fma_f64 v[31:32], v[27:28], v[48:49], v[56:57]
	v_fma_f64 v[56:57], -v[29:30], v[50:51], v[31:32]
	v_fma_f64 v[29:30], v[29:30], v[48:49], v[60:61]
	v_fma_f64 v[60:61], v[27:28], v[50:51], v[29:30]
	v_fma_f64 v[27:28], v[23:24], v[48:49], v[62:63]
	v_fma_f64 v[62:63], -v[25:26], v[50:51], v[27:28]
	v_fma_f64 v[25:26], v[25:26], v[48:49], v[52:53]
	v_fma_f64 v[48:49], v[23:24], v[50:51], v[25:26]
	global_load_dwordx4 v[23:26], v[72:73], off offset:176
	global_load_dwordx4 v[27:30], v[72:73], off offset:160
	global_load_dwordx4 v[31:34], v[72:73], off offset:144
	global_load_dwordx4 v[35:38], v[72:73], off offset:128
	;; [unrolled: 21-line block ×3, first 2 shown]
	s_waitcnt vmcnt(0)
	v_fma_f64 v[19:20], v[23:24], v[39:40], v[19:20]
	v_fma_f64 v[19:20], -v[25:26], v[41:42], v[19:20]
	v_fma_f64 v[25:26], v[25:26], v[39:40], v[50:51]
	v_fma_f64 v[23:24], v[23:24], v[41:42], v[25:26]
	v_fma_f64 v[25:26], v[27:28], v[39:40], v[52:53]
	v_fma_f64 v[25:26], -v[29:30], v[41:42], v[25:26]
	v_fma_f64 v[29:30], v[29:30], v[39:40], v[54:55]
	v_fma_f64 v[27:28], v[27:28], v[41:42], v[29:30]
	;; [unrolled: 4-line block ×4, first 2 shown]
	global_load_dwordx2 v[37:38], v[17:18], off offset:128
	s_waitcnt vmcnt(0)
	v_sub_co_u32_e32 v56, vcc, v37, v9
	v_subb_co_u32_e32 v57, vcc, v38, v10, vcc
	v_add_co_u32_e32 v37, vcc, s13, v15
	v_lshlrev_b64 v[56:57], 6, v[56:57]
	v_addc_co_u32_e32 v38, vcc, 0, v16, vcc
	v_add_co_u32_e32 v72, vcc, s8, v56
	v_addc_co_u32_e32 v73, vcc, v43, v57, vcc
	global_load_dwordx4 v[39:42], v[37:38], off
	global_load_dwordx4 v[44:47], v[37:38], off offset:48
	global_load_dwordx4 v[48:51], v[37:38], off offset:32
	;; [unrolled: 1-line block ×6, first 2 shown]
	global_load_dwordx4 v[68:71], v[72:73], off
	v_add_co_u32_e32 v11, vcc, 64, v11
	v_addc_co_u32_e32 v12, vcc, 0, v12, vcc
	v_add_co_u32_e32 v17, vcc, 0x200, v17
	v_addc_co_u32_e32 v18, vcc, 0, v18, vcc
	v_cmp_ge_i64_e64 s[0:1], v[11:12], v[13:14]
	v_add_co_u32_e32 v15, vcc, 0x4000, v15
	v_addc_co_u32_e32 v16, vcc, 0, v16, vcc
	s_or_b64 s[10:11], s[0:1], s[10:11]
	s_waitcnt vmcnt(0)
	v_fma_f64 v[23:24], v[41:42], v[68:69], v[23:24]
	v_fma_f64 v[19:20], v[39:40], v[68:69], v[19:20]
	v_fma_f64 v[72:73], v[39:40], v[70:71], v[23:24]
	v_fma_f64 v[23:24], v[52:53], v[68:69], v[25:26]
	v_fma_f64 v[19:20], -v[41:42], v[70:71], v[19:20]
	v_fma_f64 v[74:75], -v[54:55], v[70:71], v[23:24]
	v_fma_f64 v[23:24], v[54:55], v[68:69], v[27:28]
	v_fma_f64 v[52:53], v[52:53], v[70:71], v[23:24]
	v_fma_f64 v[23:24], v[48:49], v[68:69], v[29:30]
	v_fma_f64 v[54:55], -v[50:51], v[70:71], v[23:24]
	v_fma_f64 v[23:24], v[50:51], v[68:69], v[31:32]
	v_fma_f64 v[48:49], v[48:49], v[70:71], v[23:24]
	v_fma_f64 v[23:24], v[44:45], v[68:69], v[33:34]
	v_fma_f64 v[50:51], -v[46:47], v[70:71], v[23:24]
	v_fma_f64 v[23:24], v[46:47], v[68:69], v[35:36]
	v_fma_f64 v[35:36], v[44:45], v[70:71], v[23:24]
	global_load_dwordx4 v[23:26], v[37:38], off offset:112
	global_load_dwordx4 v[27:30], v[37:38], off offset:96
	global_load_dwordx4 v[31:34], v[37:38], off offset:80
	global_load_dwordx4 v[39:42], v[37:38], off offset:64
	s_waitcnt vmcnt(0)
	v_fma_f64 v[19:20], v[39:40], v[64:65], v[19:20]
	v_fma_f64 v[19:20], -v[41:42], v[66:67], v[19:20]
	v_fma_f64 v[41:42], v[41:42], v[64:65], v[72:73]
	v_fma_f64 v[44:45], v[39:40], v[66:67], v[41:42]
	v_fma_f64 v[39:40], v[31:32], v[64:65], v[74:75]
	v_fma_f64 v[46:47], -v[33:34], v[66:67], v[39:40]
	v_fma_f64 v[33:34], v[33:34], v[64:65], v[52:53]
	v_fma_f64 v[52:53], v[31:32], v[66:67], v[33:34]
	v_fma_f64 v[31:32], v[27:28], v[64:65], v[54:55]
	v_fma_f64 v[54:55], -v[29:30], v[66:67], v[31:32]
	v_fma_f64 v[29:30], v[29:30], v[64:65], v[48:49]
	v_fma_f64 v[48:49], v[27:28], v[66:67], v[29:30]
	v_fma_f64 v[27:28], v[23:24], v[64:65], v[50:51]
	v_fma_f64 v[50:51], -v[25:26], v[66:67], v[27:28]
	v_fma_f64 v[25:26], v[25:26], v[64:65], v[35:36]
	v_fma_f64 v[35:36], v[23:24], v[66:67], v[25:26]
	global_load_dwordx4 v[23:26], v[37:38], off offset:176
	global_load_dwordx4 v[27:30], v[37:38], off offset:160
	global_load_dwordx4 v[31:34], v[37:38], off offset:144
	global_load_dwordx4 v[39:42], v[37:38], off offset:128
	s_waitcnt vmcnt(0)
	v_fma_f64 v[19:20], v[39:40], v[60:61], v[19:20]
	v_fma_f64 v[19:20], -v[41:42], v[62:63], v[19:20]
	v_fma_f64 v[41:42], v[41:42], v[60:61], v[44:45]
	v_fma_f64 v[39:40], v[39:40], v[62:63], v[41:42]
	v_fma_f64 v[41:42], v[31:32], v[60:61], v[46:47]
	;; [unrolled: 21-line block ×3, first 2 shown]
	v_fma_f64 v[37:38], -v[33:34], v[58:59], v[19:20]
	v_fma_f64 v[19:20], v[33:34], v[56:57], v[52:53]
	v_fma_f64 v[35:36], v[31:32], v[58:59], v[19:20]
	;; [unrolled: 1-line block ×3, first 2 shown]
	v_fma_f64 v[33:34], -v[29:30], v[58:59], v[19:20]
	v_fma_f64 v[19:20], v[29:30], v[56:57], v[48:49]
	v_fma_f64 v[27:28], v[27:28], v[58:59], v[19:20]
	;; [unrolled: 1-line block ×3, first 2 shown]
	v_fma_f64 v[31:32], -v[25:26], v[58:59], v[19:20]
	v_fma_f64 v[19:20], v[25:26], v[56:57], v[60:61]
	v_fma_f64 v[29:30], v[23:24], v[58:59], v[19:20]
	s_andn2_b64 exec, exec, s[10:11]
	s_cbranch_execnz .LBB57_33
; %bb.34:
	s_or_b64 exec, exec, s[10:11]
.LBB57_35:
	s_or_b64 exec, exec, s[6:7]
.LBB57_36:
	s_or_b64 exec, exec, s[2:3]
.LBB57_37:
	v_mov_b32_dpp v9, v41 row_shr:1 row_mask:0xf bank_mask:0xf
	v_mov_b32_dpp v10, v42 row_shr:1 row_mask:0xf bank_mask:0xf
	v_add_f64 v[9:10], v[41:42], v[9:10]
	v_mov_b32_dpp v11, v39 row_shr:1 row_mask:0xf bank_mask:0xf
	v_mov_b32_dpp v12, v40 row_shr:1 row_mask:0xf bank_mask:0xf
	v_add_f64 v[11:12], v[39:40], v[11:12]
	;; [unrolled: 3-line block ×3, first 2 shown]
	v_mov_b32_dpp v37, v28 row_shr:1 row_mask:0xf bank_mask:0xf
	v_mov_b32_dpp v15, v9 row_shr:2 row_mask:0xf bank_mask:0xf
	;; [unrolled: 1-line block ×3, first 2 shown]
	v_add_f64 v[9:10], v[9:10], v[15:16]
	v_mov_b32_dpp v15, v11 row_shr:2 row_mask:0xf bank_mask:0xf
	v_mov_b32_dpp v16, v12 row_shr:2 row_mask:0xf bank_mask:0xf
	v_add_f64 v[11:12], v[11:12], v[15:16]
	v_mov_b32_dpp v15, v35 row_shr:1 row_mask:0xf bank_mask:0xf
	v_mov_b32_dpp v16, v36 row_shr:1 row_mask:0xf bank_mask:0xf
	;; [unrolled: 3-line block ×3, first 2 shown]
	v_add_f64 v[13:14], v[13:14], v[19:20]
	v_mov_b32_dpp v36, v27 row_shr:1 row_mask:0xf bank_mask:0xf
	v_add_f64 v[27:28], v[27:28], v[36:37]
	v_mov_b32_dpp v37, v32 row_shr:1 row_mask:0xf bank_mask:0xf
	v_mov_b32_dpp v36, v31 row_shr:1 row_mask:0xf bank_mask:0xf
	;; [unrolled: 1-line block ×4, first 2 shown]
	v_add_f64 v[15:16], v[15:16], v[19:20]
	v_mov_b32_dpp v19, v33 row_shr:1 row_mask:0xf bank_mask:0xf
	v_mov_b32_dpp v20, v34 row_shr:1 row_mask:0xf bank_mask:0xf
	v_add_f64 v[19:20], v[33:34], v[19:20]
	v_add_f64 v[31:32], v[31:32], v[36:37]
	v_mov_b32_dpp v36, v29 row_shr:1 row_mask:0xf bank_mask:0xf
	v_mov_b32_dpp v37, v30 row_shr:1 row_mask:0xf bank_mask:0xf
	v_add_f64 v[29:30], v[29:30], v[36:37]
	v_mov_b32_dpp v17, v9 row_shr:4 row_mask:0xf bank_mask:0xe
	v_mov_b32_dpp v18, v10 row_shr:4 row_mask:0xf bank_mask:0xe
	;; [unrolled: 3-line block ×6, first 2 shown]
	v_mov_b32_dpp v37, v27 row_shr:2 row_mask:0xf bank_mask:0xf
	v_mov_b32_dpp v38, v28 row_shr:2 row_mask:0xf bank_mask:0xf
	v_add_f64 v[33:34], v[19:20], v[17:18]
	v_add_f64 v[37:38], v[27:28], v[37:38]
	v_mov_b32_dpp v27, v31 row_shr:2 row_mask:0xf bank_mask:0xf
	v_mov_b32_dpp v28, v32 row_shr:2 row_mask:0xf bank_mask:0xf
	v_add_f64 v[31:32], v[31:32], v[27:28]
	v_mov_b32_dpp v27, v29 row_shr:2 row_mask:0xf bank_mask:0xf
	v_mov_b32_dpp v28, v30 row_shr:2 row_mask:0xf bank_mask:0xf
	;; [unrolled: 3-line block ×4, first 2 shown]
	v_mov_b32_dpp v34, v32 row_shr:4 row_mask:0xf bank_mask:0xe
	v_mov_b32_dpp v30, v38 row_shr:4 row_mask:0xf bank_mask:0xe
	v_add_f64 v[31:32], v[31:32], v[33:34]
	v_mov_b32_dpp v33, v39 row_shr:4 row_mask:0xf bank_mask:0xe
	v_mov_b32_dpp v34, v40 row_shr:4 row_mask:0xf bank_mask:0xe
	v_add_f64 v[29:30], v[37:38], v[29:30]
	v_add_f64 v[33:34], v[39:40], v[33:34]
	v_mov_b32_dpp v25, v9 row_shr:8 row_mask:0xf bank_mask:0xc
	v_mov_b32_dpp v26, v10 row_shr:8 row_mask:0xf bank_mask:0xc
	;; [unrolled: 1-line block ×16, first 2 shown]
	v_cmp_eq_u32_e32 vcc, 15, v0
	s_and_b64 exec, exec, vcc
	s_cbranch_execz .LBB57_8
; %bb.38:
	v_add_f64 v[11:12], v[11:12], v[23:24]
	v_add_f64 v[23:24], v[13:14], v[19:20]
	;; [unrolled: 1-line block ×8, first 2 shown]
	v_mul_f64 v[19:20], v[11:12], -v[7:8]
	v_mul_f64 v[11:12], v[5:6], v[11:12]
	v_mul_f64 v[29:30], v[13:14], -v[7:8]
	v_mul_f64 v[31:32], v[5:6], v[13:14]
	;; [unrolled: 2-line block ×4, first 2 shown]
	v_cmp_eq_f64_e32 vcc, 0, v[1:2]
	v_cmp_eq_f64_e64 s[0:1], 0, v[3:4]
	v_fma_f64 v[17:18], v[5:6], v[9:10], v[19:20]
	v_fma_f64 v[19:20], v[7:8], v[9:10], v[11:12]
	;; [unrolled: 1-line block ×8, first 2 shown]
	s_load_dwordx2 s[2:3], s[4:5], 0x68
	v_lshlrev_b64 v[21:22], 6, v[21:22]
	s_and_b64 s[0:1], vcc, s[0:1]
	s_and_saveexec_b64 s[4:5], s[0:1]
	s_xor_b64 s[0:1], exec, s[4:5]
	s_cbranch_execz .LBB57_40
; %bb.39:
	s_waitcnt lgkmcnt(0)
	v_mov_b32_e32 v1, s3
	v_add_co_u32_e32 v0, vcc, s2, v21
	v_addc_co_u32_e32 v1, vcc, v1, v22, vcc
	global_store_dwordx4 v[0:1], v[17:20], off
	global_store_dwordx4 v[0:1], v[13:16], off offset:16
	global_store_dwordx4 v[0:1], v[9:12], off offset:32
	;; [unrolled: 1-line block ×3, first 2 shown]
                                        ; implicit-def: $vgpr3_vgpr4
                                        ; implicit-def: $vgpr17_vgpr18
                                        ; implicit-def: $vgpr21_vgpr22
                                        ; implicit-def: $vgpr13_vgpr14
                                        ; implicit-def: $vgpr9_vgpr10
                                        ; implicit-def: $vgpr5_vgpr6
.LBB57_40:
	s_andn2_saveexec_b64 s[0:1], s[0:1]
	s_cbranch_execz .LBB57_8
; %bb.41:
	s_waitcnt lgkmcnt(0)
	v_mov_b32_e32 v0, s3
	v_add_co_u32_e32 v37, vcc, s2, v21
	v_addc_co_u32_e32 v38, vcc, v0, v22, vcc
	global_load_dwordx4 v[21:24], v[37:38], off
	global_load_dwordx4 v[25:28], v[37:38], off offset:16
	global_load_dwordx4 v[29:32], v[37:38], off offset:32
	;; [unrolled: 1-line block ×3, first 2 shown]
	s_waitcnt vmcnt(3)
	v_fma_f64 v[17:18], v[1:2], v[21:22], v[17:18]
	v_fma_f64 v[19:20], v[3:4], v[21:22], v[19:20]
	s_waitcnt vmcnt(2)
	v_fma_f64 v[13:14], v[1:2], v[25:26], v[13:14]
	v_fma_f64 v[15:16], v[3:4], v[25:26], v[15:16]
	;; [unrolled: 3-line block ×4, first 2 shown]
	v_fma_f64 v[5:6], -v[3:4], v[23:24], v[17:18]
	v_fma_f64 v[7:8], v[1:2], v[23:24], v[19:20]
	v_fma_f64 v[9:10], -v[3:4], v[27:28], v[13:14]
	v_fma_f64 v[11:12], v[1:2], v[27:28], v[15:16]
	;; [unrolled: 2-line block ×4, first 2 shown]
	global_store_dwordx4 v[37:38], v[5:8], off
	global_store_dwordx4 v[37:38], v[9:12], off offset:16
	global_store_dwordx4 v[37:38], v[13:16], off offset:32
	;; [unrolled: 1-line block ×3, first 2 shown]
	s_endpgm
	.section	.rodata,"a",@progbits
	.p2align	6, 0x0
	.amdhsa_kernel _ZN9rocsparseL18bsrxmvn_4x4_kernelILj128ELj16E21rocsparse_complex_numIdEllS2_S2_S2_EEvT3_20rocsparse_direction_NS_24const_host_device_scalarIT1_EES3_PKS3_PKT2_SC_S9_PKT4_PKT5_S7_PT6_21rocsparse_index_base_b
		.amdhsa_group_segment_fixed_size 0
		.amdhsa_private_segment_fixed_size 0
		.amdhsa_kernarg_size 120
		.amdhsa_user_sgpr_count 6
		.amdhsa_user_sgpr_private_segment_buffer 1
		.amdhsa_user_sgpr_dispatch_ptr 0
		.amdhsa_user_sgpr_queue_ptr 0
		.amdhsa_user_sgpr_kernarg_segment_ptr 1
		.amdhsa_user_sgpr_dispatch_id 0
		.amdhsa_user_sgpr_flat_scratch_init 0
		.amdhsa_user_sgpr_private_segment_size 0
		.amdhsa_uses_dynamic_stack 0
		.amdhsa_system_sgpr_private_segment_wavefront_offset 0
		.amdhsa_system_sgpr_workgroup_id_x 1
		.amdhsa_system_sgpr_workgroup_id_y 0
		.amdhsa_system_sgpr_workgroup_id_z 0
		.amdhsa_system_sgpr_workgroup_info 0
		.amdhsa_system_vgpr_workitem_id 0
		.amdhsa_next_free_vgpr 90
		.amdhsa_next_free_sgpr 19
		.amdhsa_reserve_vcc 1
		.amdhsa_reserve_flat_scratch 0
		.amdhsa_float_round_mode_32 0
		.amdhsa_float_round_mode_16_64 0
		.amdhsa_float_denorm_mode_32 3
		.amdhsa_float_denorm_mode_16_64 3
		.amdhsa_dx10_clamp 1
		.amdhsa_ieee_mode 1
		.amdhsa_fp16_overflow 0
		.amdhsa_exception_fp_ieee_invalid_op 0
		.amdhsa_exception_fp_denorm_src 0
		.amdhsa_exception_fp_ieee_div_zero 0
		.amdhsa_exception_fp_ieee_overflow 0
		.amdhsa_exception_fp_ieee_underflow 0
		.amdhsa_exception_fp_ieee_inexact 0
		.amdhsa_exception_int_div_zero 0
	.end_amdhsa_kernel
	.section	.text._ZN9rocsparseL18bsrxmvn_4x4_kernelILj128ELj16E21rocsparse_complex_numIdEllS2_S2_S2_EEvT3_20rocsparse_direction_NS_24const_host_device_scalarIT1_EES3_PKS3_PKT2_SC_S9_PKT4_PKT5_S7_PT6_21rocsparse_index_base_b,"axG",@progbits,_ZN9rocsparseL18bsrxmvn_4x4_kernelILj128ELj16E21rocsparse_complex_numIdEllS2_S2_S2_EEvT3_20rocsparse_direction_NS_24const_host_device_scalarIT1_EES3_PKS3_PKT2_SC_S9_PKT4_PKT5_S7_PT6_21rocsparse_index_base_b,comdat
.Lfunc_end57:
	.size	_ZN9rocsparseL18bsrxmvn_4x4_kernelILj128ELj16E21rocsparse_complex_numIdEllS2_S2_S2_EEvT3_20rocsparse_direction_NS_24const_host_device_scalarIT1_EES3_PKS3_PKT2_SC_S9_PKT4_PKT5_S7_PT6_21rocsparse_index_base_b, .Lfunc_end57-_ZN9rocsparseL18bsrxmvn_4x4_kernelILj128ELj16E21rocsparse_complex_numIdEllS2_S2_S2_EEvT3_20rocsparse_direction_NS_24const_host_device_scalarIT1_EES3_PKS3_PKT2_SC_S9_PKT4_PKT5_S7_PT6_21rocsparse_index_base_b
                                        ; -- End function
	.set _ZN9rocsparseL18bsrxmvn_4x4_kernelILj128ELj16E21rocsparse_complex_numIdEllS2_S2_S2_EEvT3_20rocsparse_direction_NS_24const_host_device_scalarIT1_EES3_PKS3_PKT2_SC_S9_PKT4_PKT5_S7_PT6_21rocsparse_index_base_b.num_vgpr, 90
	.set _ZN9rocsparseL18bsrxmvn_4x4_kernelILj128ELj16E21rocsparse_complex_numIdEllS2_S2_S2_EEvT3_20rocsparse_direction_NS_24const_host_device_scalarIT1_EES3_PKS3_PKT2_SC_S9_PKT4_PKT5_S7_PT6_21rocsparse_index_base_b.num_agpr, 0
	.set _ZN9rocsparseL18bsrxmvn_4x4_kernelILj128ELj16E21rocsparse_complex_numIdEllS2_S2_S2_EEvT3_20rocsparse_direction_NS_24const_host_device_scalarIT1_EES3_PKS3_PKT2_SC_S9_PKT4_PKT5_S7_PT6_21rocsparse_index_base_b.numbered_sgpr, 19
	.set _ZN9rocsparseL18bsrxmvn_4x4_kernelILj128ELj16E21rocsparse_complex_numIdEllS2_S2_S2_EEvT3_20rocsparse_direction_NS_24const_host_device_scalarIT1_EES3_PKS3_PKT2_SC_S9_PKT4_PKT5_S7_PT6_21rocsparse_index_base_b.num_named_barrier, 0
	.set _ZN9rocsparseL18bsrxmvn_4x4_kernelILj128ELj16E21rocsparse_complex_numIdEllS2_S2_S2_EEvT3_20rocsparse_direction_NS_24const_host_device_scalarIT1_EES3_PKS3_PKT2_SC_S9_PKT4_PKT5_S7_PT6_21rocsparse_index_base_b.private_seg_size, 0
	.set _ZN9rocsparseL18bsrxmvn_4x4_kernelILj128ELj16E21rocsparse_complex_numIdEllS2_S2_S2_EEvT3_20rocsparse_direction_NS_24const_host_device_scalarIT1_EES3_PKS3_PKT2_SC_S9_PKT4_PKT5_S7_PT6_21rocsparse_index_base_b.uses_vcc, 1
	.set _ZN9rocsparseL18bsrxmvn_4x4_kernelILj128ELj16E21rocsparse_complex_numIdEllS2_S2_S2_EEvT3_20rocsparse_direction_NS_24const_host_device_scalarIT1_EES3_PKS3_PKT2_SC_S9_PKT4_PKT5_S7_PT6_21rocsparse_index_base_b.uses_flat_scratch, 0
	.set _ZN9rocsparseL18bsrxmvn_4x4_kernelILj128ELj16E21rocsparse_complex_numIdEllS2_S2_S2_EEvT3_20rocsparse_direction_NS_24const_host_device_scalarIT1_EES3_PKS3_PKT2_SC_S9_PKT4_PKT5_S7_PT6_21rocsparse_index_base_b.has_dyn_sized_stack, 0
	.set _ZN9rocsparseL18bsrxmvn_4x4_kernelILj128ELj16E21rocsparse_complex_numIdEllS2_S2_S2_EEvT3_20rocsparse_direction_NS_24const_host_device_scalarIT1_EES3_PKS3_PKT2_SC_S9_PKT4_PKT5_S7_PT6_21rocsparse_index_base_b.has_recursion, 0
	.set _ZN9rocsparseL18bsrxmvn_4x4_kernelILj128ELj16E21rocsparse_complex_numIdEllS2_S2_S2_EEvT3_20rocsparse_direction_NS_24const_host_device_scalarIT1_EES3_PKS3_PKT2_SC_S9_PKT4_PKT5_S7_PT6_21rocsparse_index_base_b.has_indirect_call, 0
	.section	.AMDGPU.csdata,"",@progbits
; Kernel info:
; codeLenInByte = 10188
; TotalNumSgprs: 23
; NumVgprs: 90
; ScratchSize: 0
; MemoryBound: 1
; FloatMode: 240
; IeeeMode: 1
; LDSByteSize: 0 bytes/workgroup (compile time only)
; SGPRBlocks: 2
; VGPRBlocks: 22
; NumSGPRsForWavesPerEU: 23
; NumVGPRsForWavesPerEU: 90
; Occupancy: 2
; WaveLimiterHint : 1
; COMPUTE_PGM_RSRC2:SCRATCH_EN: 0
; COMPUTE_PGM_RSRC2:USER_SGPR: 6
; COMPUTE_PGM_RSRC2:TRAP_HANDLER: 0
; COMPUTE_PGM_RSRC2:TGID_X_EN: 1
; COMPUTE_PGM_RSRC2:TGID_Y_EN: 0
; COMPUTE_PGM_RSRC2:TGID_Z_EN: 0
; COMPUTE_PGM_RSRC2:TIDIG_COMP_CNT: 0
	.section	.text._ZN9rocsparseL18bsrxmvn_4x4_kernelILj128ELj32E21rocsparse_complex_numIdEllS2_S2_S2_EEvT3_20rocsparse_direction_NS_24const_host_device_scalarIT1_EES3_PKS3_PKT2_SC_S9_PKT4_PKT5_S7_PT6_21rocsparse_index_base_b,"axG",@progbits,_ZN9rocsparseL18bsrxmvn_4x4_kernelILj128ELj32E21rocsparse_complex_numIdEllS2_S2_S2_EEvT3_20rocsparse_direction_NS_24const_host_device_scalarIT1_EES3_PKS3_PKT2_SC_S9_PKT4_PKT5_S7_PT6_21rocsparse_index_base_b,comdat
	.globl	_ZN9rocsparseL18bsrxmvn_4x4_kernelILj128ELj32E21rocsparse_complex_numIdEllS2_S2_S2_EEvT3_20rocsparse_direction_NS_24const_host_device_scalarIT1_EES3_PKS3_PKT2_SC_S9_PKT4_PKT5_S7_PT6_21rocsparse_index_base_b ; -- Begin function _ZN9rocsparseL18bsrxmvn_4x4_kernelILj128ELj32E21rocsparse_complex_numIdEllS2_S2_S2_EEvT3_20rocsparse_direction_NS_24const_host_device_scalarIT1_EES3_PKS3_PKT2_SC_S9_PKT4_PKT5_S7_PT6_21rocsparse_index_base_b
	.p2align	8
	.type	_ZN9rocsparseL18bsrxmvn_4x4_kernelILj128ELj32E21rocsparse_complex_numIdEllS2_S2_S2_EEvT3_20rocsparse_direction_NS_24const_host_device_scalarIT1_EES3_PKS3_PKT2_SC_S9_PKT4_PKT5_S7_PT6_21rocsparse_index_base_b,@function
_ZN9rocsparseL18bsrxmvn_4x4_kernelILj128ELj32E21rocsparse_complex_numIdEllS2_S2_S2_EEvT3_20rocsparse_direction_NS_24const_host_device_scalarIT1_EES3_PKS3_PKT2_SC_S9_PKT4_PKT5_S7_PT6_21rocsparse_index_base_b: ; @_ZN9rocsparseL18bsrxmvn_4x4_kernelILj128ELj32E21rocsparse_complex_numIdEllS2_S2_S2_EEvT3_20rocsparse_direction_NS_24const_host_device_scalarIT1_EES3_PKS3_PKT2_SC_S9_PKT4_PKT5_S7_PT6_21rocsparse_index_base_b
; %bb.0:
	s_load_dwordx2 s[0:1], s[4:5], 0x10
	s_load_dwordx2 s[2:3], s[4:5], 0x70
	s_add_u32 s7, s4, 16
	s_addc_u32 s10, s5, 0
	s_add_u32 s11, s4, 0x58
	s_addc_u32 s12, s5, 0
	s_waitcnt lgkmcnt(0)
	s_bitcmp1_b32 s3, 0
	s_cselect_b32 s1, s10, s1
	s_cselect_b32 s0, s7, s0
	v_mov_b32_e32 v1, s0
	v_mov_b32_e32 v2, s1
	flat_load_dwordx4 v[5:8], v[1:2]
	s_load_dwordx2 s[8:9], s[4:5], 0x58
	s_waitcnt lgkmcnt(0)
	s_cselect_b32 s0, s12, s9
	s_cselect_b32 s1, s11, s8
	v_mov_b32_e32 v1, s1
	v_mov_b32_e32 v2, s0
	flat_load_dwordx4 v[1:4], v[1:2]
	s_waitcnt vmcnt(0)
	v_cmp_eq_f64_e32 vcc, 0, v[5:6]
	v_cmp_eq_f64_e64 s[0:1], 0, v[7:8]
	s_and_b64 s[10:11], vcc, s[0:1]
	s_mov_b64 s[0:1], -1
	s_and_saveexec_b64 s[8:9], s[10:11]
	s_cbranch_execz .LBB58_2
; %bb.1:
	s_waitcnt lgkmcnt(0)
	v_cmp_neq_f64_e32 vcc, 1.0, v[1:2]
	v_cmp_neq_f64_e64 s[0:1], 0, v[3:4]
	s_or_b64 s[0:1], vcc, s[0:1]
	s_orn2_b64 s[0:1], s[0:1], exec
.LBB58_2:
	s_or_b64 exec, exec, s[8:9]
	s_and_saveexec_b64 s[8:9], s[0:1]
	s_cbranch_execz .LBB58_8
; %bb.3:
	s_load_dwordx2 s[8:9], s[4:5], 0x28
	v_lshrrev_b32_e32 v9, 5, v0
	v_lshl_or_b32 v11, s6, 2, v9
	v_mov_b32_e32 v12, 0
	s_mov_b64 s[0:1], 0
	s_waitcnt lgkmcnt(0)
	s_cmp_lg_u64 s[8:9], 0
	s_cbranch_scc0 .LBB58_9
; %bb.4:
	s_load_dwordx2 s[6:7], s[4:5], 0x20
                                        ; implicit-def: $vgpr21_vgpr22
                                        ; implicit-def: $vgpr9_vgpr10
	s_waitcnt lgkmcnt(0)
	v_cmp_gt_i64_e32 vcc, s[6:7], v[11:12]
	s_and_saveexec_b64 s[6:7], vcc
	s_xor_b64 s[6:7], exec, s[6:7]
	s_cbranch_execz .LBB58_6
; %bb.5:
	v_lshlrev_b64 v[9:10], 3, v[11:12]
	v_mov_b32_e32 v13, s9
	v_add_co_u32_e32 v9, vcc, s8, v9
	v_addc_co_u32_e32 v10, vcc, v13, v10, vcc
	global_load_dwordx2 v[9:10], v[9:10], off
	s_mov_b32 s3, 0
	s_mov_b64 s[0:1], exec
	s_waitcnt vmcnt(0)
	v_subrev_co_u32_e32 v21, vcc, s2, v9
	v_subbrev_co_u32_e32 v22, vcc, 0, v10, vcc
	v_mov_b32_e32 v10, s3
	v_mov_b32_e32 v9, s2
.LBB58_6:
	s_or_b64 exec, exec, s[6:7]
.LBB58_7:
	s_and_b64 exec, exec, s[0:1]
	s_cbranch_execnz .LBB58_13
.LBB58_8:
	s_endpgm
.LBB58_9:
                                        ; implicit-def: $vgpr21_vgpr22
                                        ; implicit-def: $vgpr9_vgpr10
	s_cbranch_execz .LBB58_7
; %bb.10:
	s_load_dwordx2 s[6:7], s[4:5], 0x0
	s_waitcnt lgkmcnt(0)
	v_cmp_gt_i64_e32 vcc, s[6:7], v[11:12]
	s_and_saveexec_b64 s[6:7], vcc
; %bb.11:
	s_mov_b32 s3, 0
	s_or_b64 s[0:1], s[0:1], exec
; %bb.12:
	s_or_b64 exec, exec, s[6:7]
	v_mov_b32_e32 v10, s3
	v_mov_b32_e32 v22, v12
	;; [unrolled: 1-line block ×4, first 2 shown]
	s_and_b64 exec, exec, s[0:1]
	s_cbranch_execz .LBB58_8
.LBB58_13:
	s_load_dwordx8 s[8:15], s[4:5], 0x30
	v_lshlrev_b64 v[11:12], 3, v[21:22]
	v_and_b32_e32 v0, 31, v0
	s_waitcnt lgkmcnt(0)
	v_mov_b32_e32 v14, s9
	v_add_co_u32_e32 v13, vcc, s8, v11
	v_addc_co_u32_e32 v14, vcc, v14, v12, vcc
	global_load_dwordx2 v[17:18], v[13:14], off
	v_add_co_u32_e32 v13, vcc, 8, v13
	v_addc_co_u32_e32 v14, vcc, 0, v14, vcc
	v_mov_b32_e32 v15, s11
	v_add_co_u32_e32 v11, vcc, s10, v11
	s_cmp_eq_u64 s[10:11], 0
	v_addc_co_u32_e32 v12, vcc, v15, v12, vcc
	s_cselect_b64 vcc, -1, 0
	v_cndmask_b32_e32 v12, v12, v14, vcc
	v_cndmask_b32_e32 v11, v11, v13, vcc
	global_load_dwordx2 v[13:14], v[11:12], off
	s_load_dword s0, s[4:5], 0x8
	s_load_dwordx2 s[8:9], s[4:5], 0x50
	v_mov_b32_e32 v19, s15
	s_waitcnt lgkmcnt(0)
	s_cmp_eq_u32 s0, 1
	s_waitcnt vmcnt(1)
	v_sub_co_u32_e32 v11, vcc, v17, v9
	v_subb_co_u32_e32 v12, vcc, v18, v10, vcc
	v_add_co_u32_e32 v11, vcc, v11, v0
	v_addc_co_u32_e32 v12, vcc, 0, v12, vcc
	v_lshlrev_b64 v[15:16], 8, v[11:12]
	s_waitcnt vmcnt(0)
	v_sub_co_u32_e32 v13, vcc, v13, v9
	v_subb_co_u32_e32 v14, vcc, v14, v10, vcc
	v_cmp_lt_i64_e64 s[0:1], v[11:12], v[13:14]
	v_add_co_u32_e32 v15, vcc, s14, v15
	v_addc_co_u32_e32 v16, vcc, v19, v16, vcc
	s_cbranch_scc1 .LBB58_25
; %bb.14:
	v_mov_b32_e32 v39, 0
	v_mov_b32_e32 v41, 0
	v_mov_b32_e32 v31, 0
	v_mov_b32_e32 v29, 0
	v_mov_b32_e32 v33, 0
	v_mov_b32_e32 v27, 0
	v_mov_b32_e32 v37, 0
	v_mov_b32_e32 v35, 0
	v_mov_b32_e32 v40, 0
	v_mov_b32_e32 v42, 0
	v_mov_b32_e32 v32, 0
	v_mov_b32_e32 v30, 0
	v_mov_b32_e32 v34, 0
	v_mov_b32_e32 v28, 0
	v_mov_b32_e32 v38, 0
	v_mov_b32_e32 v36, 0
	s_and_saveexec_b64 s[10:11], s[0:1]
	s_cbranch_execz .LBB58_24
; %bb.15:
	v_or_b32_e32 v19, 32, v0
	v_sub_co_u32_e32 v19, vcc, v19, v9
	v_subb_co_u32_e32 v20, vcc, 0, v10, vcc
	v_add_co_u32_e32 v19, vcc, v19, v17
	v_addc_co_u32_e32 v20, vcc, v20, v18, vcc
	v_cmp_gt_i64_e32 vcc, v[19:20], v[13:14]
	v_not_b32_e32 v24, v17
	v_cndmask_b32_e32 v20, v14, v20, vcc
	v_cndmask_b32_e32 v19, v13, v19, vcc
	v_sub_co_u32_e32 v25, vcc, v9, v0
	v_subbrev_co_u32_e32 v26, vcc, 0, v10, vcc
	v_not_b32_e32 v23, v18
	v_add_co_u32_e32 v24, vcc, v25, v24
	v_addc_co_u32_e32 v23, vcc, v26, v23, vcc
	v_add_co_u32_e32 v25, vcc, v24, v19
	v_addc_co_u32_e32 v26, vcc, v23, v20, vcc
	v_and_b32_e32 v19, 0x60, v25
	v_mov_b32_e32 v20, 0
	s_mov_b64 s[2:3], 0x60
	v_cmp_ne_u64_e32 vcc, s[2:3], v[19:20]
	v_mov_b32_e32 v35, 0
	v_mov_b32_e32 v37, 0
	;; [unrolled: 1-line block ×20, first 2 shown]
	s_and_saveexec_b64 s[14:15], vcc
	s_cbranch_execz .LBB58_19
; %bb.16:
	v_lshrrev_b32_e32 v19, 5, v25
	v_add_u32_e32 v19, 1, v19
	v_and_b32_e32 v23, 3, v19
	v_lshlrev_b64 v[19:20], 3, v[11:12]
	v_mov_b32_e32 v24, s13
	v_add_co_u32_e32 v43, vcc, s12, v19
	v_addc_co_u32_e32 v44, vcc, v24, v20, vcc
	v_sub_co_u32_e32 v45, vcc, 0, v23
	v_mov_b32_e32 v39, 0
	v_mov_b32_e32 v20, v12
	;; [unrolled: 1-line block ×10, first 2 shown]
	s_mov_b64 s[16:17], 0
	v_subb_co_u32_e64 v46, s[2:3], 0, 0, vcc
	v_mov_b32_e32 v40, 0
	s_movk_i32 s18, 0x2000
	v_mov_b32_e32 v19, v11
	v_mov_b32_e32 v42, 0
	;; [unrolled: 1-line block ×9, first 2 shown]
.LBB58_17:                              ; =>This Inner Loop Header: Depth=1
	global_load_dwordx2 v[67:68], v[43:44], off
	global_load_dwordx4 v[47:50], v[23:24], off
	v_mov_b32_e32 v69, s9
	global_load_dwordx4 v[51:54], v[23:24], off offset:64
	global_load_dwordx4 v[55:58], v[23:24], off offset:128
	;; [unrolled: 1-line block ×4, first 2 shown]
	v_add_co_u32_e64 v45, s[6:7], 1, v45
	s_waitcnt vmcnt(5)
	v_sub_co_u32_e32 v67, vcc, v67, v9
	v_subb_co_u32_e32 v68, vcc, v68, v10, vcc
	v_lshlrev_b64 v[67:68], 6, v[67:68]
	v_add_co_u32_e32 v71, vcc, s8, v67
	v_addc_co_u32_e32 v72, vcc, v69, v68, vcc
	global_load_dwordx4 v[67:70], v[71:72], off
	s_waitcnt vmcnt(0)
	v_fma_f64 v[27:28], v[57:58], v[67:68], v[27:28]
	v_fma_f64 v[41:42], v[47:48], v[67:68], v[41:42]
	;; [unrolled: 1-line block ×9, first 2 shown]
	v_fma_f64 v[73:74], -v[49:50], v[69:70], v[41:42]
	v_fma_f64 v[75:76], v[47:48], v[69:70], v[39:40]
	global_load_dwordx4 v[39:42], v[23:24], off offset:80
	v_fma_f64 v[77:78], -v[53:54], v[69:70], v[37:38]
	v_fma_f64 v[79:80], v[51:52], v[69:70], v[35:36]
	global_load_dwordx4 v[35:38], v[23:24], off offset:144
	v_fma_f64 v[57:58], -v[57:58], v[69:70], v[33:34]
	global_load_dwordx4 v[47:50], v[23:24], off offset:208
	v_fma_f64 v[61:62], -v[61:62], v[69:70], v[27:28]
	v_fma_f64 v[59:60], v[59:60], v[69:70], v[29:30]
	global_load_dwordx4 v[27:30], v[23:24], off offset:32
	global_load_dwordx4 v[31:34], v[71:72], off offset:16
	s_waitcnt vmcnt(0)
	v_fma_f64 v[51:52], v[63:64], v[31:32], v[73:74]
	v_fma_f64 v[53:54], v[65:66], v[31:32], v[75:76]
	;; [unrolled: 1-line block ×8, first 2 shown]
	v_fma_f64 v[65:66], -v[65:66], v[33:34], v[51:52]
	v_fma_f64 v[63:64], v[63:64], v[33:34], v[53:54]
	global_load_dwordx4 v[51:54], v[23:24], off offset:96
	v_fma_f64 v[67:68], -v[41:42], v[33:34], v[67:68]
	v_fma_f64 v[69:70], v[39:40], v[33:34], v[69:70]
	global_load_dwordx4 v[39:42], v[23:24], off offset:160
	;; [unrolled: 3-line block ×4, first 2 shown]
	global_load_dwordx4 v[47:50], v[71:72], off offset:32
	s_waitcnt vmcnt(0)
	v_fma_f64 v[65:66], v[27:28], v[47:48], v[65:66]
	v_fma_f64 v[63:64], v[29:30], v[47:48], v[63:64]
	;; [unrolled: 1-line block ×8, first 2 shown]
	v_fma_f64 v[65:66], -v[29:30], v[49:50], v[65:66]
	v_fma_f64 v[63:64], v[27:28], v[49:50], v[63:64]
	global_load_dwordx4 v[27:30], v[23:24], off offset:112
	v_fma_f64 v[67:68], -v[53:54], v[49:50], v[67:68]
	v_fma_f64 v[69:70], v[51:52], v[49:50], v[69:70]
	global_load_dwordx4 v[51:54], v[23:24], off offset:176
	;; [unrolled: 3-line block ×4, first 2 shown]
	v_add_co_u32_e32 v23, vcc, s18, v23
	s_mov_b64 s[2:3], vcc
	v_add_co_u32_e32 v19, vcc, 32, v19
	v_addc_co_u32_e32 v20, vcc, 0, v20, vcc
	v_addc_co_u32_e64 v46, vcc, 0, v46, s[6:7]
	v_cmp_eq_u64_e64 s[6:7], 0, v[45:46]
	v_add_co_u32_e32 v43, vcc, 0x100, v43
	v_addc_co_u32_e64 v24, s[2:3], 0, v24, s[2:3]
	s_or_b64 s[16:17], s[6:7], s[16:17]
	v_addc_co_u32_e32 v44, vcc, 0, v44, vcc
	s_waitcnt vmcnt(0)
	v_fma_f64 v[59:60], v[31:32], v[47:48], v[65:66]
	v_fma_f64 v[61:62], v[33:34], v[47:48], v[63:64]
	;; [unrolled: 1-line block ×8, first 2 shown]
	v_fma_f64 v[41:42], -v[33:34], v[49:50], v[59:60]
	v_fma_f64 v[39:40], v[31:32], v[49:50], v[61:62]
	v_fma_f64 v[37:38], -v[29:30], v[49:50], v[63:64]
	v_fma_f64 v[35:36], v[27:28], v[49:50], v[65:66]
	;; [unrolled: 2-line block ×4, first 2 shown]
	s_andn2_b64 exec, exec, s[16:17]
	s_cbranch_execnz .LBB58_17
; %bb.18:
	s_or_b64 exec, exec, s[16:17]
.LBB58_19:
	s_or_b64 exec, exec, s[14:15]
	s_mov_b64 s[2:3], 0x5f
	v_cmp_lt_u64_e32 vcc, s[2:3], v[25:26]
	s_and_saveexec_b64 s[6:7], vcc
	s_cbranch_execz .LBB58_23
; %bb.20:
	v_lshlrev_b64 v[25:26], 3, v[19:20]
	v_mov_b32_e32 v43, s13
	v_add_co_u32_e32 v25, vcc, s12, v25
	v_addc_co_u32_e32 v26, vcc, v43, v26, vcc
	v_add_co_u32_e32 v25, vcc, 0x200, v25
	v_addc_co_u32_e32 v26, vcc, 0, v26, vcc
	s_mov_b64 s[14:15], 0
	v_mov_b32_e32 v45, s9
	s_movk_i32 s16, 0x2000
	s_movk_i32 s17, 0x4000
	;; [unrolled: 1-line block ×3, first 2 shown]
.LBB58_21:                              ; =>This Inner Loop Header: Depth=1
	global_load_dwordx2 v[43:44], v[25:26], off offset:-512
	global_load_dwordx4 v[46:49], v[23:24], off offset:48
	global_load_dwordx4 v[50:53], v[23:24], off offset:32
	;; [unrolled: 1-line block ×3, first 2 shown]
	global_load_dwordx4 v[58:61], v[23:24], off
	s_waitcnt vmcnt(4)
	v_sub_co_u32_e32 v43, vcc, v43, v9
	v_subb_co_u32_e32 v44, vcc, v44, v10, vcc
	v_lshlrev_b64 v[43:44], 6, v[43:44]
	v_add_co_u32_e32 v43, vcc, s8, v43
	v_addc_co_u32_e32 v44, vcc, v45, v44, vcc
	global_load_dwordx4 v[62:65], v[43:44], off offset:48
	global_load_dwordx4 v[66:69], v[43:44], off offset:32
	;; [unrolled: 1-line block ×3, first 2 shown]
	global_load_dwordx4 v[74:77], v[43:44], off
	s_waitcnt vmcnt(0)
	v_fma_f64 v[41:42], v[58:59], v[74:75], v[41:42]
	v_fma_f64 v[39:40], v[60:61], v[74:75], v[39:40]
	v_fma_f64 v[41:42], -v[60:61], v[76:77], v[41:42]
	v_fma_f64 v[39:40], v[58:59], v[76:77], v[39:40]
	v_fma_f64 v[41:42], v[54:55], v[70:71], v[41:42]
	v_fma_f64 v[39:40], v[56:57], v[70:71], v[39:40]
	v_fma_f64 v[41:42], -v[56:57], v[72:73], v[41:42]
	v_fma_f64 v[39:40], v[54:55], v[72:73], v[39:40]
	v_fma_f64 v[41:42], v[50:51], v[66:67], v[41:42]
	v_fma_f64 v[39:40], v[52:53], v[66:67], v[39:40]
	v_fma_f64 v[41:42], -v[52:53], v[68:69], v[41:42]
	v_fma_f64 v[39:40], v[50:51], v[68:69], v[39:40]
	v_fma_f64 v[41:42], v[46:47], v[62:63], v[41:42]
	v_fma_f64 v[39:40], v[48:49], v[62:63], v[39:40]
	v_fma_f64 v[78:79], -v[48:49], v[64:65], v[41:42]
	v_fma_f64 v[80:81], v[46:47], v[64:65], v[39:40]
	global_load_dwordx4 v[39:42], v[23:24], off offset:112
	global_load_dwordx4 v[46:49], v[23:24], off offset:96
	global_load_dwordx4 v[50:53], v[23:24], off offset:80
	global_load_dwordx4 v[54:57], v[23:24], off offset:64
	s_waitcnt vmcnt(0)
	v_fma_f64 v[37:38], v[54:55], v[74:75], v[37:38]
	v_fma_f64 v[35:36], v[56:57], v[74:75], v[35:36]
	v_fma_f64 v[37:38], -v[56:57], v[76:77], v[37:38]
	v_fma_f64 v[35:36], v[54:55], v[76:77], v[35:36]
	v_fma_f64 v[37:38], v[50:51], v[70:71], v[37:38]
	v_fma_f64 v[35:36], v[52:53], v[70:71], v[35:36]
	v_fma_f64 v[37:38], -v[52:53], v[72:73], v[37:38]
	v_fma_f64 v[35:36], v[50:51], v[72:73], v[35:36]
	v_fma_f64 v[37:38], v[46:47], v[66:67], v[37:38]
	v_fma_f64 v[35:36], v[48:49], v[66:67], v[35:36]
	v_fma_f64 v[37:38], -v[48:49], v[68:69], v[37:38]
	v_fma_f64 v[35:36], v[46:47], v[68:69], v[35:36]
	v_fma_f64 v[37:38], v[39:40], v[62:63], v[37:38]
	v_fma_f64 v[35:36], v[41:42], v[62:63], v[35:36]
	v_fma_f64 v[82:83], -v[41:42], v[64:65], v[37:38]
	v_fma_f64 v[84:85], v[39:40], v[64:65], v[35:36]
	global_load_dwordx4 v[35:38], v[23:24], off offset:176
	global_load_dwordx4 v[39:42], v[23:24], off offset:160
	global_load_dwordx4 v[46:49], v[23:24], off offset:144
	global_load_dwordx4 v[50:53], v[23:24], off offset:128
	;; [unrolled: 21-line block ×3, first 2 shown]
	s_waitcnt vmcnt(0)
	v_fma_f64 v[27:28], v[46:47], v[74:75], v[31:32]
	v_fma_f64 v[29:30], v[48:49], v[74:75], v[29:30]
	v_fma_f64 v[27:28], -v[48:49], v[76:77], v[27:28]
	v_fma_f64 v[29:30], v[46:47], v[76:77], v[29:30]
	v_fma_f64 v[27:28], v[41:42], v[70:71], v[27:28]
	v_fma_f64 v[29:30], v[43:44], v[70:71], v[29:30]
	v_fma_f64 v[27:28], -v[43:44], v[72:73], v[27:28]
	v_fma_f64 v[29:30], v[41:42], v[72:73], v[29:30]
	;; [unrolled: 4-line block ×3, first 2 shown]
	v_fma_f64 v[27:28], v[33:34], v[62:63], v[27:28]
	v_fma_f64 v[43:44], -v[35:36], v[64:65], v[27:28]
	v_fma_f64 v[27:28], v[35:36], v[62:63], v[29:30]
	v_fma_f64 v[62:63], v[33:34], v[64:65], v[27:28]
	global_load_dwordx2 v[27:28], v[25:26], off offset:-256
	v_add_co_u32_e32 v64, vcc, s16, v23
	v_addc_co_u32_e32 v65, vcc, 0, v24, vcc
	s_waitcnt vmcnt(0)
	v_sub_co_u32_e32 v46, vcc, v27, v9
	v_subb_co_u32_e32 v47, vcc, v28, v10, vcc
	v_lshlrev_b64 v[46:47], 6, v[46:47]
	global_load_dwordx4 v[27:30], v[64:65], off
	global_load_dwordx4 v[31:34], v[64:65], off offset:48
	global_load_dwordx4 v[35:38], v[64:65], off offset:32
	;; [unrolled: 1-line block ×3, first 2 shown]
	v_add_co_u32_e32 v66, vcc, s8, v46
	v_addc_co_u32_e32 v67, vcc, v45, v47, vcc
	global_load_dwordx4 v[46:49], v[66:67], off offset:48
	global_load_dwordx4 v[50:53], v[66:67], off offset:32
	;; [unrolled: 1-line block ×3, first 2 shown]
	global_load_dwordx4 v[58:61], v[66:67], off
	s_waitcnt vmcnt(0)
	v_fma_f64 v[66:67], v[27:28], v[58:59], v[78:79]
	v_fma_f64 v[66:67], -v[29:30], v[60:61], v[66:67]
	v_fma_f64 v[29:30], v[29:30], v[58:59], v[80:81]
	v_fma_f64 v[27:28], v[27:28], v[60:61], v[29:30]
	v_fma_f64 v[29:30], v[39:40], v[54:55], v[66:67]
	v_fma_f64 v[27:28], v[41:42], v[54:55], v[27:28]
	v_fma_f64 v[29:30], -v[41:42], v[56:57], v[29:30]
	v_fma_f64 v[27:28], v[39:40], v[56:57], v[27:28]
	v_fma_f64 v[29:30], v[35:36], v[50:51], v[29:30]
	;; [unrolled: 1-line block ×3, first 2 shown]
	v_fma_f64 v[29:30], -v[37:38], v[52:53], v[29:30]
	v_fma_f64 v[27:28], v[35:36], v[52:53], v[27:28]
	v_fma_f64 v[29:30], v[31:32], v[46:47], v[29:30]
	;; [unrolled: 1-line block ×3, first 2 shown]
	v_fma_f64 v[66:67], -v[33:34], v[48:49], v[29:30]
	v_fma_f64 v[68:69], v[31:32], v[48:49], v[27:28]
	global_load_dwordx4 v[27:30], v[64:65], off offset:112
	global_load_dwordx4 v[31:34], v[64:65], off offset:96
	global_load_dwordx4 v[35:38], v[64:65], off offset:80
	global_load_dwordx4 v[39:42], v[64:65], off offset:64
	s_waitcnt vmcnt(0)
	v_fma_f64 v[70:71], v[39:40], v[58:59], v[82:83]
	v_fma_f64 v[70:71], -v[41:42], v[60:61], v[70:71]
	v_fma_f64 v[41:42], v[41:42], v[58:59], v[84:85]
	v_fma_f64 v[39:40], v[39:40], v[60:61], v[41:42]
	v_fma_f64 v[41:42], v[35:36], v[54:55], v[70:71]
	v_fma_f64 v[41:42], -v[37:38], v[56:57], v[41:42]
	v_fma_f64 v[37:38], v[37:38], v[54:55], v[39:40]
	v_fma_f64 v[35:36], v[35:36], v[56:57], v[37:38]
	v_fma_f64 v[37:38], v[31:32], v[50:51], v[41:42]
	v_fma_f64 v[37:38], -v[33:34], v[52:53], v[37:38]
	v_fma_f64 v[33:34], v[33:34], v[50:51], v[35:36]
	v_fma_f64 v[31:32], v[31:32], v[52:53], v[33:34]
	v_fma_f64 v[33:34], v[27:28], v[46:47], v[37:38]
	v_fma_f64 v[70:71], -v[29:30], v[48:49], v[33:34]
	v_fma_f64 v[29:30], v[29:30], v[46:47], v[31:32]
	v_fma_f64 v[72:73], v[27:28], v[48:49], v[29:30]
	global_load_dwordx4 v[27:30], v[64:65], off offset:176
	global_load_dwordx4 v[31:34], v[64:65], off offset:160
	global_load_dwordx4 v[35:38], v[64:65], off offset:144
	global_load_dwordx4 v[39:42], v[64:65], off offset:128
	s_waitcnt vmcnt(0)
	v_fma_f64 v[74:75], v[39:40], v[58:59], v[86:87]
	v_fma_f64 v[74:75], -v[41:42], v[60:61], v[74:75]
	v_fma_f64 v[41:42], v[41:42], v[58:59], v[88:89]
	v_fma_f64 v[39:40], v[39:40], v[60:61], v[41:42]
	v_fma_f64 v[41:42], v[35:36], v[54:55], v[74:75]
	v_fma_f64 v[41:42], -v[37:38], v[56:57], v[41:42]
	v_fma_f64 v[37:38], v[37:38], v[54:55], v[39:40]
	v_fma_f64 v[35:36], v[35:36], v[56:57], v[37:38]
	v_fma_f64 v[37:38], v[31:32], v[50:51], v[41:42]
	v_fma_f64 v[37:38], -v[33:34], v[52:53], v[37:38]
	v_fma_f64 v[33:34], v[33:34], v[50:51], v[35:36]
	v_fma_f64 v[31:32], v[31:32], v[52:53], v[33:34]
	v_fma_f64 v[33:34], v[27:28], v[46:47], v[37:38]
	v_fma_f64 v[74:75], -v[29:30], v[48:49], v[33:34]
	v_fma_f64 v[29:30], v[29:30], v[46:47], v[31:32]
	;; [unrolled: 21-line block ×3, first 2 shown]
	v_fma_f64 v[78:79], v[27:28], v[48:49], v[29:30]
	global_load_dwordx2 v[27:28], v[25:26], off
	s_waitcnt vmcnt(0)
	v_sub_co_u32_e32 v46, vcc, v27, v9
	v_subb_co_u32_e32 v47, vcc, v28, v10, vcc
	v_add_co_u32_e32 v80, vcc, s17, v23
	v_lshlrev_b64 v[46:47], 6, v[46:47]
	v_addc_co_u32_e32 v81, vcc, 0, v24, vcc
	v_add_co_u32_e32 v62, vcc, s8, v46
	v_addc_co_u32_e32 v63, vcc, v45, v47, vcc
	global_load_dwordx4 v[27:30], v[80:81], off
	global_load_dwordx4 v[31:34], v[80:81], off offset:48
	global_load_dwordx4 v[35:38], v[80:81], off offset:32
	;; [unrolled: 1-line block ×6, first 2 shown]
	global_load_dwordx4 v[58:61], v[62:63], off
	s_waitcnt vmcnt(0)
	v_fma_f64 v[62:63], v[27:28], v[58:59], v[66:67]
	v_fma_f64 v[62:63], -v[29:30], v[60:61], v[62:63]
	v_fma_f64 v[29:30], v[29:30], v[58:59], v[68:69]
	v_fma_f64 v[27:28], v[27:28], v[60:61], v[29:30]
	v_fma_f64 v[29:30], v[39:40], v[54:55], v[62:63]
	v_fma_f64 v[27:28], v[41:42], v[54:55], v[27:28]
	v_fma_f64 v[29:30], -v[41:42], v[56:57], v[29:30]
	v_fma_f64 v[27:28], v[39:40], v[56:57], v[27:28]
	v_fma_f64 v[29:30], v[35:36], v[50:51], v[29:30]
	;; [unrolled: 1-line block ×3, first 2 shown]
	v_fma_f64 v[29:30], -v[37:38], v[52:53], v[29:30]
	v_fma_f64 v[27:28], v[35:36], v[52:53], v[27:28]
	v_fma_f64 v[29:30], v[31:32], v[46:47], v[29:30]
	;; [unrolled: 1-line block ×3, first 2 shown]
	v_fma_f64 v[39:40], -v[33:34], v[48:49], v[29:30]
	v_fma_f64 v[41:42], v[31:32], v[48:49], v[27:28]
	global_load_dwordx4 v[27:30], v[80:81], off offset:112
	global_load_dwordx4 v[31:34], v[80:81], off offset:96
	global_load_dwordx4 v[35:38], v[80:81], off offset:80
	global_load_dwordx4 v[62:65], v[80:81], off offset:64
	s_waitcnt vmcnt(0)
	v_fma_f64 v[66:67], v[62:63], v[58:59], v[70:71]
	v_fma_f64 v[66:67], -v[64:65], v[60:61], v[66:67]
	v_fma_f64 v[64:65], v[64:65], v[58:59], v[72:73]
	v_fma_f64 v[62:63], v[62:63], v[60:61], v[64:65]
	v_fma_f64 v[64:65], v[35:36], v[54:55], v[66:67]
	v_fma_f64 v[64:65], -v[37:38], v[56:57], v[64:65]
	v_fma_f64 v[37:38], v[37:38], v[54:55], v[62:63]
	v_fma_f64 v[35:36], v[35:36], v[56:57], v[37:38]
	;; [unrolled: 4-line block ×4, first 2 shown]
	global_load_dwordx4 v[29:32], v[80:81], off offset:176
	global_load_dwordx4 v[62:65], v[80:81], off offset:160
	;; [unrolled: 1-line block ×4, first 2 shown]
	s_waitcnt vmcnt(0)
	v_fma_f64 v[27:28], v[70:71], v[58:59], v[74:75]
	v_fma_f64 v[33:34], v[72:73], v[58:59], v[76:77]
	v_fma_f64 v[27:28], -v[72:73], v[60:61], v[27:28]
	v_fma_f64 v[33:34], v[70:71], v[60:61], v[33:34]
	v_fma_f64 v[27:28], v[66:67], v[54:55], v[27:28]
	v_fma_f64 v[33:34], v[68:69], v[54:55], v[33:34]
	v_fma_f64 v[27:28], -v[68:69], v[56:57], v[27:28]
	v_fma_f64 v[33:34], v[66:67], v[56:57], v[33:34]
	;; [unrolled: 4-line block ×3, first 2 shown]
	v_fma_f64 v[27:28], v[29:30], v[46:47], v[27:28]
	v_fma_f64 v[27:28], -v[31:32], v[48:49], v[27:28]
	v_fma_f64 v[31:32], v[31:32], v[46:47], v[33:34]
	v_fma_f64 v[33:34], v[29:30], v[48:49], v[31:32]
	global_load_dwordx4 v[62:65], v[80:81], off offset:240
	global_load_dwordx4 v[29:32], v[80:81], off offset:224
	;; [unrolled: 1-line block ×4, first 2 shown]
	s_waitcnt vmcnt(0)
	v_fma_f64 v[43:44], v[70:71], v[58:59], v[43:44]
	v_fma_f64 v[58:59], v[72:73], v[58:59], v[78:79]
	v_fma_f64 v[43:44], -v[72:73], v[60:61], v[43:44]
	v_fma_f64 v[58:59], v[70:71], v[60:61], v[58:59]
	v_fma_f64 v[43:44], v[66:67], v[54:55], v[43:44]
	;; [unrolled: 1-line block ×3, first 2 shown]
	v_fma_f64 v[43:44], -v[68:69], v[56:57], v[43:44]
	v_fma_f64 v[54:55], v[66:67], v[56:57], v[54:55]
	v_fma_f64 v[43:44], v[29:30], v[50:51], v[43:44]
	v_fma_f64 v[43:44], -v[31:32], v[52:53], v[43:44]
	v_fma_f64 v[31:32], v[31:32], v[50:51], v[54:55]
	v_fma_f64 v[29:30], v[29:30], v[52:53], v[31:32]
	;; [unrolled: 1-line block ×3, first 2 shown]
	global_load_dwordx2 v[43:44], v[25:26], off offset:256
	v_fma_f64 v[29:30], v[64:65], v[46:47], v[29:30]
	v_fma_f64 v[31:32], -v[64:65], v[48:49], v[31:32]
	v_fma_f64 v[29:30], v[62:63], v[48:49], v[29:30]
	s_waitcnt vmcnt(0)
	v_sub_co_u32_e32 v62, vcc, v43, v9
	v_subb_co_u32_e32 v63, vcc, v44, v10, vcc
	v_add_co_u32_e32 v43, vcc, s18, v23
	v_lshlrev_b64 v[62:63], 6, v[62:63]
	v_addc_co_u32_e32 v44, vcc, 0, v24, vcc
	v_add_co_u32_e32 v78, vcc, s8, v62
	v_addc_co_u32_e32 v79, vcc, v45, v63, vcc
	global_load_dwordx4 v[46:49], v[43:44], off
	global_load_dwordx4 v[50:53], v[43:44], off offset:48
	global_load_dwordx4 v[54:57], v[43:44], off offset:32
	;; [unrolled: 1-line block ×6, first 2 shown]
	global_load_dwordx4 v[74:77], v[78:79], off
	v_add_co_u32_e32 v19, vcc, 0x80, v19
	v_addc_co_u32_e32 v20, vcc, 0, v20, vcc
	v_add_co_u32_e32 v25, vcc, 0x400, v25
	v_addc_co_u32_e32 v26, vcc, 0, v26, vcc
	v_cmp_ge_i64_e64 s[2:3], v[19:20], v[13:14]
	v_add_co_u32_e32 v23, vcc, 0x8000, v23
	v_addc_co_u32_e32 v24, vcc, 0, v24, vcc
	s_or_b64 s[14:15], s[2:3], s[14:15]
	s_waitcnt vmcnt(0)
	v_fma_f64 v[39:40], v[46:47], v[74:75], v[39:40]
	v_fma_f64 v[41:42], v[48:49], v[74:75], v[41:42]
	v_fma_f64 v[39:40], -v[48:49], v[76:77], v[39:40]
	v_fma_f64 v[41:42], v[46:47], v[76:77], v[41:42]
	v_fma_f64 v[39:40], v[58:59], v[70:71], v[39:40]
	v_fma_f64 v[41:42], v[60:61], v[70:71], v[41:42]
	v_fma_f64 v[39:40], -v[60:61], v[72:73], v[39:40]
	v_fma_f64 v[41:42], v[58:59], v[72:73], v[41:42]
	v_fma_f64 v[39:40], v[54:55], v[66:67], v[39:40]
	v_fma_f64 v[41:42], v[56:57], v[66:67], v[41:42]
	v_fma_f64 v[39:40], -v[56:57], v[68:69], v[39:40]
	v_fma_f64 v[46:47], v[54:55], v[68:69], v[41:42]
	v_fma_f64 v[39:40], v[50:51], v[62:63], v[39:40]
	v_fma_f64 v[41:42], -v[52:53], v[64:65], v[39:40]
	v_fma_f64 v[39:40], v[52:53], v[62:63], v[46:47]
	v_fma_f64 v[39:40], v[50:51], v[64:65], v[39:40]
	global_load_dwordx4 v[46:49], v[43:44], off offset:112
	global_load_dwordx4 v[50:53], v[43:44], off offset:96
	global_load_dwordx4 v[54:57], v[43:44], off offset:80
	global_load_dwordx4 v[58:61], v[43:44], off offset:64
	s_waitcnt vmcnt(0)
	v_fma_f64 v[35:36], v[58:59], v[74:75], v[35:36]
	v_fma_f64 v[37:38], v[60:61], v[74:75], v[37:38]
	v_fma_f64 v[35:36], -v[60:61], v[76:77], v[35:36]
	v_fma_f64 v[37:38], v[58:59], v[76:77], v[37:38]
	v_fma_f64 v[35:36], v[54:55], v[70:71], v[35:36]
	v_fma_f64 v[37:38], v[56:57], v[70:71], v[37:38]
	v_fma_f64 v[35:36], -v[56:57], v[72:73], v[35:36]
	v_fma_f64 v[37:38], v[54:55], v[72:73], v[37:38]
	v_fma_f64 v[35:36], v[50:51], v[66:67], v[35:36]
	v_fma_f64 v[37:38], v[52:53], v[66:67], v[37:38]
	v_fma_f64 v[35:36], -v[52:53], v[68:69], v[35:36]
	v_fma_f64 v[50:51], v[50:51], v[68:69], v[37:38]
	v_fma_f64 v[35:36], v[46:47], v[62:63], v[35:36]
	v_fma_f64 v[37:38], -v[48:49], v[64:65], v[35:36]
	v_fma_f64 v[35:36], v[48:49], v[62:63], v[50:51]
	v_fma_f64 v[35:36], v[46:47], v[64:65], v[35:36]
	global_load_dwordx4 v[46:49], v[43:44], off offset:176
	global_load_dwordx4 v[50:53], v[43:44], off offset:160
	global_load_dwordx4 v[54:57], v[43:44], off offset:144
	global_load_dwordx4 v[58:61], v[43:44], off offset:128
	;; [unrolled: 21-line block ×3, first 2 shown]
	s_waitcnt vmcnt(0)
	v_fma_f64 v[31:32], v[58:59], v[74:75], v[31:32]
	v_fma_f64 v[29:30], v[60:61], v[74:75], v[29:30]
	v_fma_f64 v[31:32], -v[60:61], v[76:77], v[31:32]
	v_fma_f64 v[29:30], v[58:59], v[76:77], v[29:30]
	v_fma_f64 v[31:32], v[54:55], v[70:71], v[31:32]
	v_fma_f64 v[29:30], v[56:57], v[70:71], v[29:30]
	v_fma_f64 v[31:32], -v[56:57], v[72:73], v[31:32]
	v_fma_f64 v[29:30], v[54:55], v[72:73], v[29:30]
	;; [unrolled: 4-line block ×4, first 2 shown]
	s_andn2_b64 exec, exec, s[14:15]
	s_cbranch_execnz .LBB58_21
; %bb.22:
	s_or_b64 exec, exec, s[14:15]
.LBB58_23:
	s_or_b64 exec, exec, s[6:7]
.LBB58_24:
	s_or_b64 exec, exec, s[10:11]
	s_cbranch_execz .LBB58_26
	s_branch .LBB58_37
.LBB58_25:
                                        ; implicit-def: $vgpr39_vgpr40
                                        ; implicit-def: $vgpr41_vgpr42
                                        ; implicit-def: $vgpr31_vgpr32
                                        ; implicit-def: $vgpr29_vgpr30
                                        ; implicit-def: $vgpr33_vgpr34
                                        ; implicit-def: $vgpr27_vgpr28
                                        ; implicit-def: $vgpr37_vgpr38
                                        ; implicit-def: $vgpr35_vgpr36
.LBB58_26:
	v_mov_b32_e32 v39, 0
	v_mov_b32_e32 v41, 0
	;; [unrolled: 1-line block ×16, first 2 shown]
	s_and_saveexec_b64 s[2:3], s[0:1]
	s_cbranch_execz .LBB58_36
; %bb.27:
	v_or_b32_e32 v19, 32, v0
	v_sub_co_u32_e32 v19, vcc, v19, v9
	v_subb_co_u32_e32 v20, vcc, 0, v10, vcc
	v_add_co_u32_e32 v19, vcc, v19, v17
	v_addc_co_u32_e32 v20, vcc, v20, v18, vcc
	v_cmp_gt_i64_e32 vcc, v[19:20], v[13:14]
	v_not_b32_e32 v17, v17
	v_cndmask_b32_e32 v20, v14, v20, vcc
	v_cndmask_b32_e32 v19, v13, v19, vcc
	v_sub_co_u32_e32 v23, vcc, v9, v0
	v_subbrev_co_u32_e32 v24, vcc, 0, v10, vcc
	v_not_b32_e32 v18, v18
	v_add_co_u32_e32 v17, vcc, v23, v17
	v_addc_co_u32_e32 v18, vcc, v24, v18, vcc
	v_add_co_u32_e32 v17, vcc, v17, v19
	v_addc_co_u32_e32 v18, vcc, v18, v20, vcc
	v_and_b32_e32 v19, 0x60, v17
	v_mov_b32_e32 v20, 0
	s_mov_b64 s[0:1], 0x60
	v_cmp_ne_u64_e32 vcc, s[0:1], v[19:20]
	v_mov_b32_e32 v35, 0
	v_mov_b32_e32 v37, 0
	;; [unrolled: 1-line block ×16, first 2 shown]
	s_and_saveexec_b64 s[0:1], vcc
	s_cbranch_execz .LBB58_31
; %bb.28:
	v_lshrrev_b32_e32 v19, 5, v17
	v_add_u32_e32 v19, 1, v19
	v_and_b32_e32 v23, 3, v19
	v_lshlrev_b64 v[19:20], 3, v[11:12]
	v_mov_b32_e32 v24, s13
	v_add_co_u32_e32 v19, vcc, s12, v19
	v_addc_co_u32_e32 v20, vcc, v24, v20, vcc
	v_sub_co_u32_e32 v23, vcc, 0, v23
	v_subb_co_u32_e64 v24, s[10:11], 0, 0, vcc
	v_mov_b32_e32 v39, 0
	v_mov_b32_e32 v41, 0
	;; [unrolled: 1-line block ×8, first 2 shown]
	s_mov_b64 s[6:7], 0
	v_mov_b32_e32 v40, 0
	v_mov_b32_e32 v42, 0
	;; [unrolled: 1-line block ×8, first 2 shown]
	s_movk_i32 s10, 0x2000
.LBB58_29:                              ; =>This Inner Loop Header: Depth=1
	global_load_dwordx2 v[25:26], v[19:20], off
	v_mov_b32_e32 v59, s9
	global_load_dwordx4 v[43:46], v[15:16], off offset:48
	global_load_dwordx4 v[47:50], v[15:16], off offset:32
	;; [unrolled: 1-line block ×3, first 2 shown]
	global_load_dwordx4 v[55:58], v[15:16], off
	s_waitcnt vmcnt(4)
	v_sub_co_u32_e32 v25, vcc, v25, v9
	v_subb_co_u32_e32 v26, vcc, v26, v10, vcc
	v_lshlrev_b64 v[25:26], 6, v[25:26]
	v_add_co_u32_e32 v25, vcc, s8, v25
	v_addc_co_u32_e32 v26, vcc, v59, v26, vcc
	global_load_dwordx4 v[59:62], v[25:26], off offset:48
	global_load_dwordx4 v[63:66], v[25:26], off offset:32
	;; [unrolled: 1-line block ×3, first 2 shown]
	global_load_dwordx4 v[71:74], v[25:26], off
	s_waitcnt vmcnt(0)
	v_fma_f64 v[25:26], v[55:56], v[71:72], v[41:42]
	v_fma_f64 v[41:42], -v[57:58], v[73:74], v[25:26]
	v_fma_f64 v[25:26], v[57:58], v[71:72], v[39:40]
	v_fma_f64 v[55:56], v[55:56], v[73:74], v[25:26]
	v_fma_f64 v[25:26], v[51:52], v[71:72], v[37:38]
	v_fma_f64 v[57:58], -v[53:54], v[73:74], v[25:26]
	v_fma_f64 v[25:26], v[53:54], v[71:72], v[35:36]
	v_fma_f64 v[51:52], v[51:52], v[73:74], v[25:26]
	v_fma_f64 v[25:26], v[47:48], v[71:72], v[33:34]
	v_fma_f64 v[53:54], -v[49:50], v[73:74], v[25:26]
	v_fma_f64 v[25:26], v[49:50], v[71:72], v[27:28]
	v_fma_f64 v[47:48], v[47:48], v[73:74], v[25:26]
	v_fma_f64 v[25:26], v[43:44], v[71:72], v[31:32]
	v_fma_f64 v[49:50], -v[45:46], v[73:74], v[25:26]
	v_fma_f64 v[25:26], v[45:46], v[71:72], v[29:30]
	v_fma_f64 v[43:44], v[43:44], v[73:74], v[25:26]
	global_load_dwordx4 v[25:28], v[15:16], off offset:112
	global_load_dwordx4 v[29:32], v[15:16], off offset:96
	global_load_dwordx4 v[33:36], v[15:16], off offset:80
	global_load_dwordx4 v[37:40], v[15:16], off offset:64
	s_waitcnt vmcnt(0)
	v_fma_f64 v[41:42], v[37:38], v[67:68], v[41:42]
	v_fma_f64 v[41:42], -v[39:40], v[69:70], v[41:42]
	v_fma_f64 v[39:40], v[39:40], v[67:68], v[55:56]
	v_fma_f64 v[45:46], v[37:38], v[69:70], v[39:40]
	v_fma_f64 v[37:38], v[33:34], v[67:68], v[57:58]
	v_fma_f64 v[55:56], -v[35:36], v[69:70], v[37:38]
	v_fma_f64 v[35:36], v[35:36], v[67:68], v[51:52]
	v_fma_f64 v[51:52], v[33:34], v[69:70], v[35:36]
	v_fma_f64 v[33:34], v[29:30], v[67:68], v[53:54]
	v_fma_f64 v[53:54], -v[31:32], v[69:70], v[33:34]
	v_fma_f64 v[31:32], v[31:32], v[67:68], v[47:48]
	v_fma_f64 v[47:48], v[29:30], v[69:70], v[31:32]
	v_fma_f64 v[29:30], v[25:26], v[67:68], v[49:50]
	v_fma_f64 v[49:50], -v[27:28], v[69:70], v[29:30]
	v_fma_f64 v[27:28], v[27:28], v[67:68], v[43:44]
	v_fma_f64 v[43:44], v[25:26], v[69:70], v[27:28]
	global_load_dwordx4 v[25:28], v[15:16], off offset:176
	global_load_dwordx4 v[29:32], v[15:16], off offset:160
	global_load_dwordx4 v[33:36], v[15:16], off offset:144
	global_load_dwordx4 v[37:40], v[15:16], off offset:128
	;; [unrolled: 21-line block ×3, first 2 shown]
	v_add_co_u32_e32 v15, vcc, s10, v15
	v_addc_co_u32_e32 v16, vcc, 0, v16, vcc
	v_add_co_u32_e32 v11, vcc, 32, v11
	v_addc_co_u32_e32 v12, vcc, 0, v12, vcc
	;; [unrolled: 2-line block ×4, first 2 shown]
	v_cmp_eq_u64_e32 vcc, 0, v[23:24]
	s_or_b64 s[6:7], vcc, s[6:7]
	s_waitcnt vmcnt(0)
	v_fma_f64 v[39:40], v[33:34], v[59:60], v[41:42]
	v_fma_f64 v[41:42], -v[35:36], v[61:62], v[39:40]
	v_fma_f64 v[35:36], v[35:36], v[59:60], v[37:38]
	v_fma_f64 v[39:40], v[33:34], v[61:62], v[35:36]
	v_fma_f64 v[33:34], v[29:30], v[59:60], v[55:56]
	v_fma_f64 v[37:38], -v[31:32], v[61:62], v[33:34]
	v_fma_f64 v[31:32], v[31:32], v[59:60], v[51:52]
	v_fma_f64 v[35:36], v[29:30], v[61:62], v[31:32]
	;; [unrolled: 4-line block ×4, first 2 shown]
	s_andn2_b64 exec, exec, s[6:7]
	s_cbranch_execnz .LBB58_29
; %bb.30:
	s_or_b64 exec, exec, s[6:7]
.LBB58_31:
	s_or_b64 exec, exec, s[0:1]
	s_mov_b64 s[0:1], 0x5f
	v_cmp_lt_u64_e32 vcc, s[0:1], v[17:18]
	s_and_saveexec_b64 s[6:7], vcc
	s_cbranch_execz .LBB58_35
; %bb.32:
	v_lshlrev_b64 v[17:18], 3, v[11:12]
	v_mov_b32_e32 v19, s13
	v_add_co_u32_e32 v17, vcc, s12, v17
	v_addc_co_u32_e32 v18, vcc, v19, v18, vcc
	v_add_co_u32_e32 v17, vcc, 0x200, v17
	v_addc_co_u32_e32 v18, vcc, 0, v18, vcc
	s_mov_b64 s[10:11], 0
	v_mov_b32_e32 v43, s9
	s_movk_i32 s9, 0x2000
	s_movk_i32 s12, 0x4000
	;; [unrolled: 1-line block ×3, first 2 shown]
.LBB58_33:                              ; =>This Inner Loop Header: Depth=1
	global_load_dwordx2 v[19:20], v[17:18], off offset:-512
	global_load_dwordx4 v[23:26], v[15:16], off offset:48
	global_load_dwordx4 v[44:47], v[15:16], off offset:32
	;; [unrolled: 1-line block ×3, first 2 shown]
	global_load_dwordx4 v[52:55], v[15:16], off
	s_waitcnt vmcnt(4)
	v_sub_co_u32_e32 v19, vcc, v19, v9
	v_subb_co_u32_e32 v20, vcc, v20, v10, vcc
	v_lshlrev_b64 v[19:20], 6, v[19:20]
	v_add_co_u32_e32 v19, vcc, s8, v19
	v_addc_co_u32_e32 v20, vcc, v43, v20, vcc
	global_load_dwordx4 v[56:59], v[19:20], off offset:48
	global_load_dwordx4 v[60:63], v[19:20], off offset:32
	;; [unrolled: 1-line block ×3, first 2 shown]
	global_load_dwordx4 v[68:71], v[19:20], off
	s_waitcnt vmcnt(0)
	v_fma_f64 v[27:28], v[46:47], v[68:69], v[27:28]
	v_fma_f64 v[37:38], v[48:49], v[68:69], v[37:38]
	v_fma_f64 v[33:34], v[44:45], v[68:69], v[33:34]
	v_fma_f64 v[19:20], v[52:53], v[68:69], v[41:42]
	v_fma_f64 v[39:40], v[54:55], v[68:69], v[39:40]
	v_fma_f64 v[35:36], v[50:51], v[68:69], v[35:36]
	v_fma_f64 v[44:45], v[44:45], v[70:71], v[27:28]
	v_fma_f64 v[27:28], v[23:24], v[68:69], v[31:32]
	v_fma_f64 v[41:42], -v[50:51], v[70:71], v[37:38]
	v_fma_f64 v[50:51], -v[46:47], v[70:71], v[33:34]
	v_fma_f64 v[39:40], v[52:53], v[70:71], v[39:40]
	v_fma_f64 v[48:49], v[48:49], v[70:71], v[35:36]
	v_fma_f64 v[19:20], -v[54:55], v[70:71], v[19:20]
	v_fma_f64 v[46:47], -v[25:26], v[70:71], v[27:28]
	v_fma_f64 v[25:26], v[25:26], v[68:69], v[29:30]
	v_fma_f64 v[52:53], v[23:24], v[70:71], v[25:26]
	global_load_dwordx4 v[23:26], v[15:16], off offset:112
	global_load_dwordx4 v[27:30], v[15:16], off offset:96
	global_load_dwordx4 v[31:34], v[15:16], off offset:80
	global_load_dwordx4 v[35:38], v[15:16], off offset:64
	s_waitcnt vmcnt(0)
	v_fma_f64 v[19:20], v[35:36], v[64:65], v[19:20]
	v_fma_f64 v[19:20], -v[37:38], v[66:67], v[19:20]
	v_fma_f64 v[37:38], v[37:38], v[64:65], v[39:40]
	v_fma_f64 v[39:40], v[35:36], v[66:67], v[37:38]
	v_fma_f64 v[35:36], v[31:32], v[64:65], v[41:42]
	v_fma_f64 v[41:42], -v[33:34], v[66:67], v[35:36]
	v_fma_f64 v[33:34], v[33:34], v[64:65], v[48:49]
	v_fma_f64 v[48:49], v[31:32], v[66:67], v[33:34]
	v_fma_f64 v[31:32], v[27:28], v[64:65], v[50:51]
	v_fma_f64 v[50:51], -v[29:30], v[66:67], v[31:32]
	v_fma_f64 v[29:30], v[29:30], v[64:65], v[44:45]
	v_fma_f64 v[44:45], v[27:28], v[66:67], v[29:30]
	v_fma_f64 v[27:28], v[23:24], v[64:65], v[46:47]
	v_fma_f64 v[46:47], -v[25:26], v[66:67], v[27:28]
	v_fma_f64 v[25:26], v[25:26], v[64:65], v[52:53]
	v_fma_f64 v[52:53], v[23:24], v[66:67], v[25:26]
	global_load_dwordx4 v[23:26], v[15:16], off offset:176
	global_load_dwordx4 v[27:30], v[15:16], off offset:160
	global_load_dwordx4 v[31:34], v[15:16], off offset:144
	global_load_dwordx4 v[35:38], v[15:16], off offset:128
	s_waitcnt vmcnt(0)
	v_fma_f64 v[19:20], v[35:36], v[60:61], v[19:20]
	v_fma_f64 v[19:20], -v[37:38], v[62:63], v[19:20]
	v_fma_f64 v[37:38], v[37:38], v[60:61], v[39:40]
	v_fma_f64 v[39:40], v[35:36], v[62:63], v[37:38]
	v_fma_f64 v[35:36], v[31:32], v[60:61], v[41:42]
	v_fma_f64 v[41:42], -v[33:34], v[62:63], v[35:36]
	v_fma_f64 v[33:34], v[33:34], v[60:61], v[48:49]
	v_fma_f64 v[48:49], v[31:32], v[62:63], v[33:34]
	v_fma_f64 v[31:32], v[27:28], v[60:61], v[50:51]
	v_fma_f64 v[50:51], -v[29:30], v[62:63], v[31:32]
	v_fma_f64 v[29:30], v[29:30], v[60:61], v[44:45]
	v_fma_f64 v[44:45], v[27:28], v[62:63], v[29:30]
	v_fma_f64 v[27:28], v[23:24], v[60:61], v[46:47]
	;; [unrolled: 21-line block ×3, first 2 shown]
	v_fma_f64 v[70:71], -v[25:26], v[58:59], v[27:28]
	v_fma_f64 v[25:26], v[25:26], v[56:57], v[52:53]
	v_fma_f64 v[56:57], v[23:24], v[58:59], v[25:26]
	global_load_dwordx2 v[23:24], v[17:18], off offset:-256
	v_add_co_u32_e32 v58, vcc, s9, v15
	v_addc_co_u32_e32 v59, vcc, 0, v16, vcc
	s_waitcnt vmcnt(0)
	v_sub_co_u32_e32 v39, vcc, v23, v9
	v_subb_co_u32_e32 v40, vcc, v24, v10, vcc
	v_lshlrev_b64 v[39:40], 6, v[39:40]
	global_load_dwordx4 v[23:26], v[58:59], off
	global_load_dwordx4 v[27:30], v[58:59], off offset:48
	global_load_dwordx4 v[31:34], v[58:59], off offset:32
	;; [unrolled: 1-line block ×3, first 2 shown]
	v_add_co_u32_e32 v72, vcc, s8, v39
	v_addc_co_u32_e32 v73, vcc, v43, v40, vcc
	global_load_dwordx4 v[39:42], v[72:73], off offset:48
	global_load_dwordx4 v[44:47], v[72:73], off offset:32
	global_load_dwordx4 v[48:51], v[72:73], off offset:16
	global_load_dwordx4 v[52:55], v[72:73], off
	s_waitcnt vmcnt(0)
	v_fma_f64 v[19:20], v[23:24], v[52:53], v[19:20]
	v_fma_f64 v[19:20], -v[25:26], v[54:55], v[19:20]
	v_fma_f64 v[25:26], v[25:26], v[52:53], v[60:61]
	v_fma_f64 v[60:61], v[23:24], v[54:55], v[25:26]
	v_fma_f64 v[23:24], v[35:36], v[52:53], v[62:63]
	v_fma_f64 v[62:63], -v[37:38], v[54:55], v[23:24]
	v_fma_f64 v[23:24], v[37:38], v[52:53], v[64:65]
	v_fma_f64 v[64:65], v[35:36], v[54:55], v[23:24]
	v_fma_f64 v[23:24], v[31:32], v[52:53], v[66:67]
	v_fma_f64 v[66:67], -v[33:34], v[54:55], v[23:24]
	v_fma_f64 v[23:24], v[33:34], v[52:53], v[68:69]
	v_fma_f64 v[68:69], v[31:32], v[54:55], v[23:24]
	v_fma_f64 v[23:24], v[27:28], v[52:53], v[70:71]
	v_fma_f64 v[70:71], -v[29:30], v[54:55], v[23:24]
	v_fma_f64 v[23:24], v[29:30], v[52:53], v[56:57]
	v_fma_f64 v[52:53], v[27:28], v[54:55], v[23:24]
	global_load_dwordx4 v[23:26], v[58:59], off offset:112
	global_load_dwordx4 v[27:30], v[58:59], off offset:96
	global_load_dwordx4 v[31:34], v[58:59], off offset:80
	global_load_dwordx4 v[35:38], v[58:59], off offset:64
	s_waitcnt vmcnt(0)
	v_fma_f64 v[19:20], v[35:36], v[48:49], v[19:20]
	v_fma_f64 v[19:20], -v[37:38], v[50:51], v[19:20]
	v_fma_f64 v[37:38], v[37:38], v[48:49], v[60:61]
	v_fma_f64 v[54:55], v[35:36], v[50:51], v[37:38]
	v_fma_f64 v[35:36], v[31:32], v[48:49], v[62:63]
	v_fma_f64 v[56:57], -v[33:34], v[50:51], v[35:36]
	v_fma_f64 v[33:34], v[33:34], v[48:49], v[64:65]
	v_fma_f64 v[60:61], v[31:32], v[50:51], v[33:34]
	v_fma_f64 v[31:32], v[27:28], v[48:49], v[66:67]
	v_fma_f64 v[62:63], -v[29:30], v[50:51], v[31:32]
	v_fma_f64 v[29:30], v[29:30], v[48:49], v[68:69]
	v_fma_f64 v[64:65], v[27:28], v[50:51], v[29:30]
	v_fma_f64 v[27:28], v[23:24], v[48:49], v[70:71]
	v_fma_f64 v[66:67], -v[25:26], v[50:51], v[27:28]
	v_fma_f64 v[25:26], v[25:26], v[48:49], v[52:53]
	v_fma_f64 v[48:49], v[23:24], v[50:51], v[25:26]
	global_load_dwordx4 v[23:26], v[58:59], off offset:176
	global_load_dwordx4 v[27:30], v[58:59], off offset:160
	global_load_dwordx4 v[31:34], v[58:59], off offset:144
	global_load_dwordx4 v[35:38], v[58:59], off offset:128
	;; [unrolled: 21-line block ×3, first 2 shown]
	s_waitcnt vmcnt(0)
	v_fma_f64 v[19:20], v[35:36], v[39:40], v[19:20]
	v_fma_f64 v[19:20], -v[37:38], v[41:42], v[19:20]
	v_fma_f64 v[37:38], v[37:38], v[39:40], v[50:51]
	v_fma_f64 v[58:59], v[35:36], v[41:42], v[37:38]
	v_fma_f64 v[35:36], v[31:32], v[39:40], v[52:53]
	v_fma_f64 v[64:65], -v[33:34], v[41:42], v[35:36]
	v_fma_f64 v[33:34], v[33:34], v[39:40], v[54:55]
	v_fma_f64 v[66:67], v[31:32], v[41:42], v[33:34]
	;; [unrolled: 4-line block ×4, first 2 shown]
	global_load_dwordx2 v[23:24], v[17:18], off
	s_waitcnt vmcnt(0)
	v_sub_co_u32_e32 v39, vcc, v23, v9
	v_subb_co_u32_e32 v40, vcc, v24, v10, vcc
	v_add_co_u32_e32 v70, vcc, s12, v15
	v_lshlrev_b64 v[39:40], 6, v[39:40]
	v_addc_co_u32_e32 v71, vcc, 0, v16, vcc
	v_add_co_u32_e32 v72, vcc, s8, v39
	v_addc_co_u32_e32 v73, vcc, v43, v40, vcc
	global_load_dwordx4 v[23:26], v[70:71], off
	global_load_dwordx4 v[27:30], v[70:71], off offset:48
	global_load_dwordx4 v[31:34], v[70:71], off offset:32
	;; [unrolled: 1-line block ×6, first 2 shown]
	global_load_dwordx4 v[52:55], v[72:73], off
	s_waitcnt vmcnt(0)
	v_fma_f64 v[19:20], v[23:24], v[52:53], v[19:20]
	v_fma_f64 v[19:20], -v[25:26], v[54:55], v[19:20]
	v_fma_f64 v[25:26], v[25:26], v[52:53], v[58:59]
	v_fma_f64 v[58:59], v[23:24], v[54:55], v[25:26]
	v_fma_f64 v[23:24], v[35:36], v[52:53], v[64:65]
	v_fma_f64 v[64:65], -v[37:38], v[54:55], v[23:24]
	v_fma_f64 v[23:24], v[37:38], v[52:53], v[66:67]
	v_fma_f64 v[66:67], v[35:36], v[54:55], v[23:24]
	v_fma_f64 v[23:24], v[31:32], v[52:53], v[56:57]
	v_fma_f64 v[56:57], -v[33:34], v[54:55], v[23:24]
	v_fma_f64 v[23:24], v[33:34], v[52:53], v[60:61]
	v_fma_f64 v[60:61], v[31:32], v[54:55], v[23:24]
	v_fma_f64 v[23:24], v[27:28], v[52:53], v[62:63]
	v_fma_f64 v[62:63], -v[29:30], v[54:55], v[23:24]
	v_fma_f64 v[23:24], v[29:30], v[52:53], v[68:69]
	v_fma_f64 v[52:53], v[27:28], v[54:55], v[23:24]
	global_load_dwordx4 v[23:26], v[70:71], off offset:112
	global_load_dwordx4 v[27:30], v[70:71], off offset:96
	global_load_dwordx4 v[31:34], v[70:71], off offset:80
	global_load_dwordx4 v[35:38], v[70:71], off offset:64
	s_waitcnt vmcnt(0)
	v_fma_f64 v[19:20], v[35:36], v[48:49], v[19:20]
	v_fma_f64 v[19:20], -v[37:38], v[50:51], v[19:20]
	v_fma_f64 v[37:38], v[37:38], v[48:49], v[58:59]
	v_fma_f64 v[54:55], v[35:36], v[50:51], v[37:38]
	v_fma_f64 v[35:36], v[31:32], v[48:49], v[64:65]
	v_fma_f64 v[58:59], -v[33:34], v[50:51], v[35:36]
	v_fma_f64 v[33:34], v[33:34], v[48:49], v[66:67]
	v_fma_f64 v[64:65], v[31:32], v[50:51], v[33:34]
	v_fma_f64 v[31:32], v[27:28], v[48:49], v[56:57]
	v_fma_f64 v[56:57], -v[29:30], v[50:51], v[31:32]
	v_fma_f64 v[29:30], v[29:30], v[48:49], v[60:61]
	v_fma_f64 v[60:61], v[27:28], v[50:51], v[29:30]
	v_fma_f64 v[27:28], v[23:24], v[48:49], v[62:63]
	v_fma_f64 v[62:63], -v[25:26], v[50:51], v[27:28]
	v_fma_f64 v[25:26], v[25:26], v[48:49], v[52:53]
	v_fma_f64 v[48:49], v[23:24], v[50:51], v[25:26]
	global_load_dwordx4 v[23:26], v[70:71], off offset:176
	global_load_dwordx4 v[27:30], v[70:71], off offset:160
	global_load_dwordx4 v[31:34], v[70:71], off offset:144
	global_load_dwordx4 v[35:38], v[70:71], off offset:128
	;; [unrolled: 21-line block ×3, first 2 shown]
	s_waitcnt vmcnt(0)
	v_fma_f64 v[19:20], v[23:24], v[39:40], v[19:20]
	v_fma_f64 v[19:20], -v[25:26], v[41:42], v[19:20]
	v_fma_f64 v[25:26], v[25:26], v[39:40], v[50:51]
	v_fma_f64 v[23:24], v[23:24], v[41:42], v[25:26]
	v_fma_f64 v[25:26], v[27:28], v[39:40], v[52:53]
	v_fma_f64 v[25:26], -v[29:30], v[41:42], v[25:26]
	v_fma_f64 v[29:30], v[29:30], v[39:40], v[54:55]
	v_fma_f64 v[27:28], v[27:28], v[41:42], v[29:30]
	;; [unrolled: 4-line block ×4, first 2 shown]
	global_load_dwordx2 v[37:38], v[17:18], off offset:256
	s_waitcnt vmcnt(0)
	v_sub_co_u32_e32 v56, vcc, v37, v9
	v_subb_co_u32_e32 v57, vcc, v38, v10, vcc
	v_add_co_u32_e32 v37, vcc, s13, v15
	v_lshlrev_b64 v[56:57], 6, v[56:57]
	v_addc_co_u32_e32 v38, vcc, 0, v16, vcc
	v_add_co_u32_e32 v72, vcc, s8, v56
	v_addc_co_u32_e32 v73, vcc, v43, v57, vcc
	global_load_dwordx4 v[39:42], v[37:38], off
	global_load_dwordx4 v[44:47], v[37:38], off offset:48
	global_load_dwordx4 v[48:51], v[37:38], off offset:32
	global_load_dwordx4 v[52:55], v[37:38], off offset:16
	global_load_dwordx4 v[56:59], v[72:73], off offset:48
	global_load_dwordx4 v[60:63], v[72:73], off offset:32
	global_load_dwordx4 v[64:67], v[72:73], off offset:16
	global_load_dwordx4 v[68:71], v[72:73], off
	v_add_co_u32_e32 v11, vcc, 0x80, v11
	v_addc_co_u32_e32 v12, vcc, 0, v12, vcc
	v_add_co_u32_e32 v17, vcc, 0x400, v17
	v_addc_co_u32_e32 v18, vcc, 0, v18, vcc
	v_cmp_ge_i64_e64 s[0:1], v[11:12], v[13:14]
	v_add_co_u32_e32 v15, vcc, 0x8000, v15
	v_addc_co_u32_e32 v16, vcc, 0, v16, vcc
	s_or_b64 s[10:11], s[0:1], s[10:11]
	s_waitcnt vmcnt(0)
	v_fma_f64 v[23:24], v[41:42], v[68:69], v[23:24]
	v_fma_f64 v[19:20], v[39:40], v[68:69], v[19:20]
	;; [unrolled: 1-line block ×4, first 2 shown]
	v_fma_f64 v[19:20], -v[41:42], v[70:71], v[19:20]
	v_fma_f64 v[74:75], -v[54:55], v[70:71], v[23:24]
	v_fma_f64 v[23:24], v[54:55], v[68:69], v[27:28]
	v_fma_f64 v[52:53], v[52:53], v[70:71], v[23:24]
	v_fma_f64 v[23:24], v[48:49], v[68:69], v[29:30]
	v_fma_f64 v[54:55], -v[50:51], v[70:71], v[23:24]
	v_fma_f64 v[23:24], v[50:51], v[68:69], v[31:32]
	v_fma_f64 v[48:49], v[48:49], v[70:71], v[23:24]
	v_fma_f64 v[23:24], v[44:45], v[68:69], v[33:34]
	v_fma_f64 v[50:51], -v[46:47], v[70:71], v[23:24]
	v_fma_f64 v[23:24], v[46:47], v[68:69], v[35:36]
	v_fma_f64 v[35:36], v[44:45], v[70:71], v[23:24]
	global_load_dwordx4 v[23:26], v[37:38], off offset:112
	global_load_dwordx4 v[27:30], v[37:38], off offset:96
	global_load_dwordx4 v[31:34], v[37:38], off offset:80
	global_load_dwordx4 v[39:42], v[37:38], off offset:64
	s_waitcnt vmcnt(0)
	v_fma_f64 v[19:20], v[39:40], v[64:65], v[19:20]
	v_fma_f64 v[19:20], -v[41:42], v[66:67], v[19:20]
	v_fma_f64 v[41:42], v[41:42], v[64:65], v[72:73]
	v_fma_f64 v[44:45], v[39:40], v[66:67], v[41:42]
	v_fma_f64 v[39:40], v[31:32], v[64:65], v[74:75]
	v_fma_f64 v[46:47], -v[33:34], v[66:67], v[39:40]
	v_fma_f64 v[33:34], v[33:34], v[64:65], v[52:53]
	v_fma_f64 v[52:53], v[31:32], v[66:67], v[33:34]
	v_fma_f64 v[31:32], v[27:28], v[64:65], v[54:55]
	v_fma_f64 v[54:55], -v[29:30], v[66:67], v[31:32]
	v_fma_f64 v[29:30], v[29:30], v[64:65], v[48:49]
	v_fma_f64 v[48:49], v[27:28], v[66:67], v[29:30]
	v_fma_f64 v[27:28], v[23:24], v[64:65], v[50:51]
	v_fma_f64 v[50:51], -v[25:26], v[66:67], v[27:28]
	v_fma_f64 v[25:26], v[25:26], v[64:65], v[35:36]
	v_fma_f64 v[35:36], v[23:24], v[66:67], v[25:26]
	global_load_dwordx4 v[23:26], v[37:38], off offset:176
	global_load_dwordx4 v[27:30], v[37:38], off offset:160
	global_load_dwordx4 v[31:34], v[37:38], off offset:144
	global_load_dwordx4 v[39:42], v[37:38], off offset:128
	s_waitcnt vmcnt(0)
	v_fma_f64 v[19:20], v[39:40], v[60:61], v[19:20]
	v_fma_f64 v[19:20], -v[41:42], v[62:63], v[19:20]
	v_fma_f64 v[41:42], v[41:42], v[60:61], v[44:45]
	v_fma_f64 v[39:40], v[39:40], v[62:63], v[41:42]
	v_fma_f64 v[41:42], v[31:32], v[60:61], v[46:47]
	;; [unrolled: 21-line block ×3, first 2 shown]
	v_fma_f64 v[37:38], -v[33:34], v[58:59], v[19:20]
	v_fma_f64 v[19:20], v[33:34], v[56:57], v[52:53]
	v_fma_f64 v[35:36], v[31:32], v[58:59], v[19:20]
	;; [unrolled: 1-line block ×3, first 2 shown]
	v_fma_f64 v[33:34], -v[29:30], v[58:59], v[19:20]
	v_fma_f64 v[19:20], v[29:30], v[56:57], v[48:49]
	v_fma_f64 v[27:28], v[27:28], v[58:59], v[19:20]
	;; [unrolled: 1-line block ×3, first 2 shown]
	v_fma_f64 v[31:32], -v[25:26], v[58:59], v[19:20]
	v_fma_f64 v[19:20], v[25:26], v[56:57], v[60:61]
	v_fma_f64 v[29:30], v[23:24], v[58:59], v[19:20]
	s_andn2_b64 exec, exec, s[10:11]
	s_cbranch_execnz .LBB58_33
; %bb.34:
	s_or_b64 exec, exec, s[10:11]
.LBB58_35:
	s_or_b64 exec, exec, s[6:7]
.LBB58_36:
	s_or_b64 exec, exec, s[2:3]
.LBB58_37:
	v_mov_b32_dpp v9, v41 row_shr:1 row_mask:0xf bank_mask:0xf
	v_mov_b32_dpp v10, v42 row_shr:1 row_mask:0xf bank_mask:0xf
	v_add_f64 v[9:10], v[41:42], v[9:10]
	v_mov_b32_dpp v11, v39 row_shr:1 row_mask:0xf bank_mask:0xf
	v_mov_b32_dpp v12, v40 row_shr:1 row_mask:0xf bank_mask:0xf
	v_add_f64 v[11:12], v[39:40], v[11:12]
	v_mov_b32_dpp v13, v37 row_shr:1 row_mask:0xf bank_mask:0xf
	v_cmp_eq_u32_e32 vcc, 31, v0
	v_mov_b32_dpp v14, v9 row_shr:2 row_mask:0xf bank_mask:0xf
	v_mov_b32_dpp v15, v10 row_shr:2 row_mask:0xf bank_mask:0xf
	v_add_f64 v[9:10], v[9:10], v[14:15]
	v_mov_b32_dpp v14, v38 row_shr:1 row_mask:0xf bank_mask:0xf
	v_mov_b32_dpp v16, v11 row_shr:2 row_mask:0xf bank_mask:0xf
	;; [unrolled: 1-line block ×4, first 2 shown]
	v_add_f64 v[13:14], v[37:38], v[13:14]
	v_add_f64 v[11:12], v[11:12], v[16:17]
	v_mov_b32_dpp v16, v36 row_shr:1 row_mask:0xf bank_mask:0xf
	v_add_f64 v[15:16], v[35:36], v[15:16]
	v_mov_b32_dpp v17, v9 row_shr:4 row_mask:0xf bank_mask:0xe
	v_mov_b32_dpp v18, v10 row_shr:4 row_mask:0xf bank_mask:0xe
	v_add_f64 v[9:10], v[9:10], v[17:18]
	v_mov_b32_dpp v17, v13 row_shr:2 row_mask:0xf bank_mask:0xf
	v_mov_b32_dpp v18, v14 row_shr:2 row_mask:0xf bank_mask:0xf
	;; [unrolled: 1-line block ×4, first 2 shown]
	v_add_f64 v[11:12], v[11:12], v[19:20]
	v_add_f64 v[13:14], v[13:14], v[17:18]
	v_mov_b32_dpp v18, v15 row_shr:2 row_mask:0xf bank_mask:0xf
	v_mov_b32_dpp v19, v16 row_shr:2 row_mask:0xf bank_mask:0xf
	v_add_f64 v[15:16], v[15:16], v[18:19]
	v_mov_b32_dpp v17, v9 row_shr:8 row_mask:0xf bank_mask:0xc
	v_mov_b32_dpp v18, v10 row_shr:8 row_mask:0xf bank_mask:0xc
	;; [unrolled: 3-line block ×3, first 2 shown]
	v_mov_b32_dpp v20, v14 row_shr:4 row_mask:0xf bank_mask:0xe
	v_add_f64 v[13:14], v[13:14], v[19:20]
	v_mov_b32_dpp v19, v15 row_shr:4 row_mask:0xf bank_mask:0xe
	v_mov_b32_dpp v20, v16 row_shr:4 row_mask:0xf bank_mask:0xe
	v_add_f64 v[15:16], v[15:16], v[19:20]
	v_mov_b32_dpp v19, v33 row_shr:1 row_mask:0xf bank_mask:0xf
	;; [unrolled: 3-line block ×3, first 2 shown]
	v_add_f64 v[11:12], v[11:12], v[17:18]
	v_mov_b32_dpp v17, v13 row_shr:8 row_mask:0xf bank_mask:0xc
	v_mov_b32_dpp v18, v14 row_shr:8 row_mask:0xf bank_mask:0xc
	v_add_f64 v[13:14], v[13:14], v[17:18]
	v_mov_b32_dpp v17, v15 row_shr:8 row_mask:0xf bank_mask:0xc
	v_mov_b32_dpp v18, v16 row_shr:8 row_mask:0xf bank_mask:0xc
	;; [unrolled: 3-line block ×3, first 2 shown]
	v_add_f64 v[33:34], v[19:20], v[17:18]
	v_mov_b32_dpp v25, v9 row_bcast:15 row_mask:0xa bank_mask:0xf
	v_mov_b32_dpp v26, v10 row_bcast:15 row_mask:0xa bank_mask:0xf
	;; [unrolled: 1-line block ×7, first 2 shown]
	v_mov_b32_dpp v35, v33 row_shr:4 row_mask:0xf bank_mask:0xe
	v_mov_b32_dpp v36, v34 row_shr:4 row_mask:0xf bank_mask:0xe
	v_add_f64 v[33:34], v[33:34], v[35:36]
	v_mov_b32_dpp v35, v27 row_shr:1 row_mask:0xf bank_mask:0xf
	v_mov_b32_dpp v36, v28 row_shr:1 row_mask:0xf bank_mask:0xf
	v_add_f64 v[27:28], v[27:28], v[35:36]
	;; [unrolled: 3-line block ×4, first 2 shown]
	v_mov_b32_dpp v35, v33 row_shr:8 row_mask:0xf bank_mask:0xc
	v_mov_b32_dpp v36, v27 row_shr:2 row_mask:0xf bank_mask:0xf
	;; [unrolled: 1-line block ×3, first 2 shown]
	v_add_f64 v[27:28], v[27:28], v[36:37]
	v_mov_b32_dpp v36, v31 row_shr:2 row_mask:0xf bank_mask:0xf
	v_mov_b32_dpp v37, v32 row_shr:2 row_mask:0xf bank_mask:0xf
	v_add_f64 v[31:32], v[31:32], v[36:37]
	v_mov_b32_dpp v36, v29 row_shr:2 row_mask:0xf bank_mask:0xf
	v_mov_b32_dpp v37, v30 row_shr:2 row_mask:0xf bank_mask:0xf
	v_add_f64 v[29:30], v[29:30], v[36:37]
	v_mov_b32_dpp v36, v34 row_shr:8 row_mask:0xf bank_mask:0xc
	v_mov_b32_dpp v37, v27 row_shr:4 row_mask:0xf bank_mask:0xe
	v_mov_b32_dpp v38, v28 row_shr:4 row_mask:0xf bank_mask:0xe
	v_add_f64 v[37:38], v[27:28], v[37:38]
	v_mov_b32_dpp v27, v31 row_shr:4 row_mask:0xf bank_mask:0xe
	v_mov_b32_dpp v28, v32 row_shr:4 row_mask:0xf bank_mask:0xe
	v_add_f64 v[31:32], v[31:32], v[27:28]
	v_mov_b32_dpp v27, v29 row_shr:4 row_mask:0xf bank_mask:0xe
	v_mov_b32_dpp v28, v30 row_shr:4 row_mask:0xf bank_mask:0xe
	v_add_f64 v[39:40], v[29:30], v[27:28]
	v_add_f64 v[27:28], v[33:34], v[35:36]
	v_mov_b32_dpp v29, v37 row_shr:8 row_mask:0xf bank_mask:0xc
	v_mov_b32_dpp v30, v38 row_shr:8 row_mask:0xf bank_mask:0xc
	v_add_f64 v[29:30], v[37:38], v[29:30]
	v_mov_b32_dpp v33, v31 row_shr:8 row_mask:0xf bank_mask:0xc
	v_mov_b32_dpp v34, v32 row_shr:8 row_mask:0xf bank_mask:0xc
	;; [unrolled: 3-line block ×3, first 2 shown]
	v_add_f64 v[33:34], v[39:40], v[33:34]
	v_mov_b32_dpp v18, v16 row_bcast:15 row_mask:0xa bank_mask:0xf
	v_mov_b32_dpp v41, v27 row_bcast:15 row_mask:0xa bank_mask:0xf
	;; [unrolled: 1-line block ×9, first 2 shown]
	s_and_b64 exec, exec, vcc
	s_cbranch_execz .LBB58_8
; %bb.38:
	v_add_f64 v[11:12], v[11:12], v[23:24]
	v_add_f64 v[23:24], v[13:14], v[19:20]
	;; [unrolled: 1-line block ×8, first 2 shown]
	v_mul_f64 v[19:20], v[11:12], -v[7:8]
	v_mul_f64 v[11:12], v[5:6], v[11:12]
	v_mul_f64 v[29:30], v[13:14], -v[7:8]
	v_mul_f64 v[31:32], v[5:6], v[13:14]
	;; [unrolled: 2-line block ×4, first 2 shown]
	v_cmp_eq_f64_e32 vcc, 0, v[1:2]
	v_cmp_eq_f64_e64 s[0:1], 0, v[3:4]
	v_fma_f64 v[17:18], v[5:6], v[9:10], v[19:20]
	v_fma_f64 v[19:20], v[7:8], v[9:10], v[11:12]
	;; [unrolled: 1-line block ×8, first 2 shown]
	s_load_dwordx2 s[2:3], s[4:5], 0x68
	v_lshlrev_b64 v[21:22], 6, v[21:22]
	s_and_b64 s[0:1], vcc, s[0:1]
	s_and_saveexec_b64 s[4:5], s[0:1]
	s_xor_b64 s[0:1], exec, s[4:5]
	s_cbranch_execz .LBB58_40
; %bb.39:
	s_waitcnt lgkmcnt(0)
	v_mov_b32_e32 v1, s3
	v_add_co_u32_e32 v0, vcc, s2, v21
	v_addc_co_u32_e32 v1, vcc, v1, v22, vcc
	global_store_dwordx4 v[0:1], v[17:20], off
	global_store_dwordx4 v[0:1], v[13:16], off offset:16
	global_store_dwordx4 v[0:1], v[9:12], off offset:32
	;; [unrolled: 1-line block ×3, first 2 shown]
                                        ; implicit-def: $vgpr3_vgpr4
                                        ; implicit-def: $vgpr17_vgpr18
                                        ; implicit-def: $vgpr21_vgpr22
                                        ; implicit-def: $vgpr13_vgpr14
                                        ; implicit-def: $vgpr9_vgpr10
                                        ; implicit-def: $vgpr5_vgpr6
.LBB58_40:
	s_andn2_saveexec_b64 s[0:1], s[0:1]
	s_cbranch_execz .LBB58_8
; %bb.41:
	s_waitcnt lgkmcnt(0)
	v_mov_b32_e32 v0, s3
	v_add_co_u32_e32 v37, vcc, s2, v21
	v_addc_co_u32_e32 v38, vcc, v0, v22, vcc
	global_load_dwordx4 v[21:24], v[37:38], off
	global_load_dwordx4 v[25:28], v[37:38], off offset:16
	global_load_dwordx4 v[29:32], v[37:38], off offset:32
	;; [unrolled: 1-line block ×3, first 2 shown]
	s_waitcnt vmcnt(3)
	v_fma_f64 v[17:18], v[1:2], v[21:22], v[17:18]
	v_fma_f64 v[19:20], v[3:4], v[21:22], v[19:20]
	s_waitcnt vmcnt(2)
	v_fma_f64 v[13:14], v[1:2], v[25:26], v[13:14]
	v_fma_f64 v[15:16], v[3:4], v[25:26], v[15:16]
	;; [unrolled: 3-line block ×4, first 2 shown]
	v_fma_f64 v[5:6], -v[3:4], v[23:24], v[17:18]
	v_fma_f64 v[7:8], v[1:2], v[23:24], v[19:20]
	v_fma_f64 v[9:10], -v[3:4], v[27:28], v[13:14]
	v_fma_f64 v[11:12], v[1:2], v[27:28], v[15:16]
	;; [unrolled: 2-line block ×4, first 2 shown]
	global_store_dwordx4 v[37:38], v[5:8], off
	global_store_dwordx4 v[37:38], v[9:12], off offset:16
	global_store_dwordx4 v[37:38], v[13:16], off offset:32
	;; [unrolled: 1-line block ×3, first 2 shown]
	s_endpgm
	.section	.rodata,"a",@progbits
	.p2align	6, 0x0
	.amdhsa_kernel _ZN9rocsparseL18bsrxmvn_4x4_kernelILj128ELj32E21rocsparse_complex_numIdEllS2_S2_S2_EEvT3_20rocsparse_direction_NS_24const_host_device_scalarIT1_EES3_PKS3_PKT2_SC_S9_PKT4_PKT5_S7_PT6_21rocsparse_index_base_b
		.amdhsa_group_segment_fixed_size 0
		.amdhsa_private_segment_fixed_size 0
		.amdhsa_kernarg_size 120
		.amdhsa_user_sgpr_count 6
		.amdhsa_user_sgpr_private_segment_buffer 1
		.amdhsa_user_sgpr_dispatch_ptr 0
		.amdhsa_user_sgpr_queue_ptr 0
		.amdhsa_user_sgpr_kernarg_segment_ptr 1
		.amdhsa_user_sgpr_dispatch_id 0
		.amdhsa_user_sgpr_flat_scratch_init 0
		.amdhsa_user_sgpr_private_segment_size 0
		.amdhsa_uses_dynamic_stack 0
		.amdhsa_system_sgpr_private_segment_wavefront_offset 0
		.amdhsa_system_sgpr_workgroup_id_x 1
		.amdhsa_system_sgpr_workgroup_id_y 0
		.amdhsa_system_sgpr_workgroup_id_z 0
		.amdhsa_system_sgpr_workgroup_info 0
		.amdhsa_system_vgpr_workitem_id 0
		.amdhsa_next_free_vgpr 90
		.amdhsa_next_free_sgpr 19
		.amdhsa_reserve_vcc 1
		.amdhsa_reserve_flat_scratch 0
		.amdhsa_float_round_mode_32 0
		.amdhsa_float_round_mode_16_64 0
		.amdhsa_float_denorm_mode_32 3
		.amdhsa_float_denorm_mode_16_64 3
		.amdhsa_dx10_clamp 1
		.amdhsa_ieee_mode 1
		.amdhsa_fp16_overflow 0
		.amdhsa_exception_fp_ieee_invalid_op 0
		.amdhsa_exception_fp_denorm_src 0
		.amdhsa_exception_fp_ieee_div_zero 0
		.amdhsa_exception_fp_ieee_overflow 0
		.amdhsa_exception_fp_ieee_underflow 0
		.amdhsa_exception_fp_ieee_inexact 0
		.amdhsa_exception_int_div_zero 0
	.end_amdhsa_kernel
	.section	.text._ZN9rocsparseL18bsrxmvn_4x4_kernelILj128ELj32E21rocsparse_complex_numIdEllS2_S2_S2_EEvT3_20rocsparse_direction_NS_24const_host_device_scalarIT1_EES3_PKS3_PKT2_SC_S9_PKT4_PKT5_S7_PT6_21rocsparse_index_base_b,"axG",@progbits,_ZN9rocsparseL18bsrxmvn_4x4_kernelILj128ELj32E21rocsparse_complex_numIdEllS2_S2_S2_EEvT3_20rocsparse_direction_NS_24const_host_device_scalarIT1_EES3_PKS3_PKT2_SC_S9_PKT4_PKT5_S7_PT6_21rocsparse_index_base_b,comdat
.Lfunc_end58:
	.size	_ZN9rocsparseL18bsrxmvn_4x4_kernelILj128ELj32E21rocsparse_complex_numIdEllS2_S2_S2_EEvT3_20rocsparse_direction_NS_24const_host_device_scalarIT1_EES3_PKS3_PKT2_SC_S9_PKT4_PKT5_S7_PT6_21rocsparse_index_base_b, .Lfunc_end58-_ZN9rocsparseL18bsrxmvn_4x4_kernelILj128ELj32E21rocsparse_complex_numIdEllS2_S2_S2_EEvT3_20rocsparse_direction_NS_24const_host_device_scalarIT1_EES3_PKS3_PKT2_SC_S9_PKT4_PKT5_S7_PT6_21rocsparse_index_base_b
                                        ; -- End function
	.set _ZN9rocsparseL18bsrxmvn_4x4_kernelILj128ELj32E21rocsparse_complex_numIdEllS2_S2_S2_EEvT3_20rocsparse_direction_NS_24const_host_device_scalarIT1_EES3_PKS3_PKT2_SC_S9_PKT4_PKT5_S7_PT6_21rocsparse_index_base_b.num_vgpr, 90
	.set _ZN9rocsparseL18bsrxmvn_4x4_kernelILj128ELj32E21rocsparse_complex_numIdEllS2_S2_S2_EEvT3_20rocsparse_direction_NS_24const_host_device_scalarIT1_EES3_PKS3_PKT2_SC_S9_PKT4_PKT5_S7_PT6_21rocsparse_index_base_b.num_agpr, 0
	.set _ZN9rocsparseL18bsrxmvn_4x4_kernelILj128ELj32E21rocsparse_complex_numIdEllS2_S2_S2_EEvT3_20rocsparse_direction_NS_24const_host_device_scalarIT1_EES3_PKS3_PKT2_SC_S9_PKT4_PKT5_S7_PT6_21rocsparse_index_base_b.numbered_sgpr, 19
	.set _ZN9rocsparseL18bsrxmvn_4x4_kernelILj128ELj32E21rocsparse_complex_numIdEllS2_S2_S2_EEvT3_20rocsparse_direction_NS_24const_host_device_scalarIT1_EES3_PKS3_PKT2_SC_S9_PKT4_PKT5_S7_PT6_21rocsparse_index_base_b.num_named_barrier, 0
	.set _ZN9rocsparseL18bsrxmvn_4x4_kernelILj128ELj32E21rocsparse_complex_numIdEllS2_S2_S2_EEvT3_20rocsparse_direction_NS_24const_host_device_scalarIT1_EES3_PKS3_PKT2_SC_S9_PKT4_PKT5_S7_PT6_21rocsparse_index_base_b.private_seg_size, 0
	.set _ZN9rocsparseL18bsrxmvn_4x4_kernelILj128ELj32E21rocsparse_complex_numIdEllS2_S2_S2_EEvT3_20rocsparse_direction_NS_24const_host_device_scalarIT1_EES3_PKS3_PKT2_SC_S9_PKT4_PKT5_S7_PT6_21rocsparse_index_base_b.uses_vcc, 1
	.set _ZN9rocsparseL18bsrxmvn_4x4_kernelILj128ELj32E21rocsparse_complex_numIdEllS2_S2_S2_EEvT3_20rocsparse_direction_NS_24const_host_device_scalarIT1_EES3_PKS3_PKT2_SC_S9_PKT4_PKT5_S7_PT6_21rocsparse_index_base_b.uses_flat_scratch, 0
	.set _ZN9rocsparseL18bsrxmvn_4x4_kernelILj128ELj32E21rocsparse_complex_numIdEllS2_S2_S2_EEvT3_20rocsparse_direction_NS_24const_host_device_scalarIT1_EES3_PKS3_PKT2_SC_S9_PKT4_PKT5_S7_PT6_21rocsparse_index_base_b.has_dyn_sized_stack, 0
	.set _ZN9rocsparseL18bsrxmvn_4x4_kernelILj128ELj32E21rocsparse_complex_numIdEllS2_S2_S2_EEvT3_20rocsparse_direction_NS_24const_host_device_scalarIT1_EES3_PKS3_PKT2_SC_S9_PKT4_PKT5_S7_PT6_21rocsparse_index_base_b.has_recursion, 0
	.set _ZN9rocsparseL18bsrxmvn_4x4_kernelILj128ELj32E21rocsparse_complex_numIdEllS2_S2_S2_EEvT3_20rocsparse_direction_NS_24const_host_device_scalarIT1_EES3_PKS3_PKT2_SC_S9_PKT4_PKT5_S7_PT6_21rocsparse_index_base_b.has_indirect_call, 0
	.section	.AMDGPU.csdata,"",@progbits
; Kernel info:
; codeLenInByte = 10428
; TotalNumSgprs: 23
; NumVgprs: 90
; ScratchSize: 0
; MemoryBound: 1
; FloatMode: 240
; IeeeMode: 1
; LDSByteSize: 0 bytes/workgroup (compile time only)
; SGPRBlocks: 2
; VGPRBlocks: 22
; NumSGPRsForWavesPerEU: 23
; NumVGPRsForWavesPerEU: 90
; Occupancy: 2
; WaveLimiterHint : 1
; COMPUTE_PGM_RSRC2:SCRATCH_EN: 0
; COMPUTE_PGM_RSRC2:USER_SGPR: 6
; COMPUTE_PGM_RSRC2:TRAP_HANDLER: 0
; COMPUTE_PGM_RSRC2:TGID_X_EN: 1
; COMPUTE_PGM_RSRC2:TGID_Y_EN: 0
; COMPUTE_PGM_RSRC2:TGID_Z_EN: 0
; COMPUTE_PGM_RSRC2:TIDIG_COMP_CNT: 0
	.section	.text._ZN9rocsparseL18bsrxmvn_4x4_kernelILj128ELj64E21rocsparse_complex_numIdEllS2_S2_S2_EEvT3_20rocsparse_direction_NS_24const_host_device_scalarIT1_EES3_PKS3_PKT2_SC_S9_PKT4_PKT5_S7_PT6_21rocsparse_index_base_b,"axG",@progbits,_ZN9rocsparseL18bsrxmvn_4x4_kernelILj128ELj64E21rocsparse_complex_numIdEllS2_S2_S2_EEvT3_20rocsparse_direction_NS_24const_host_device_scalarIT1_EES3_PKS3_PKT2_SC_S9_PKT4_PKT5_S7_PT6_21rocsparse_index_base_b,comdat
	.globl	_ZN9rocsparseL18bsrxmvn_4x4_kernelILj128ELj64E21rocsparse_complex_numIdEllS2_S2_S2_EEvT3_20rocsparse_direction_NS_24const_host_device_scalarIT1_EES3_PKS3_PKT2_SC_S9_PKT4_PKT5_S7_PT6_21rocsparse_index_base_b ; -- Begin function _ZN9rocsparseL18bsrxmvn_4x4_kernelILj128ELj64E21rocsparse_complex_numIdEllS2_S2_S2_EEvT3_20rocsparse_direction_NS_24const_host_device_scalarIT1_EES3_PKS3_PKT2_SC_S9_PKT4_PKT5_S7_PT6_21rocsparse_index_base_b
	.p2align	8
	.type	_ZN9rocsparseL18bsrxmvn_4x4_kernelILj128ELj64E21rocsparse_complex_numIdEllS2_S2_S2_EEvT3_20rocsparse_direction_NS_24const_host_device_scalarIT1_EES3_PKS3_PKT2_SC_S9_PKT4_PKT5_S7_PT6_21rocsparse_index_base_b,@function
_ZN9rocsparseL18bsrxmvn_4x4_kernelILj128ELj64E21rocsparse_complex_numIdEllS2_S2_S2_EEvT3_20rocsparse_direction_NS_24const_host_device_scalarIT1_EES3_PKS3_PKT2_SC_S9_PKT4_PKT5_S7_PT6_21rocsparse_index_base_b: ; @_ZN9rocsparseL18bsrxmvn_4x4_kernelILj128ELj64E21rocsparse_complex_numIdEllS2_S2_S2_EEvT3_20rocsparse_direction_NS_24const_host_device_scalarIT1_EES3_PKS3_PKT2_SC_S9_PKT4_PKT5_S7_PT6_21rocsparse_index_base_b
; %bb.0:
	s_load_dwordx2 s[0:1], s[4:5], 0x10
	s_load_dwordx2 s[2:3], s[4:5], 0x70
	s_add_u32 s7, s4, 16
	s_addc_u32 s10, s5, 0
	s_add_u32 s11, s4, 0x58
	s_addc_u32 s12, s5, 0
	s_waitcnt lgkmcnt(0)
	s_bitcmp1_b32 s3, 0
	s_cselect_b32 s1, s10, s1
	s_cselect_b32 s0, s7, s0
	v_mov_b32_e32 v1, s0
	v_mov_b32_e32 v2, s1
	flat_load_dwordx4 v[5:8], v[1:2]
	s_load_dwordx2 s[8:9], s[4:5], 0x58
	s_waitcnt lgkmcnt(0)
	s_cselect_b32 s0, s12, s9
	s_cselect_b32 s1, s11, s8
	v_mov_b32_e32 v1, s1
	v_mov_b32_e32 v2, s0
	flat_load_dwordx4 v[1:4], v[1:2]
	s_waitcnt vmcnt(0)
	v_cmp_eq_f64_e32 vcc, 0, v[5:6]
	v_cmp_eq_f64_e64 s[0:1], 0, v[7:8]
	s_and_b64 s[10:11], vcc, s[0:1]
	s_mov_b64 s[0:1], -1
	s_and_saveexec_b64 s[8:9], s[10:11]
	s_cbranch_execz .LBB59_2
; %bb.1:
	s_waitcnt lgkmcnt(0)
	v_cmp_neq_f64_e32 vcc, 1.0, v[1:2]
	v_cmp_neq_f64_e64 s[0:1], 0, v[3:4]
	s_or_b64 s[0:1], vcc, s[0:1]
	s_orn2_b64 s[0:1], s[0:1], exec
.LBB59_2:
	s_or_b64 exec, exec, s[8:9]
	s_and_saveexec_b64 s[8:9], s[0:1]
	s_cbranch_execz .LBB59_8
; %bb.3:
	s_load_dwordx2 s[8:9], s[4:5], 0x28
	v_lshrrev_b32_e32 v9, 6, v0
	v_lshl_or_b32 v11, s6, 1, v9
	v_mov_b32_e32 v12, 0
	s_mov_b64 s[0:1], 0
	s_waitcnt lgkmcnt(0)
	s_cmp_lg_u64 s[8:9], 0
	s_cbranch_scc0 .LBB59_9
; %bb.4:
	s_load_dwordx2 s[6:7], s[4:5], 0x20
                                        ; implicit-def: $vgpr21_vgpr22
                                        ; implicit-def: $vgpr9_vgpr10
	s_waitcnt lgkmcnt(0)
	v_cmp_gt_i64_e32 vcc, s[6:7], v[11:12]
	s_and_saveexec_b64 s[6:7], vcc
	s_xor_b64 s[6:7], exec, s[6:7]
	s_cbranch_execz .LBB59_6
; %bb.5:
	v_lshlrev_b64 v[9:10], 3, v[11:12]
	v_mov_b32_e32 v13, s9
	v_add_co_u32_e32 v9, vcc, s8, v9
	v_addc_co_u32_e32 v10, vcc, v13, v10, vcc
	global_load_dwordx2 v[9:10], v[9:10], off
	s_mov_b32 s3, 0
	s_mov_b64 s[0:1], exec
	s_waitcnt vmcnt(0)
	v_subrev_co_u32_e32 v21, vcc, s2, v9
	v_subbrev_co_u32_e32 v22, vcc, 0, v10, vcc
	v_mov_b32_e32 v10, s3
	v_mov_b32_e32 v9, s2
.LBB59_6:
	s_or_b64 exec, exec, s[6:7]
.LBB59_7:
	s_and_b64 exec, exec, s[0:1]
	s_cbranch_execnz .LBB59_13
.LBB59_8:
	s_endpgm
.LBB59_9:
                                        ; implicit-def: $vgpr21_vgpr22
                                        ; implicit-def: $vgpr9_vgpr10
	s_cbranch_execz .LBB59_7
; %bb.10:
	s_load_dwordx2 s[6:7], s[4:5], 0x0
	s_waitcnt lgkmcnt(0)
	v_cmp_gt_i64_e32 vcc, s[6:7], v[11:12]
	s_and_saveexec_b64 s[6:7], vcc
; %bb.11:
	s_mov_b32 s3, 0
	s_or_b64 s[0:1], s[0:1], exec
; %bb.12:
	s_or_b64 exec, exec, s[6:7]
	v_mov_b32_e32 v10, s3
	v_mov_b32_e32 v22, v12
	;; [unrolled: 1-line block ×4, first 2 shown]
	s_and_b64 exec, exec, s[0:1]
	s_cbranch_execz .LBB59_8
.LBB59_13:
	s_load_dwordx8 s[8:15], s[4:5], 0x30
	v_lshlrev_b64 v[11:12], 3, v[21:22]
	v_and_b32_e32 v0, 63, v0
	s_waitcnt lgkmcnt(0)
	v_mov_b32_e32 v14, s9
	v_add_co_u32_e32 v13, vcc, s8, v11
	v_addc_co_u32_e32 v14, vcc, v14, v12, vcc
	global_load_dwordx2 v[17:18], v[13:14], off
	v_add_co_u32_e32 v13, vcc, 8, v13
	v_addc_co_u32_e32 v14, vcc, 0, v14, vcc
	v_mov_b32_e32 v15, s11
	v_add_co_u32_e32 v11, vcc, s10, v11
	s_cmp_eq_u64 s[10:11], 0
	v_addc_co_u32_e32 v12, vcc, v15, v12, vcc
	s_cselect_b64 vcc, -1, 0
	v_cndmask_b32_e32 v12, v12, v14, vcc
	v_cndmask_b32_e32 v11, v11, v13, vcc
	global_load_dwordx2 v[13:14], v[11:12], off
	s_load_dword s0, s[4:5], 0x8
	s_load_dwordx2 s[8:9], s[4:5], 0x50
	v_mov_b32_e32 v19, s15
	s_waitcnt lgkmcnt(0)
	s_cmp_eq_u32 s0, 1
	s_waitcnt vmcnt(1)
	v_sub_co_u32_e32 v11, vcc, v17, v9
	v_subb_co_u32_e32 v12, vcc, v18, v10, vcc
	v_add_co_u32_e32 v11, vcc, v11, v0
	v_addc_co_u32_e32 v12, vcc, 0, v12, vcc
	v_lshlrev_b64 v[15:16], 8, v[11:12]
	s_waitcnt vmcnt(0)
	v_sub_co_u32_e32 v13, vcc, v13, v9
	v_subb_co_u32_e32 v14, vcc, v14, v10, vcc
	v_cmp_lt_i64_e64 s[0:1], v[11:12], v[13:14]
	v_add_co_u32_e32 v15, vcc, s14, v15
	v_addc_co_u32_e32 v16, vcc, v19, v16, vcc
	s_cbranch_scc1 .LBB59_25
; %bb.14:
	v_mov_b32_e32 v39, 0
	v_mov_b32_e32 v41, 0
	;; [unrolled: 1-line block ×16, first 2 shown]
	s_and_saveexec_b64 s[10:11], s[0:1]
	s_cbranch_execz .LBB59_24
; %bb.15:
	v_or_b32_e32 v19, 64, v0
	v_sub_co_u32_e32 v19, vcc, v19, v9
	v_subb_co_u32_e32 v20, vcc, 0, v10, vcc
	v_add_co_u32_e32 v19, vcc, v19, v17
	v_addc_co_u32_e32 v20, vcc, v20, v18, vcc
	v_cmp_gt_i64_e32 vcc, v[19:20], v[13:14]
	v_not_b32_e32 v24, v17
	v_cndmask_b32_e32 v20, v14, v20, vcc
	v_cndmask_b32_e32 v19, v13, v19, vcc
	v_sub_co_u32_e32 v25, vcc, v9, v0
	v_subbrev_co_u32_e32 v26, vcc, 0, v10, vcc
	v_not_b32_e32 v23, v18
	v_add_co_u32_e32 v24, vcc, v25, v24
	v_addc_co_u32_e32 v23, vcc, v26, v23, vcc
	v_add_co_u32_e32 v25, vcc, v24, v19
	v_addc_co_u32_e32 v26, vcc, v23, v20, vcc
	v_and_b32_e32 v19, 0xc0, v25
	v_mov_b32_e32 v20, 0
	s_mov_b64 s[2:3], 0xc0
	v_cmp_ne_u64_e32 vcc, s[2:3], v[19:20]
	v_mov_b32_e32 v35, 0
	v_mov_b32_e32 v37, 0
	v_mov_b32_e32 v29, 0
	v_mov_b32_e32 v33, 0
	v_mov_b32_e32 v27, 0
	v_mov_b32_e32 v31, 0
	v_mov_b32_e32 v41, 0
	v_mov_b32_e32 v39, 0
	v_mov_b32_e32 v24, v16
	v_mov_b32_e32 v20, v12
	v_mov_b32_e32 v36, 0
	v_mov_b32_e32 v38, 0
	v_mov_b32_e32 v30, 0
	v_mov_b32_e32 v34, 0
	v_mov_b32_e32 v28, 0
	v_mov_b32_e32 v32, 0
	v_mov_b32_e32 v42, 0
	v_mov_b32_e32 v40, 0
	v_mov_b32_e32 v23, v15
	v_mov_b32_e32 v19, v11
	s_and_saveexec_b64 s[14:15], vcc
	s_cbranch_execz .LBB59_19
; %bb.16:
	v_lshrrev_b32_e32 v19, 6, v25
	v_add_u32_e32 v19, 1, v19
	v_and_b32_e32 v23, 3, v19
	v_lshlrev_b64 v[19:20], 3, v[11:12]
	v_mov_b32_e32 v24, s13
	v_add_co_u32_e32 v43, vcc, s12, v19
	v_addc_co_u32_e32 v44, vcc, v24, v20, vcc
	v_sub_co_u32_e32 v45, vcc, 0, v23
	v_mov_b32_e32 v39, 0
	v_mov_b32_e32 v20, v12
	;; [unrolled: 1-line block ×10, first 2 shown]
	s_mov_b64 s[16:17], 0
	v_subb_co_u32_e64 v46, s[2:3], 0, 0, vcc
	v_mov_b32_e32 v40, 0
	s_movk_i32 s18, 0x4000
	v_mov_b32_e32 v19, v11
	v_mov_b32_e32 v42, 0
	;; [unrolled: 1-line block ×9, first 2 shown]
.LBB59_17:                              ; =>This Inner Loop Header: Depth=1
	global_load_dwordx2 v[67:68], v[43:44], off
	global_load_dwordx4 v[47:50], v[23:24], off
	v_mov_b32_e32 v69, s9
	global_load_dwordx4 v[51:54], v[23:24], off offset:64
	global_load_dwordx4 v[55:58], v[23:24], off offset:128
	;; [unrolled: 1-line block ×4, first 2 shown]
	v_add_co_u32_e64 v45, s[6:7], 1, v45
	s_waitcnt vmcnt(5)
	v_sub_co_u32_e32 v67, vcc, v67, v9
	v_subb_co_u32_e32 v68, vcc, v68, v10, vcc
	v_lshlrev_b64 v[67:68], 6, v[67:68]
	v_add_co_u32_e32 v71, vcc, s8, v67
	v_addc_co_u32_e32 v72, vcc, v69, v68, vcc
	global_load_dwordx4 v[67:70], v[71:72], off
	s_waitcnt vmcnt(0)
	v_fma_f64 v[29:30], v[57:58], v[67:68], v[29:30]
	v_fma_f64 v[41:42], v[47:48], v[67:68], v[41:42]
	;; [unrolled: 1-line block ×9, first 2 shown]
	v_fma_f64 v[73:74], -v[49:50], v[69:70], v[41:42]
	v_fma_f64 v[75:76], v[47:48], v[69:70], v[39:40]
	global_load_dwordx4 v[39:42], v[23:24], off offset:80
	v_fma_f64 v[77:78], -v[53:54], v[69:70], v[37:38]
	v_fma_f64 v[79:80], v[51:52], v[69:70], v[35:36]
	global_load_dwordx4 v[35:38], v[23:24], off offset:144
	v_fma_f64 v[57:58], -v[57:58], v[69:70], v[33:34]
	global_load_dwordx4 v[47:50], v[23:24], off offset:208
	v_fma_f64 v[61:62], -v[61:62], v[69:70], v[29:30]
	v_fma_f64 v[59:60], v[59:60], v[69:70], v[27:28]
	global_load_dwordx4 v[27:30], v[23:24], off offset:32
	global_load_dwordx4 v[31:34], v[71:72], off offset:16
	s_waitcnt vmcnt(0)
	v_fma_f64 v[51:52], v[63:64], v[31:32], v[73:74]
	v_fma_f64 v[53:54], v[65:66], v[31:32], v[75:76]
	;; [unrolled: 1-line block ×8, first 2 shown]
	v_fma_f64 v[65:66], -v[65:66], v[33:34], v[51:52]
	v_fma_f64 v[63:64], v[63:64], v[33:34], v[53:54]
	global_load_dwordx4 v[51:54], v[23:24], off offset:96
	v_fma_f64 v[67:68], -v[41:42], v[33:34], v[67:68]
	v_fma_f64 v[69:70], v[39:40], v[33:34], v[69:70]
	global_load_dwordx4 v[39:42], v[23:24], off offset:160
	;; [unrolled: 3-line block ×4, first 2 shown]
	global_load_dwordx4 v[47:50], v[71:72], off offset:32
	s_waitcnt vmcnt(0)
	v_fma_f64 v[65:66], v[27:28], v[47:48], v[65:66]
	v_fma_f64 v[63:64], v[29:30], v[47:48], v[63:64]
	;; [unrolled: 1-line block ×8, first 2 shown]
	v_fma_f64 v[65:66], -v[29:30], v[49:50], v[65:66]
	v_fma_f64 v[63:64], v[27:28], v[49:50], v[63:64]
	global_load_dwordx4 v[27:30], v[23:24], off offset:112
	v_fma_f64 v[67:68], -v[53:54], v[49:50], v[67:68]
	v_fma_f64 v[69:70], v[51:52], v[49:50], v[69:70]
	global_load_dwordx4 v[51:54], v[23:24], off offset:176
	v_fma_f64 v[41:42], -v[41:42], v[49:50], v[57:58]
	v_fma_f64 v[39:40], v[39:40], v[49:50], v[55:56]
	global_load_dwordx4 v[55:58], v[23:24], off offset:240
	v_fma_f64 v[37:38], -v[37:38], v[49:50], v[59:60]
	v_fma_f64 v[35:36], v[35:36], v[49:50], v[47:48]
	global_load_dwordx4 v[47:50], v[71:72], off offset:48
	v_add_co_u32_e32 v23, vcc, s18, v23
	s_mov_b64 s[2:3], vcc
	v_add_co_u32_e32 v19, vcc, 64, v19
	v_addc_co_u32_e32 v20, vcc, 0, v20, vcc
	v_addc_co_u32_e64 v46, vcc, 0, v46, s[6:7]
	v_cmp_eq_u64_e64 s[6:7], 0, v[45:46]
	v_add_co_u32_e32 v43, vcc, 0x200, v43
	v_addc_co_u32_e64 v24, s[2:3], 0, v24, s[2:3]
	s_or_b64 s[16:17], s[6:7], s[16:17]
	v_addc_co_u32_e32 v44, vcc, 0, v44, vcc
	s_waitcnt vmcnt(0)
	v_fma_f64 v[59:60], v[31:32], v[47:48], v[65:66]
	v_fma_f64 v[61:62], v[33:34], v[47:48], v[63:64]
	;; [unrolled: 1-line block ×8, first 2 shown]
	v_fma_f64 v[41:42], -v[33:34], v[49:50], v[59:60]
	v_fma_f64 v[39:40], v[31:32], v[49:50], v[61:62]
	v_fma_f64 v[37:38], -v[29:30], v[49:50], v[63:64]
	v_fma_f64 v[35:36], v[27:28], v[49:50], v[65:66]
	;; [unrolled: 2-line block ×4, first 2 shown]
	s_andn2_b64 exec, exec, s[16:17]
	s_cbranch_execnz .LBB59_17
; %bb.18:
	s_or_b64 exec, exec, s[16:17]
.LBB59_19:
	s_or_b64 exec, exec, s[14:15]
	s_mov_b64 s[2:3], 0xbf
	v_cmp_lt_u64_e32 vcc, s[2:3], v[25:26]
	s_and_saveexec_b64 s[6:7], vcc
	s_cbranch_execz .LBB59_23
; %bb.20:
	v_lshlrev_b64 v[25:26], 3, v[19:20]
	v_mov_b32_e32 v43, s13
	v_add_co_u32_e32 v25, vcc, s12, v25
	v_addc_co_u32_e32 v26, vcc, v43, v26, vcc
	v_add_co_u32_e32 v25, vcc, 0x400, v25
	v_addc_co_u32_e32 v26, vcc, 0, v26, vcc
	s_mov_b64 s[14:15], 0
	v_mov_b32_e32 v45, s9
	s_movk_i32 s16, 0x4000
	s_mov_b32 s17, 0x8000
	s_mov_b32 s18, 0xc000
.LBB59_21:                              ; =>This Inner Loop Header: Depth=1
	global_load_dwordx2 v[43:44], v[25:26], off offset:-1024
	global_load_dwordx4 v[46:49], v[23:24], off offset:48
	global_load_dwordx4 v[50:53], v[23:24], off offset:32
	;; [unrolled: 1-line block ×3, first 2 shown]
	global_load_dwordx4 v[58:61], v[23:24], off
	s_waitcnt vmcnt(4)
	v_sub_co_u32_e32 v43, vcc, v43, v9
	v_subb_co_u32_e32 v44, vcc, v44, v10, vcc
	v_lshlrev_b64 v[43:44], 6, v[43:44]
	v_add_co_u32_e32 v43, vcc, s8, v43
	v_addc_co_u32_e32 v44, vcc, v45, v44, vcc
	global_load_dwordx4 v[62:65], v[43:44], off offset:48
	global_load_dwordx4 v[66:69], v[43:44], off offset:32
	;; [unrolled: 1-line block ×3, first 2 shown]
	global_load_dwordx4 v[74:77], v[43:44], off
	s_waitcnt vmcnt(0)
	v_fma_f64 v[41:42], v[58:59], v[74:75], v[41:42]
	v_fma_f64 v[39:40], v[60:61], v[74:75], v[39:40]
	v_fma_f64 v[41:42], -v[60:61], v[76:77], v[41:42]
	v_fma_f64 v[39:40], v[58:59], v[76:77], v[39:40]
	v_fma_f64 v[41:42], v[54:55], v[70:71], v[41:42]
	v_fma_f64 v[39:40], v[56:57], v[70:71], v[39:40]
	v_fma_f64 v[41:42], -v[56:57], v[72:73], v[41:42]
	v_fma_f64 v[39:40], v[54:55], v[72:73], v[39:40]
	v_fma_f64 v[41:42], v[50:51], v[66:67], v[41:42]
	v_fma_f64 v[39:40], v[52:53], v[66:67], v[39:40]
	v_fma_f64 v[41:42], -v[52:53], v[68:69], v[41:42]
	v_fma_f64 v[39:40], v[50:51], v[68:69], v[39:40]
	v_fma_f64 v[41:42], v[46:47], v[62:63], v[41:42]
	v_fma_f64 v[39:40], v[48:49], v[62:63], v[39:40]
	v_fma_f64 v[78:79], -v[48:49], v[64:65], v[41:42]
	v_fma_f64 v[80:81], v[46:47], v[64:65], v[39:40]
	global_load_dwordx4 v[39:42], v[23:24], off offset:112
	global_load_dwordx4 v[46:49], v[23:24], off offset:96
	global_load_dwordx4 v[50:53], v[23:24], off offset:80
	global_load_dwordx4 v[54:57], v[23:24], off offset:64
	s_waitcnt vmcnt(0)
	v_fma_f64 v[37:38], v[54:55], v[74:75], v[37:38]
	v_fma_f64 v[35:36], v[56:57], v[74:75], v[35:36]
	v_fma_f64 v[37:38], -v[56:57], v[76:77], v[37:38]
	v_fma_f64 v[35:36], v[54:55], v[76:77], v[35:36]
	v_fma_f64 v[37:38], v[50:51], v[70:71], v[37:38]
	v_fma_f64 v[35:36], v[52:53], v[70:71], v[35:36]
	v_fma_f64 v[37:38], -v[52:53], v[72:73], v[37:38]
	v_fma_f64 v[35:36], v[50:51], v[72:73], v[35:36]
	v_fma_f64 v[37:38], v[46:47], v[66:67], v[37:38]
	v_fma_f64 v[35:36], v[48:49], v[66:67], v[35:36]
	v_fma_f64 v[37:38], -v[48:49], v[68:69], v[37:38]
	v_fma_f64 v[35:36], v[46:47], v[68:69], v[35:36]
	v_fma_f64 v[37:38], v[39:40], v[62:63], v[37:38]
	v_fma_f64 v[35:36], v[41:42], v[62:63], v[35:36]
	v_fma_f64 v[82:83], -v[41:42], v[64:65], v[37:38]
	v_fma_f64 v[84:85], v[39:40], v[64:65], v[35:36]
	global_load_dwordx4 v[35:38], v[23:24], off offset:176
	global_load_dwordx4 v[39:42], v[23:24], off offset:160
	global_load_dwordx4 v[46:49], v[23:24], off offset:144
	global_load_dwordx4 v[50:53], v[23:24], off offset:128
	s_waitcnt vmcnt(0)
	v_fma_f64 v[33:34], v[50:51], v[74:75], v[33:34]
	v_fma_f64 v[29:30], v[52:53], v[74:75], v[29:30]
	v_fma_f64 v[33:34], -v[52:53], v[76:77], v[33:34]
	v_fma_f64 v[29:30], v[50:51], v[76:77], v[29:30]
	v_fma_f64 v[33:34], v[46:47], v[70:71], v[33:34]
	v_fma_f64 v[29:30], v[48:49], v[70:71], v[29:30]
	v_fma_f64 v[33:34], -v[48:49], v[72:73], v[33:34]
	v_fma_f64 v[29:30], v[46:47], v[72:73], v[29:30]
	v_fma_f64 v[33:34], v[39:40], v[66:67], v[33:34]
	v_fma_f64 v[29:30], v[41:42], v[66:67], v[29:30]
	v_fma_f64 v[33:34], -v[41:42], v[68:69], v[33:34]
	v_fma_f64 v[29:30], v[39:40], v[68:69], v[29:30]
	v_fma_f64 v[33:34], v[35:36], v[62:63], v[33:34]
	v_fma_f64 v[29:30], v[37:38], v[62:63], v[29:30]
	v_fma_f64 v[86:87], -v[37:38], v[64:65], v[33:34]
	v_fma_f64 v[88:89], v[35:36], v[64:65], v[29:30]
	global_load_dwordx4 v[33:36], v[23:24], off offset:240
	global_load_dwordx4 v[37:40], v[23:24], off offset:224
	global_load_dwordx4 v[41:44], v[23:24], off offset:208
	global_load_dwordx4 v[46:49], v[23:24], off offset:192
	s_waitcnt vmcnt(0)
	v_fma_f64 v[27:28], v[48:49], v[74:75], v[27:28]
	v_fma_f64 v[29:30], v[46:47], v[74:75], v[31:32]
	v_fma_f64 v[27:28], v[46:47], v[76:77], v[27:28]
	v_fma_f64 v[29:30], -v[48:49], v[76:77], v[29:30]
	v_fma_f64 v[27:28], v[43:44], v[70:71], v[27:28]
	v_fma_f64 v[29:30], v[41:42], v[70:71], v[29:30]
	v_fma_f64 v[27:28], v[41:42], v[72:73], v[27:28]
	v_fma_f64 v[29:30], -v[43:44], v[72:73], v[29:30]
	;; [unrolled: 4-line block ×3, first 2 shown]
	v_fma_f64 v[27:28], v[35:36], v[62:63], v[27:28]
	v_fma_f64 v[29:30], v[33:34], v[62:63], v[29:30]
	;; [unrolled: 1-line block ×3, first 2 shown]
	global_load_dwordx2 v[27:28], v[25:26], off offset:-512
	v_fma_f64 v[43:44], -v[35:36], v[64:65], v[29:30]
	v_add_co_u32_e32 v64, vcc, s16, v23
	v_addc_co_u32_e32 v65, vcc, 0, v24, vcc
	s_waitcnt vmcnt(0)
	v_sub_co_u32_e32 v46, vcc, v27, v9
	v_subb_co_u32_e32 v47, vcc, v28, v10, vcc
	v_lshlrev_b64 v[46:47], 6, v[46:47]
	global_load_dwordx4 v[27:30], v[64:65], off
	global_load_dwordx4 v[31:34], v[64:65], off offset:48
	global_load_dwordx4 v[35:38], v[64:65], off offset:32
	;; [unrolled: 1-line block ×3, first 2 shown]
	v_add_co_u32_e32 v66, vcc, s8, v46
	v_addc_co_u32_e32 v67, vcc, v45, v47, vcc
	global_load_dwordx4 v[46:49], v[66:67], off offset:48
	global_load_dwordx4 v[50:53], v[66:67], off offset:32
	;; [unrolled: 1-line block ×3, first 2 shown]
	global_load_dwordx4 v[58:61], v[66:67], off
	s_waitcnt vmcnt(0)
	v_fma_f64 v[66:67], v[27:28], v[58:59], v[78:79]
	v_fma_f64 v[66:67], -v[29:30], v[60:61], v[66:67]
	v_fma_f64 v[29:30], v[29:30], v[58:59], v[80:81]
	v_fma_f64 v[27:28], v[27:28], v[60:61], v[29:30]
	;; [unrolled: 1-line block ×4, first 2 shown]
	v_fma_f64 v[29:30], -v[41:42], v[56:57], v[29:30]
	v_fma_f64 v[27:28], v[39:40], v[56:57], v[27:28]
	v_fma_f64 v[29:30], v[35:36], v[50:51], v[29:30]
	;; [unrolled: 1-line block ×3, first 2 shown]
	v_fma_f64 v[29:30], -v[37:38], v[52:53], v[29:30]
	v_fma_f64 v[27:28], v[35:36], v[52:53], v[27:28]
	v_fma_f64 v[29:30], v[31:32], v[46:47], v[29:30]
	;; [unrolled: 1-line block ×3, first 2 shown]
	v_fma_f64 v[66:67], -v[33:34], v[48:49], v[29:30]
	v_fma_f64 v[68:69], v[31:32], v[48:49], v[27:28]
	global_load_dwordx4 v[27:30], v[64:65], off offset:112
	global_load_dwordx4 v[31:34], v[64:65], off offset:96
	global_load_dwordx4 v[35:38], v[64:65], off offset:80
	global_load_dwordx4 v[39:42], v[64:65], off offset:64
	s_waitcnt vmcnt(0)
	v_fma_f64 v[70:71], v[39:40], v[58:59], v[82:83]
	v_fma_f64 v[70:71], -v[41:42], v[60:61], v[70:71]
	v_fma_f64 v[41:42], v[41:42], v[58:59], v[84:85]
	v_fma_f64 v[39:40], v[39:40], v[60:61], v[41:42]
	v_fma_f64 v[41:42], v[35:36], v[54:55], v[70:71]
	v_fma_f64 v[41:42], -v[37:38], v[56:57], v[41:42]
	v_fma_f64 v[37:38], v[37:38], v[54:55], v[39:40]
	v_fma_f64 v[35:36], v[35:36], v[56:57], v[37:38]
	v_fma_f64 v[37:38], v[31:32], v[50:51], v[41:42]
	v_fma_f64 v[37:38], -v[33:34], v[52:53], v[37:38]
	v_fma_f64 v[33:34], v[33:34], v[50:51], v[35:36]
	v_fma_f64 v[31:32], v[31:32], v[52:53], v[33:34]
	v_fma_f64 v[33:34], v[27:28], v[46:47], v[37:38]
	v_fma_f64 v[70:71], -v[29:30], v[48:49], v[33:34]
	v_fma_f64 v[29:30], v[29:30], v[46:47], v[31:32]
	v_fma_f64 v[72:73], v[27:28], v[48:49], v[29:30]
	global_load_dwordx4 v[27:30], v[64:65], off offset:176
	global_load_dwordx4 v[31:34], v[64:65], off offset:160
	global_load_dwordx4 v[35:38], v[64:65], off offset:144
	global_load_dwordx4 v[39:42], v[64:65], off offset:128
	s_waitcnt vmcnt(0)
	v_fma_f64 v[74:75], v[39:40], v[58:59], v[86:87]
	v_fma_f64 v[74:75], -v[41:42], v[60:61], v[74:75]
	v_fma_f64 v[41:42], v[41:42], v[58:59], v[88:89]
	v_fma_f64 v[39:40], v[39:40], v[60:61], v[41:42]
	v_fma_f64 v[41:42], v[35:36], v[54:55], v[74:75]
	v_fma_f64 v[41:42], -v[37:38], v[56:57], v[41:42]
	v_fma_f64 v[37:38], v[37:38], v[54:55], v[39:40]
	v_fma_f64 v[35:36], v[35:36], v[56:57], v[37:38]
	v_fma_f64 v[37:38], v[31:32], v[50:51], v[41:42]
	v_fma_f64 v[37:38], -v[33:34], v[52:53], v[37:38]
	v_fma_f64 v[33:34], v[33:34], v[50:51], v[35:36]
	v_fma_f64 v[31:32], v[31:32], v[52:53], v[33:34]
	v_fma_f64 v[33:34], v[27:28], v[46:47], v[37:38]
	v_fma_f64 v[74:75], -v[29:30], v[48:49], v[33:34]
	v_fma_f64 v[29:30], v[29:30], v[46:47], v[31:32]
	;; [unrolled: 21-line block ×3, first 2 shown]
	v_fma_f64 v[78:79], v[27:28], v[48:49], v[29:30]
	global_load_dwordx2 v[27:28], v[25:26], off
	s_waitcnt vmcnt(0)
	v_sub_co_u32_e32 v46, vcc, v27, v9
	v_subb_co_u32_e32 v47, vcc, v28, v10, vcc
	v_add_co_u32_e32 v80, vcc, s17, v23
	v_lshlrev_b64 v[46:47], 6, v[46:47]
	v_addc_co_u32_e32 v81, vcc, 0, v24, vcc
	v_add_co_u32_e32 v62, vcc, s8, v46
	v_addc_co_u32_e32 v63, vcc, v45, v47, vcc
	global_load_dwordx4 v[27:30], v[80:81], off
	global_load_dwordx4 v[31:34], v[80:81], off offset:48
	global_load_dwordx4 v[35:38], v[80:81], off offset:32
	;; [unrolled: 1-line block ×6, first 2 shown]
	global_load_dwordx4 v[58:61], v[62:63], off
	s_waitcnt vmcnt(0)
	v_fma_f64 v[62:63], v[27:28], v[58:59], v[66:67]
	v_fma_f64 v[62:63], -v[29:30], v[60:61], v[62:63]
	v_fma_f64 v[29:30], v[29:30], v[58:59], v[68:69]
	v_fma_f64 v[27:28], v[27:28], v[60:61], v[29:30]
	;; [unrolled: 1-line block ×4, first 2 shown]
	v_fma_f64 v[29:30], -v[41:42], v[56:57], v[29:30]
	v_fma_f64 v[27:28], v[39:40], v[56:57], v[27:28]
	v_fma_f64 v[29:30], v[35:36], v[50:51], v[29:30]
	;; [unrolled: 1-line block ×3, first 2 shown]
	v_fma_f64 v[29:30], -v[37:38], v[52:53], v[29:30]
	v_fma_f64 v[27:28], v[35:36], v[52:53], v[27:28]
	v_fma_f64 v[29:30], v[31:32], v[46:47], v[29:30]
	;; [unrolled: 1-line block ×3, first 2 shown]
	v_fma_f64 v[39:40], -v[33:34], v[48:49], v[29:30]
	v_fma_f64 v[41:42], v[31:32], v[48:49], v[27:28]
	global_load_dwordx4 v[27:30], v[80:81], off offset:112
	global_load_dwordx4 v[31:34], v[80:81], off offset:96
	;; [unrolled: 1-line block ×4, first 2 shown]
	s_waitcnt vmcnt(0)
	v_fma_f64 v[66:67], v[62:63], v[58:59], v[70:71]
	v_fma_f64 v[66:67], -v[64:65], v[60:61], v[66:67]
	v_fma_f64 v[64:65], v[64:65], v[58:59], v[72:73]
	v_fma_f64 v[62:63], v[62:63], v[60:61], v[64:65]
	v_fma_f64 v[64:65], v[35:36], v[54:55], v[66:67]
	v_fma_f64 v[64:65], -v[37:38], v[56:57], v[64:65]
	v_fma_f64 v[37:38], v[37:38], v[54:55], v[62:63]
	v_fma_f64 v[35:36], v[35:36], v[56:57], v[37:38]
	;; [unrolled: 4-line block ×4, first 2 shown]
	global_load_dwordx4 v[31:34], v[80:81], off offset:176
	global_load_dwordx4 v[27:30], v[80:81], off offset:160
	;; [unrolled: 1-line block ×4, first 2 shown]
	s_waitcnt vmcnt(0)
	v_fma_f64 v[70:71], v[66:67], v[58:59], v[74:75]
	v_fma_f64 v[70:71], -v[68:69], v[60:61], v[70:71]
	v_fma_f64 v[68:69], v[68:69], v[58:59], v[76:77]
	v_fma_f64 v[66:67], v[66:67], v[60:61], v[68:69]
	v_fma_f64 v[68:69], v[62:63], v[54:55], v[70:71]
	v_fma_f64 v[68:69], -v[64:65], v[56:57], v[68:69]
	v_fma_f64 v[64:65], v[64:65], v[54:55], v[66:67]
	v_fma_f64 v[62:63], v[62:63], v[56:57], v[64:65]
	;; [unrolled: 4-line block ×3, first 2 shown]
	v_fma_f64 v[29:30], v[31:32], v[46:47], v[64:65]
	global_load_dwordx4 v[62:65], v[80:81], off offset:240
	global_load_dwordx4 v[66:69], v[80:81], off offset:224
	;; [unrolled: 1-line block ×4, first 2 shown]
	v_fma_f64 v[27:28], v[33:34], v[46:47], v[27:28]
	v_fma_f64 v[29:30], -v[33:34], v[48:49], v[29:30]
	v_fma_f64 v[33:34], v[31:32], v[48:49], v[27:28]
	s_waitcnt vmcnt(0)
	v_fma_f64 v[27:28], v[74:75], v[58:59], v[43:44]
	v_fma_f64 v[31:32], v[76:77], v[58:59], v[78:79]
	v_fma_f64 v[27:28], -v[76:77], v[60:61], v[27:28]
	v_fma_f64 v[31:32], v[74:75], v[60:61], v[31:32]
	v_fma_f64 v[27:28], v[70:71], v[54:55], v[27:28]
	v_fma_f64 v[31:32], v[72:73], v[54:55], v[31:32]
	v_fma_f64 v[27:28], -v[72:73], v[56:57], v[27:28]
	v_fma_f64 v[31:32], v[70:71], v[56:57], v[31:32]
	v_fma_f64 v[27:28], v[66:67], v[50:51], v[27:28]
	v_fma_f64 v[31:32], v[68:69], v[50:51], v[31:32]
	v_fma_f64 v[27:28], -v[68:69], v[52:53], v[27:28]
	v_fma_f64 v[43:44], v[66:67], v[52:53], v[31:32]
	v_fma_f64 v[27:28], v[62:63], v[46:47], v[27:28]
	v_fma_f64 v[31:32], -v[64:65], v[48:49], v[27:28]
	v_fma_f64 v[27:28], v[64:65], v[46:47], v[43:44]
	global_load_dwordx2 v[43:44], v[25:26], off offset:512
	v_fma_f64 v[27:28], v[62:63], v[48:49], v[27:28]
	s_waitcnt vmcnt(0)
	v_sub_co_u32_e32 v62, vcc, v43, v9
	v_subb_co_u32_e32 v63, vcc, v44, v10, vcc
	v_add_co_u32_e32 v43, vcc, s18, v23
	v_lshlrev_b64 v[62:63], 6, v[62:63]
	v_addc_co_u32_e32 v44, vcc, 0, v24, vcc
	v_add_co_u32_e32 v78, vcc, s8, v62
	v_addc_co_u32_e32 v79, vcc, v45, v63, vcc
	global_load_dwordx4 v[46:49], v[43:44], off
	global_load_dwordx4 v[50:53], v[43:44], off offset:48
	global_load_dwordx4 v[54:57], v[43:44], off offset:32
	;; [unrolled: 1-line block ×6, first 2 shown]
	global_load_dwordx4 v[74:77], v[78:79], off
	v_add_co_u32_e32 v19, vcc, 0x100, v19
	v_addc_co_u32_e32 v20, vcc, 0, v20, vcc
	v_add_co_u32_e32 v25, vcc, 0x800, v25
	v_addc_co_u32_e32 v26, vcc, 0, v26, vcc
	v_cmp_ge_i64_e64 s[2:3], v[19:20], v[13:14]
	v_add_co_u32_e32 v23, vcc, 0x10000, v23
	v_addc_co_u32_e32 v24, vcc, 0, v24, vcc
	s_or_b64 s[14:15], s[2:3], s[14:15]
	s_waitcnt vmcnt(0)
	v_fma_f64 v[39:40], v[46:47], v[74:75], v[39:40]
	v_fma_f64 v[41:42], v[48:49], v[74:75], v[41:42]
	v_fma_f64 v[39:40], -v[48:49], v[76:77], v[39:40]
	v_fma_f64 v[41:42], v[46:47], v[76:77], v[41:42]
	v_fma_f64 v[39:40], v[58:59], v[70:71], v[39:40]
	v_fma_f64 v[41:42], v[60:61], v[70:71], v[41:42]
	v_fma_f64 v[39:40], -v[60:61], v[72:73], v[39:40]
	v_fma_f64 v[41:42], v[58:59], v[72:73], v[41:42]
	v_fma_f64 v[39:40], v[54:55], v[66:67], v[39:40]
	v_fma_f64 v[41:42], v[56:57], v[66:67], v[41:42]
	v_fma_f64 v[39:40], -v[56:57], v[68:69], v[39:40]
	v_fma_f64 v[46:47], v[54:55], v[68:69], v[41:42]
	v_fma_f64 v[39:40], v[50:51], v[62:63], v[39:40]
	v_fma_f64 v[41:42], -v[52:53], v[64:65], v[39:40]
	v_fma_f64 v[39:40], v[52:53], v[62:63], v[46:47]
	v_fma_f64 v[39:40], v[50:51], v[64:65], v[39:40]
	global_load_dwordx4 v[46:49], v[43:44], off offset:112
	global_load_dwordx4 v[50:53], v[43:44], off offset:96
	global_load_dwordx4 v[54:57], v[43:44], off offset:80
	global_load_dwordx4 v[58:61], v[43:44], off offset:64
	s_waitcnt vmcnt(0)
	v_fma_f64 v[35:36], v[58:59], v[74:75], v[35:36]
	v_fma_f64 v[37:38], v[60:61], v[74:75], v[37:38]
	v_fma_f64 v[35:36], -v[60:61], v[76:77], v[35:36]
	v_fma_f64 v[37:38], v[58:59], v[76:77], v[37:38]
	v_fma_f64 v[35:36], v[54:55], v[70:71], v[35:36]
	v_fma_f64 v[37:38], v[56:57], v[70:71], v[37:38]
	v_fma_f64 v[35:36], -v[56:57], v[72:73], v[35:36]
	v_fma_f64 v[37:38], v[54:55], v[72:73], v[37:38]
	v_fma_f64 v[35:36], v[50:51], v[66:67], v[35:36]
	v_fma_f64 v[37:38], v[52:53], v[66:67], v[37:38]
	v_fma_f64 v[35:36], -v[52:53], v[68:69], v[35:36]
	v_fma_f64 v[50:51], v[50:51], v[68:69], v[37:38]
	v_fma_f64 v[35:36], v[46:47], v[62:63], v[35:36]
	v_fma_f64 v[37:38], -v[48:49], v[64:65], v[35:36]
	v_fma_f64 v[35:36], v[48:49], v[62:63], v[50:51]
	v_fma_f64 v[35:36], v[46:47], v[64:65], v[35:36]
	global_load_dwordx4 v[46:49], v[43:44], off offset:176
	global_load_dwordx4 v[50:53], v[43:44], off offset:160
	global_load_dwordx4 v[54:57], v[43:44], off offset:144
	global_load_dwordx4 v[58:61], v[43:44], off offset:128
	;; [unrolled: 21-line block ×3, first 2 shown]
	s_waitcnt vmcnt(0)
	v_fma_f64 v[31:32], v[58:59], v[74:75], v[31:32]
	v_fma_f64 v[27:28], v[60:61], v[74:75], v[27:28]
	v_fma_f64 v[31:32], -v[60:61], v[76:77], v[31:32]
	v_fma_f64 v[27:28], v[58:59], v[76:77], v[27:28]
	v_fma_f64 v[31:32], v[54:55], v[70:71], v[31:32]
	v_fma_f64 v[27:28], v[56:57], v[70:71], v[27:28]
	v_fma_f64 v[31:32], -v[56:57], v[72:73], v[31:32]
	v_fma_f64 v[27:28], v[54:55], v[72:73], v[27:28]
	;; [unrolled: 4-line block ×4, first 2 shown]
	s_andn2_b64 exec, exec, s[14:15]
	s_cbranch_execnz .LBB59_21
; %bb.22:
	s_or_b64 exec, exec, s[14:15]
.LBB59_23:
	s_or_b64 exec, exec, s[6:7]
.LBB59_24:
	s_or_b64 exec, exec, s[10:11]
	s_cbranch_execz .LBB59_26
	s_branch .LBB59_37
.LBB59_25:
                                        ; implicit-def: $vgpr39_vgpr40
                                        ; implicit-def: $vgpr41_vgpr42
                                        ; implicit-def: $vgpr31_vgpr32
                                        ; implicit-def: $vgpr27_vgpr28
                                        ; implicit-def: $vgpr33_vgpr34
                                        ; implicit-def: $vgpr29_vgpr30
                                        ; implicit-def: $vgpr37_vgpr38
                                        ; implicit-def: $vgpr35_vgpr36
.LBB59_26:
	v_mov_b32_e32 v39, 0
	v_mov_b32_e32 v41, 0
	;; [unrolled: 1-line block ×16, first 2 shown]
	s_and_saveexec_b64 s[2:3], s[0:1]
	s_cbranch_execz .LBB59_36
; %bb.27:
	v_or_b32_e32 v19, 64, v0
	v_sub_co_u32_e32 v19, vcc, v19, v9
	v_subb_co_u32_e32 v20, vcc, 0, v10, vcc
	v_add_co_u32_e32 v19, vcc, v19, v17
	v_addc_co_u32_e32 v20, vcc, v20, v18, vcc
	v_cmp_gt_i64_e32 vcc, v[19:20], v[13:14]
	v_not_b32_e32 v17, v17
	v_cndmask_b32_e32 v20, v14, v20, vcc
	v_cndmask_b32_e32 v19, v13, v19, vcc
	v_sub_co_u32_e32 v23, vcc, v9, v0
	v_subbrev_co_u32_e32 v24, vcc, 0, v10, vcc
	v_not_b32_e32 v18, v18
	v_add_co_u32_e32 v17, vcc, v23, v17
	v_addc_co_u32_e32 v18, vcc, v24, v18, vcc
	v_add_co_u32_e32 v17, vcc, v17, v19
	v_addc_co_u32_e32 v18, vcc, v18, v20, vcc
	v_and_b32_e32 v19, 0xc0, v17
	v_mov_b32_e32 v20, 0
	s_mov_b64 s[0:1], 0xc0
	v_cmp_ne_u64_e32 vcc, s[0:1], v[19:20]
	v_mov_b32_e32 v35, 0
	v_mov_b32_e32 v37, 0
	;; [unrolled: 1-line block ×16, first 2 shown]
	s_and_saveexec_b64 s[0:1], vcc
	s_cbranch_execz .LBB59_31
; %bb.28:
	v_lshrrev_b32_e32 v19, 6, v17
	v_add_u32_e32 v19, 1, v19
	v_and_b32_e32 v23, 3, v19
	v_lshlrev_b64 v[19:20], 3, v[11:12]
	v_mov_b32_e32 v24, s13
	v_add_co_u32_e32 v19, vcc, s12, v19
	v_addc_co_u32_e32 v20, vcc, v24, v20, vcc
	v_sub_co_u32_e32 v23, vcc, 0, v23
	v_subb_co_u32_e64 v24, s[10:11], 0, 0, vcc
	v_mov_b32_e32 v39, 0
	v_mov_b32_e32 v41, 0
	;; [unrolled: 1-line block ×8, first 2 shown]
	s_mov_b64 s[6:7], 0
	v_mov_b32_e32 v40, 0
	v_mov_b32_e32 v42, 0
	;; [unrolled: 1-line block ×8, first 2 shown]
	s_movk_i32 s10, 0x4000
.LBB59_29:                              ; =>This Inner Loop Header: Depth=1
	global_load_dwordx2 v[25:26], v[19:20], off
	v_mov_b32_e32 v59, s9
	global_load_dwordx4 v[43:46], v[15:16], off offset:48
	global_load_dwordx4 v[47:50], v[15:16], off offset:32
	;; [unrolled: 1-line block ×3, first 2 shown]
	global_load_dwordx4 v[55:58], v[15:16], off
	s_waitcnt vmcnt(4)
	v_sub_co_u32_e32 v25, vcc, v25, v9
	v_subb_co_u32_e32 v26, vcc, v26, v10, vcc
	v_lshlrev_b64 v[25:26], 6, v[25:26]
	v_add_co_u32_e32 v25, vcc, s8, v25
	v_addc_co_u32_e32 v26, vcc, v59, v26, vcc
	global_load_dwordx4 v[59:62], v[25:26], off offset:48
	global_load_dwordx4 v[63:66], v[25:26], off offset:32
	;; [unrolled: 1-line block ×3, first 2 shown]
	global_load_dwordx4 v[71:74], v[25:26], off
	s_waitcnt vmcnt(0)
	v_fma_f64 v[25:26], v[55:56], v[71:72], v[41:42]
	v_fma_f64 v[41:42], -v[57:58], v[73:74], v[25:26]
	v_fma_f64 v[25:26], v[57:58], v[71:72], v[39:40]
	v_fma_f64 v[55:56], v[55:56], v[73:74], v[25:26]
	v_fma_f64 v[25:26], v[51:52], v[71:72], v[37:38]
	v_fma_f64 v[57:58], -v[53:54], v[73:74], v[25:26]
	v_fma_f64 v[25:26], v[53:54], v[71:72], v[35:36]
	v_fma_f64 v[51:52], v[51:52], v[73:74], v[25:26]
	v_fma_f64 v[25:26], v[47:48], v[71:72], v[33:34]
	v_fma_f64 v[53:54], -v[49:50], v[73:74], v[25:26]
	v_fma_f64 v[25:26], v[49:50], v[71:72], v[29:30]
	v_fma_f64 v[47:48], v[47:48], v[73:74], v[25:26]
	v_fma_f64 v[25:26], v[43:44], v[71:72], v[31:32]
	v_fma_f64 v[49:50], -v[45:46], v[73:74], v[25:26]
	v_fma_f64 v[25:26], v[45:46], v[71:72], v[27:28]
	v_fma_f64 v[43:44], v[43:44], v[73:74], v[25:26]
	global_load_dwordx4 v[25:28], v[15:16], off offset:112
	global_load_dwordx4 v[29:32], v[15:16], off offset:96
	global_load_dwordx4 v[33:36], v[15:16], off offset:80
	global_load_dwordx4 v[37:40], v[15:16], off offset:64
	s_waitcnt vmcnt(0)
	v_fma_f64 v[41:42], v[37:38], v[67:68], v[41:42]
	v_fma_f64 v[41:42], -v[39:40], v[69:70], v[41:42]
	v_fma_f64 v[39:40], v[39:40], v[67:68], v[55:56]
	v_fma_f64 v[45:46], v[37:38], v[69:70], v[39:40]
	v_fma_f64 v[37:38], v[33:34], v[67:68], v[57:58]
	v_fma_f64 v[55:56], -v[35:36], v[69:70], v[37:38]
	v_fma_f64 v[35:36], v[35:36], v[67:68], v[51:52]
	v_fma_f64 v[51:52], v[33:34], v[69:70], v[35:36]
	v_fma_f64 v[33:34], v[29:30], v[67:68], v[53:54]
	v_fma_f64 v[53:54], -v[31:32], v[69:70], v[33:34]
	v_fma_f64 v[31:32], v[31:32], v[67:68], v[47:48]
	v_fma_f64 v[47:48], v[29:30], v[69:70], v[31:32]
	v_fma_f64 v[29:30], v[25:26], v[67:68], v[49:50]
	v_fma_f64 v[49:50], -v[27:28], v[69:70], v[29:30]
	v_fma_f64 v[27:28], v[27:28], v[67:68], v[43:44]
	v_fma_f64 v[43:44], v[25:26], v[69:70], v[27:28]
	global_load_dwordx4 v[25:28], v[15:16], off offset:176
	global_load_dwordx4 v[29:32], v[15:16], off offset:160
	global_load_dwordx4 v[33:36], v[15:16], off offset:144
	global_load_dwordx4 v[37:40], v[15:16], off offset:128
	;; [unrolled: 21-line block ×3, first 2 shown]
	v_add_co_u32_e32 v15, vcc, s10, v15
	v_addc_co_u32_e32 v16, vcc, 0, v16, vcc
	v_add_co_u32_e32 v11, vcc, 64, v11
	v_addc_co_u32_e32 v12, vcc, 0, v12, vcc
	;; [unrolled: 2-line block ×4, first 2 shown]
	v_cmp_eq_u64_e32 vcc, 0, v[23:24]
	s_or_b64 s[6:7], vcc, s[6:7]
	s_waitcnt vmcnt(0)
	v_fma_f64 v[41:42], v[37:38], v[59:60], v[41:42]
	v_fma_f64 v[41:42], -v[39:40], v[61:62], v[41:42]
	v_fma_f64 v[39:40], v[39:40], v[59:60], v[45:46]
	v_fma_f64 v[39:40], v[37:38], v[61:62], v[39:40]
	v_fma_f64 v[37:38], v[33:34], v[59:60], v[55:56]
	v_fma_f64 v[37:38], -v[35:36], v[61:62], v[37:38]
	v_fma_f64 v[35:36], v[35:36], v[59:60], v[51:52]
	v_fma_f64 v[35:36], v[33:34], v[61:62], v[35:36]
	;; [unrolled: 4-line block ×4, first 2 shown]
	s_andn2_b64 exec, exec, s[6:7]
	s_cbranch_execnz .LBB59_29
; %bb.30:
	s_or_b64 exec, exec, s[6:7]
.LBB59_31:
	s_or_b64 exec, exec, s[0:1]
	s_mov_b64 s[0:1], 0xbf
	v_cmp_lt_u64_e32 vcc, s[0:1], v[17:18]
	s_and_saveexec_b64 s[6:7], vcc
	s_cbranch_execz .LBB59_35
; %bb.32:
	v_lshlrev_b64 v[17:18], 3, v[11:12]
	v_mov_b32_e32 v19, s13
	v_add_co_u32_e32 v17, vcc, s12, v17
	v_addc_co_u32_e32 v18, vcc, v19, v18, vcc
	v_add_co_u32_e32 v17, vcc, 0x400, v17
	v_addc_co_u32_e32 v18, vcc, 0, v18, vcc
	s_mov_b64 s[10:11], 0
	v_mov_b32_e32 v43, s9
	s_movk_i32 s9, 0x4000
	s_mov_b32 s12, 0x8000
	s_mov_b32 s13, 0xc000
.LBB59_33:                              ; =>This Inner Loop Header: Depth=1
	global_load_dwordx2 v[19:20], v[17:18], off offset:-1024
	global_load_dwordx4 v[23:26], v[15:16], off offset:48
	global_load_dwordx4 v[44:47], v[15:16], off offset:32
	;; [unrolled: 1-line block ×3, first 2 shown]
	global_load_dwordx4 v[52:55], v[15:16], off
	s_waitcnt vmcnt(4)
	v_sub_co_u32_e32 v19, vcc, v19, v9
	v_subb_co_u32_e32 v20, vcc, v20, v10, vcc
	v_lshlrev_b64 v[19:20], 6, v[19:20]
	v_add_co_u32_e32 v19, vcc, s8, v19
	v_addc_co_u32_e32 v20, vcc, v43, v20, vcc
	global_load_dwordx4 v[56:59], v[19:20], off offset:48
	global_load_dwordx4 v[60:63], v[19:20], off offset:32
	;; [unrolled: 1-line block ×3, first 2 shown]
	global_load_dwordx4 v[68:71], v[19:20], off
	s_waitcnt vmcnt(0)
	v_fma_f64 v[29:30], v[46:47], v[68:69], v[29:30]
	v_fma_f64 v[37:38], v[48:49], v[68:69], v[37:38]
	;; [unrolled: 1-line block ×8, first 2 shown]
	v_fma_f64 v[41:42], -v[50:51], v[70:71], v[37:38]
	v_fma_f64 v[50:51], -v[46:47], v[70:71], v[33:34]
	v_fma_f64 v[39:40], v[52:53], v[70:71], v[39:40]
	v_fma_f64 v[48:49], v[48:49], v[70:71], v[35:36]
	v_fma_f64 v[19:20], -v[54:55], v[70:71], v[19:20]
	v_fma_f64 v[46:47], -v[25:26], v[70:71], v[29:30]
	v_fma_f64 v[25:26], v[25:26], v[68:69], v[27:28]
	v_fma_f64 v[52:53], v[23:24], v[70:71], v[25:26]
	global_load_dwordx4 v[23:26], v[15:16], off offset:112
	global_load_dwordx4 v[27:30], v[15:16], off offset:96
	global_load_dwordx4 v[31:34], v[15:16], off offset:80
	global_load_dwordx4 v[35:38], v[15:16], off offset:64
	s_waitcnt vmcnt(0)
	v_fma_f64 v[19:20], v[35:36], v[64:65], v[19:20]
	v_fma_f64 v[19:20], -v[37:38], v[66:67], v[19:20]
	v_fma_f64 v[37:38], v[37:38], v[64:65], v[39:40]
	v_fma_f64 v[39:40], v[35:36], v[66:67], v[37:38]
	v_fma_f64 v[35:36], v[31:32], v[64:65], v[41:42]
	v_fma_f64 v[41:42], -v[33:34], v[66:67], v[35:36]
	v_fma_f64 v[33:34], v[33:34], v[64:65], v[48:49]
	v_fma_f64 v[48:49], v[31:32], v[66:67], v[33:34]
	v_fma_f64 v[31:32], v[27:28], v[64:65], v[50:51]
	v_fma_f64 v[50:51], -v[29:30], v[66:67], v[31:32]
	v_fma_f64 v[29:30], v[29:30], v[64:65], v[44:45]
	v_fma_f64 v[44:45], v[27:28], v[66:67], v[29:30]
	v_fma_f64 v[27:28], v[23:24], v[64:65], v[46:47]
	v_fma_f64 v[46:47], -v[25:26], v[66:67], v[27:28]
	v_fma_f64 v[25:26], v[25:26], v[64:65], v[52:53]
	v_fma_f64 v[52:53], v[23:24], v[66:67], v[25:26]
	global_load_dwordx4 v[23:26], v[15:16], off offset:176
	global_load_dwordx4 v[27:30], v[15:16], off offset:160
	global_load_dwordx4 v[31:34], v[15:16], off offset:144
	global_load_dwordx4 v[35:38], v[15:16], off offset:128
	s_waitcnt vmcnt(0)
	v_fma_f64 v[19:20], v[35:36], v[60:61], v[19:20]
	v_fma_f64 v[19:20], -v[37:38], v[62:63], v[19:20]
	v_fma_f64 v[37:38], v[37:38], v[60:61], v[39:40]
	v_fma_f64 v[39:40], v[35:36], v[62:63], v[37:38]
	v_fma_f64 v[35:36], v[31:32], v[60:61], v[41:42]
	v_fma_f64 v[41:42], -v[33:34], v[62:63], v[35:36]
	v_fma_f64 v[33:34], v[33:34], v[60:61], v[48:49]
	v_fma_f64 v[48:49], v[31:32], v[62:63], v[33:34]
	v_fma_f64 v[31:32], v[27:28], v[60:61], v[50:51]
	v_fma_f64 v[50:51], -v[29:30], v[62:63], v[31:32]
	v_fma_f64 v[29:30], v[29:30], v[60:61], v[44:45]
	v_fma_f64 v[44:45], v[27:28], v[62:63], v[29:30]
	v_fma_f64 v[27:28], v[23:24], v[60:61], v[46:47]
	v_fma_f64 v[46:47], -v[25:26], v[62:63], v[27:28]
	v_fma_f64 v[25:26], v[25:26], v[60:61], v[52:53]
	v_fma_f64 v[52:53], v[23:24], v[62:63], v[25:26]
	global_load_dwordx4 v[23:26], v[15:16], off offset:240
	global_load_dwordx4 v[27:30], v[15:16], off offset:224
	global_load_dwordx4 v[31:34], v[15:16], off offset:208
	global_load_dwordx4 v[35:38], v[15:16], off offset:192
	s_waitcnt vmcnt(0)
	v_fma_f64 v[19:20], v[35:36], v[56:57], v[19:20]
	v_fma_f64 v[19:20], -v[37:38], v[58:59], v[19:20]
	v_fma_f64 v[37:38], v[37:38], v[56:57], v[39:40]
	v_fma_f64 v[60:61], v[35:36], v[58:59], v[37:38]
	v_fma_f64 v[35:36], v[31:32], v[56:57], v[41:42]
	v_fma_f64 v[62:63], -v[33:34], v[58:59], v[35:36]
	v_fma_f64 v[33:34], v[33:34], v[56:57], v[48:49]
	v_fma_f64 v[64:65], v[31:32], v[58:59], v[33:34]
	v_fma_f64 v[31:32], v[27:28], v[56:57], v[50:51]
	v_fma_f64 v[66:67], -v[29:30], v[58:59], v[31:32]
	v_fma_f64 v[29:30], v[29:30], v[56:57], v[44:45]
	v_fma_f64 v[68:69], v[27:28], v[58:59], v[29:30]
	v_fma_f64 v[27:28], v[23:24], v[56:57], v[46:47]
	v_fma_f64 v[70:71], -v[25:26], v[58:59], v[27:28]
	v_fma_f64 v[25:26], v[25:26], v[56:57], v[52:53]
	v_fma_f64 v[56:57], v[23:24], v[58:59], v[25:26]
	global_load_dwordx2 v[23:24], v[17:18], off offset:-512
	v_add_co_u32_e32 v58, vcc, s9, v15
	v_addc_co_u32_e32 v59, vcc, 0, v16, vcc
	s_waitcnt vmcnt(0)
	v_sub_co_u32_e32 v39, vcc, v23, v9
	v_subb_co_u32_e32 v40, vcc, v24, v10, vcc
	v_lshlrev_b64 v[39:40], 6, v[39:40]
	global_load_dwordx4 v[23:26], v[58:59], off
	global_load_dwordx4 v[27:30], v[58:59], off offset:48
	global_load_dwordx4 v[31:34], v[58:59], off offset:32
	global_load_dwordx4 v[35:38], v[58:59], off offset:16
	v_add_co_u32_e32 v72, vcc, s8, v39
	v_addc_co_u32_e32 v73, vcc, v43, v40, vcc
	global_load_dwordx4 v[39:42], v[72:73], off offset:48
	global_load_dwordx4 v[44:47], v[72:73], off offset:32
	;; [unrolled: 1-line block ×3, first 2 shown]
	global_load_dwordx4 v[52:55], v[72:73], off
	s_waitcnt vmcnt(0)
	v_fma_f64 v[19:20], v[23:24], v[52:53], v[19:20]
	v_fma_f64 v[19:20], -v[25:26], v[54:55], v[19:20]
	v_fma_f64 v[25:26], v[25:26], v[52:53], v[60:61]
	v_fma_f64 v[60:61], v[23:24], v[54:55], v[25:26]
	v_fma_f64 v[23:24], v[35:36], v[52:53], v[62:63]
	v_fma_f64 v[62:63], -v[37:38], v[54:55], v[23:24]
	v_fma_f64 v[23:24], v[37:38], v[52:53], v[64:65]
	v_fma_f64 v[64:65], v[35:36], v[54:55], v[23:24]
	v_fma_f64 v[23:24], v[31:32], v[52:53], v[66:67]
	v_fma_f64 v[66:67], -v[33:34], v[54:55], v[23:24]
	v_fma_f64 v[23:24], v[33:34], v[52:53], v[68:69]
	v_fma_f64 v[68:69], v[31:32], v[54:55], v[23:24]
	v_fma_f64 v[23:24], v[27:28], v[52:53], v[70:71]
	v_fma_f64 v[70:71], -v[29:30], v[54:55], v[23:24]
	v_fma_f64 v[23:24], v[29:30], v[52:53], v[56:57]
	v_fma_f64 v[52:53], v[27:28], v[54:55], v[23:24]
	global_load_dwordx4 v[23:26], v[58:59], off offset:112
	global_load_dwordx4 v[27:30], v[58:59], off offset:96
	global_load_dwordx4 v[31:34], v[58:59], off offset:80
	global_load_dwordx4 v[35:38], v[58:59], off offset:64
	s_waitcnt vmcnt(0)
	v_fma_f64 v[19:20], v[35:36], v[48:49], v[19:20]
	v_fma_f64 v[19:20], -v[37:38], v[50:51], v[19:20]
	v_fma_f64 v[37:38], v[37:38], v[48:49], v[60:61]
	v_fma_f64 v[54:55], v[35:36], v[50:51], v[37:38]
	v_fma_f64 v[35:36], v[31:32], v[48:49], v[62:63]
	v_fma_f64 v[56:57], -v[33:34], v[50:51], v[35:36]
	v_fma_f64 v[33:34], v[33:34], v[48:49], v[64:65]
	v_fma_f64 v[60:61], v[31:32], v[50:51], v[33:34]
	v_fma_f64 v[31:32], v[27:28], v[48:49], v[66:67]
	v_fma_f64 v[62:63], -v[29:30], v[50:51], v[31:32]
	v_fma_f64 v[29:30], v[29:30], v[48:49], v[68:69]
	v_fma_f64 v[64:65], v[27:28], v[50:51], v[29:30]
	v_fma_f64 v[27:28], v[23:24], v[48:49], v[70:71]
	v_fma_f64 v[66:67], -v[25:26], v[50:51], v[27:28]
	v_fma_f64 v[25:26], v[25:26], v[48:49], v[52:53]
	v_fma_f64 v[48:49], v[23:24], v[50:51], v[25:26]
	global_load_dwordx4 v[23:26], v[58:59], off offset:176
	global_load_dwordx4 v[27:30], v[58:59], off offset:160
	global_load_dwordx4 v[31:34], v[58:59], off offset:144
	global_load_dwordx4 v[35:38], v[58:59], off offset:128
	;; [unrolled: 21-line block ×3, first 2 shown]
	s_waitcnt vmcnt(0)
	v_fma_f64 v[19:20], v[35:36], v[39:40], v[19:20]
	v_fma_f64 v[19:20], -v[37:38], v[41:42], v[19:20]
	v_fma_f64 v[37:38], v[37:38], v[39:40], v[50:51]
	v_fma_f64 v[58:59], v[35:36], v[41:42], v[37:38]
	v_fma_f64 v[35:36], v[31:32], v[39:40], v[52:53]
	v_fma_f64 v[64:65], -v[33:34], v[41:42], v[35:36]
	v_fma_f64 v[33:34], v[33:34], v[39:40], v[54:55]
	v_fma_f64 v[66:67], v[31:32], v[41:42], v[33:34]
	;; [unrolled: 4-line block ×4, first 2 shown]
	global_load_dwordx2 v[23:24], v[17:18], off
	s_waitcnt vmcnt(0)
	v_sub_co_u32_e32 v39, vcc, v23, v9
	v_subb_co_u32_e32 v40, vcc, v24, v10, vcc
	v_add_co_u32_e32 v70, vcc, s12, v15
	v_lshlrev_b64 v[39:40], 6, v[39:40]
	v_addc_co_u32_e32 v71, vcc, 0, v16, vcc
	v_add_co_u32_e32 v72, vcc, s8, v39
	v_addc_co_u32_e32 v73, vcc, v43, v40, vcc
	global_load_dwordx4 v[23:26], v[70:71], off
	global_load_dwordx4 v[27:30], v[70:71], off offset:48
	global_load_dwordx4 v[31:34], v[70:71], off offset:32
	;; [unrolled: 1-line block ×6, first 2 shown]
	global_load_dwordx4 v[52:55], v[72:73], off
	s_waitcnt vmcnt(0)
	v_fma_f64 v[19:20], v[23:24], v[52:53], v[19:20]
	v_fma_f64 v[19:20], -v[25:26], v[54:55], v[19:20]
	v_fma_f64 v[25:26], v[25:26], v[52:53], v[58:59]
	v_fma_f64 v[58:59], v[23:24], v[54:55], v[25:26]
	v_fma_f64 v[23:24], v[35:36], v[52:53], v[64:65]
	v_fma_f64 v[64:65], -v[37:38], v[54:55], v[23:24]
	v_fma_f64 v[23:24], v[37:38], v[52:53], v[66:67]
	v_fma_f64 v[66:67], v[35:36], v[54:55], v[23:24]
	v_fma_f64 v[23:24], v[31:32], v[52:53], v[56:57]
	v_fma_f64 v[56:57], -v[33:34], v[54:55], v[23:24]
	v_fma_f64 v[23:24], v[33:34], v[52:53], v[60:61]
	v_fma_f64 v[60:61], v[31:32], v[54:55], v[23:24]
	v_fma_f64 v[23:24], v[27:28], v[52:53], v[62:63]
	v_fma_f64 v[62:63], -v[29:30], v[54:55], v[23:24]
	v_fma_f64 v[23:24], v[29:30], v[52:53], v[68:69]
	v_fma_f64 v[52:53], v[27:28], v[54:55], v[23:24]
	global_load_dwordx4 v[23:26], v[70:71], off offset:112
	global_load_dwordx4 v[27:30], v[70:71], off offset:96
	global_load_dwordx4 v[31:34], v[70:71], off offset:80
	global_load_dwordx4 v[35:38], v[70:71], off offset:64
	s_waitcnt vmcnt(0)
	v_fma_f64 v[19:20], v[35:36], v[48:49], v[19:20]
	v_fma_f64 v[19:20], -v[37:38], v[50:51], v[19:20]
	v_fma_f64 v[37:38], v[37:38], v[48:49], v[58:59]
	v_fma_f64 v[54:55], v[35:36], v[50:51], v[37:38]
	v_fma_f64 v[35:36], v[31:32], v[48:49], v[64:65]
	v_fma_f64 v[58:59], -v[33:34], v[50:51], v[35:36]
	v_fma_f64 v[33:34], v[33:34], v[48:49], v[66:67]
	v_fma_f64 v[64:65], v[31:32], v[50:51], v[33:34]
	v_fma_f64 v[31:32], v[27:28], v[48:49], v[56:57]
	v_fma_f64 v[56:57], -v[29:30], v[50:51], v[31:32]
	v_fma_f64 v[29:30], v[29:30], v[48:49], v[60:61]
	v_fma_f64 v[60:61], v[27:28], v[50:51], v[29:30]
	v_fma_f64 v[27:28], v[23:24], v[48:49], v[62:63]
	v_fma_f64 v[62:63], -v[25:26], v[50:51], v[27:28]
	v_fma_f64 v[25:26], v[25:26], v[48:49], v[52:53]
	v_fma_f64 v[48:49], v[23:24], v[50:51], v[25:26]
	global_load_dwordx4 v[23:26], v[70:71], off offset:176
	global_load_dwordx4 v[27:30], v[70:71], off offset:160
	global_load_dwordx4 v[31:34], v[70:71], off offset:144
	global_load_dwordx4 v[35:38], v[70:71], off offset:128
	;; [unrolled: 21-line block ×3, first 2 shown]
	s_waitcnt vmcnt(0)
	v_fma_f64 v[19:20], v[23:24], v[39:40], v[19:20]
	v_fma_f64 v[19:20], -v[25:26], v[41:42], v[19:20]
	v_fma_f64 v[25:26], v[25:26], v[39:40], v[50:51]
	v_fma_f64 v[23:24], v[23:24], v[41:42], v[25:26]
	v_fma_f64 v[25:26], v[27:28], v[39:40], v[52:53]
	v_fma_f64 v[25:26], -v[29:30], v[41:42], v[25:26]
	v_fma_f64 v[29:30], v[29:30], v[39:40], v[54:55]
	v_fma_f64 v[27:28], v[27:28], v[41:42], v[29:30]
	;; [unrolled: 4-line block ×4, first 2 shown]
	global_load_dwordx2 v[37:38], v[17:18], off offset:512
	s_waitcnt vmcnt(0)
	v_sub_co_u32_e32 v56, vcc, v37, v9
	v_subb_co_u32_e32 v57, vcc, v38, v10, vcc
	v_add_co_u32_e32 v37, vcc, s13, v15
	v_lshlrev_b64 v[56:57], 6, v[56:57]
	v_addc_co_u32_e32 v38, vcc, 0, v16, vcc
	v_add_co_u32_e32 v72, vcc, s8, v56
	v_addc_co_u32_e32 v73, vcc, v43, v57, vcc
	global_load_dwordx4 v[39:42], v[37:38], off
	global_load_dwordx4 v[44:47], v[37:38], off offset:48
	global_load_dwordx4 v[48:51], v[37:38], off offset:32
	;; [unrolled: 1-line block ×6, first 2 shown]
	global_load_dwordx4 v[68:71], v[72:73], off
	v_add_co_u32_e32 v11, vcc, 0x100, v11
	v_addc_co_u32_e32 v12, vcc, 0, v12, vcc
	v_add_co_u32_e32 v17, vcc, 0x800, v17
	v_addc_co_u32_e32 v18, vcc, 0, v18, vcc
	v_cmp_ge_i64_e64 s[0:1], v[11:12], v[13:14]
	v_add_co_u32_e32 v15, vcc, 0x10000, v15
	v_addc_co_u32_e32 v16, vcc, 0, v16, vcc
	s_or_b64 s[10:11], s[0:1], s[10:11]
	s_waitcnt vmcnt(0)
	v_fma_f64 v[23:24], v[41:42], v[68:69], v[23:24]
	v_fma_f64 v[19:20], v[39:40], v[68:69], v[19:20]
	;; [unrolled: 1-line block ×4, first 2 shown]
	v_fma_f64 v[19:20], -v[41:42], v[70:71], v[19:20]
	v_fma_f64 v[74:75], -v[54:55], v[70:71], v[23:24]
	v_fma_f64 v[23:24], v[54:55], v[68:69], v[27:28]
	v_fma_f64 v[52:53], v[52:53], v[70:71], v[23:24]
	v_fma_f64 v[23:24], v[48:49], v[68:69], v[29:30]
	v_fma_f64 v[54:55], -v[50:51], v[70:71], v[23:24]
	v_fma_f64 v[23:24], v[50:51], v[68:69], v[31:32]
	v_fma_f64 v[48:49], v[48:49], v[70:71], v[23:24]
	v_fma_f64 v[23:24], v[44:45], v[68:69], v[33:34]
	v_fma_f64 v[50:51], -v[46:47], v[70:71], v[23:24]
	v_fma_f64 v[23:24], v[46:47], v[68:69], v[35:36]
	v_fma_f64 v[35:36], v[44:45], v[70:71], v[23:24]
	global_load_dwordx4 v[23:26], v[37:38], off offset:112
	global_load_dwordx4 v[27:30], v[37:38], off offset:96
	global_load_dwordx4 v[31:34], v[37:38], off offset:80
	global_load_dwordx4 v[39:42], v[37:38], off offset:64
	s_waitcnt vmcnt(0)
	v_fma_f64 v[19:20], v[39:40], v[64:65], v[19:20]
	v_fma_f64 v[19:20], -v[41:42], v[66:67], v[19:20]
	v_fma_f64 v[41:42], v[41:42], v[64:65], v[72:73]
	v_fma_f64 v[44:45], v[39:40], v[66:67], v[41:42]
	v_fma_f64 v[39:40], v[31:32], v[64:65], v[74:75]
	v_fma_f64 v[46:47], -v[33:34], v[66:67], v[39:40]
	v_fma_f64 v[33:34], v[33:34], v[64:65], v[52:53]
	v_fma_f64 v[52:53], v[31:32], v[66:67], v[33:34]
	v_fma_f64 v[31:32], v[27:28], v[64:65], v[54:55]
	v_fma_f64 v[54:55], -v[29:30], v[66:67], v[31:32]
	v_fma_f64 v[29:30], v[29:30], v[64:65], v[48:49]
	v_fma_f64 v[48:49], v[27:28], v[66:67], v[29:30]
	v_fma_f64 v[27:28], v[23:24], v[64:65], v[50:51]
	v_fma_f64 v[50:51], -v[25:26], v[66:67], v[27:28]
	v_fma_f64 v[25:26], v[25:26], v[64:65], v[35:36]
	v_fma_f64 v[35:36], v[23:24], v[66:67], v[25:26]
	global_load_dwordx4 v[23:26], v[37:38], off offset:176
	global_load_dwordx4 v[27:30], v[37:38], off offset:160
	global_load_dwordx4 v[31:34], v[37:38], off offset:144
	global_load_dwordx4 v[39:42], v[37:38], off offset:128
	s_waitcnt vmcnt(0)
	v_fma_f64 v[19:20], v[39:40], v[60:61], v[19:20]
	v_fma_f64 v[19:20], -v[41:42], v[62:63], v[19:20]
	v_fma_f64 v[41:42], v[41:42], v[60:61], v[44:45]
	v_fma_f64 v[39:40], v[39:40], v[62:63], v[41:42]
	v_fma_f64 v[41:42], v[31:32], v[60:61], v[46:47]
	v_fma_f64 v[64:65], -v[33:34], v[62:63], v[41:42]
	v_fma_f64 v[33:34], v[33:34], v[60:61], v[52:53]
	v_fma_f64 v[52:53], v[31:32], v[62:63], v[33:34]
	v_fma_f64 v[31:32], v[27:28], v[60:61], v[54:55]
	v_fma_f64 v[54:55], -v[29:30], v[62:63], v[31:32]
	v_fma_f64 v[29:30], v[29:30], v[60:61], v[48:49]
	v_fma_f64 v[48:49], v[27:28], v[62:63], v[29:30]
	v_fma_f64 v[27:28], v[23:24], v[60:61], v[50:51]
	v_fma_f64 v[50:51], -v[25:26], v[62:63], v[27:28]
	v_fma_f64 v[25:26], v[25:26], v[60:61], v[35:36]
	v_fma_f64 v[60:61], v[23:24], v[62:63], v[25:26]
	global_load_dwordx4 v[23:26], v[37:38], off offset:240
	global_load_dwordx4 v[27:30], v[37:38], off offset:224
	global_load_dwordx4 v[31:34], v[37:38], off offset:208
	global_load_dwordx4 v[44:47], v[37:38], off offset:192
	s_waitcnt vmcnt(0)
	v_fma_f64 v[19:20], v[44:45], v[56:57], v[19:20]
	v_fma_f64 v[41:42], -v[46:47], v[58:59], v[19:20]
	v_fma_f64 v[19:20], v[46:47], v[56:57], v[39:40]
	v_fma_f64 v[39:40], v[44:45], v[58:59], v[19:20]
	v_fma_f64 v[19:20], v[31:32], v[56:57], v[64:65]
	v_fma_f64 v[37:38], -v[33:34], v[58:59], v[19:20]
	v_fma_f64 v[19:20], v[33:34], v[56:57], v[52:53]
	v_fma_f64 v[35:36], v[31:32], v[58:59], v[19:20]
	;; [unrolled: 1-line block ×3, first 2 shown]
	v_fma_f64 v[33:34], -v[29:30], v[58:59], v[19:20]
	v_fma_f64 v[19:20], v[29:30], v[56:57], v[48:49]
	v_fma_f64 v[29:30], v[27:28], v[58:59], v[19:20]
	;; [unrolled: 1-line block ×3, first 2 shown]
	v_fma_f64 v[31:32], -v[25:26], v[58:59], v[19:20]
	v_fma_f64 v[19:20], v[25:26], v[56:57], v[60:61]
	v_fma_f64 v[27:28], v[23:24], v[58:59], v[19:20]
	s_andn2_b64 exec, exec, s[10:11]
	s_cbranch_execnz .LBB59_33
; %bb.34:
	s_or_b64 exec, exec, s[10:11]
.LBB59_35:
	s_or_b64 exec, exec, s[6:7]
.LBB59_36:
	s_or_b64 exec, exec, s[2:3]
.LBB59_37:
	v_mov_b32_dpp v9, v41 row_shr:1 row_mask:0xf bank_mask:0xf
	v_mov_b32_dpp v10, v42 row_shr:1 row_mask:0xf bank_mask:0xf
	v_add_f64 v[9:10], v[41:42], v[9:10]
	v_mov_b32_dpp v11, v39 row_shr:1 row_mask:0xf bank_mask:0xf
	v_mov_b32_dpp v12, v40 row_shr:1 row_mask:0xf bank_mask:0xf
	v_add_f64 v[11:12], v[39:40], v[11:12]
	v_mov_b32_dpp v15, v35 row_shr:1 row_mask:0xf bank_mask:0xf
	v_cmp_eq_u32_e32 vcc, 63, v0
	v_mov_b32_dpp v13, v9 row_shr:2 row_mask:0xf bank_mask:0xf
	v_mov_b32_dpp v14, v10 row_shr:2 row_mask:0xf bank_mask:0xf
	v_add_f64 v[9:10], v[9:10], v[13:14]
	v_mov_b32_dpp v13, v11 row_shr:2 row_mask:0xf bank_mask:0xf
	v_mov_b32_dpp v14, v12 row_shr:2 row_mask:0xf bank_mask:0xf
	v_add_f64 v[11:12], v[11:12], v[13:14]
	;; [unrolled: 3-line block ×3, first 2 shown]
	v_mov_b32_dpp v37, v29 row_shr:1 row_mask:0xf bank_mask:0xf
	v_mov_b32_dpp v16, v9 row_shr:4 row_mask:0xf bank_mask:0xe
	;; [unrolled: 1-line block ×3, first 2 shown]
	v_add_f64 v[9:10], v[9:10], v[16:17]
	v_mov_b32_dpp v16, v11 row_shr:4 row_mask:0xf bank_mask:0xe
	v_mov_b32_dpp v17, v12 row_shr:4 row_mask:0xf bank_mask:0xe
	v_add_f64 v[11:12], v[11:12], v[16:17]
	v_mov_b32_dpp v16, v36 row_shr:1 row_mask:0xf bank_mask:0xf
	v_add_f64 v[15:16], v[35:36], v[15:16]
	v_mov_b32_dpp v17, v13 row_shr:2 row_mask:0xf bank_mask:0xf
	v_mov_b32_dpp v18, v14 row_shr:2 row_mask:0xf bank_mask:0xf
	;; [unrolled: 1-line block ×4, first 2 shown]
	v_add_f64 v[9:10], v[9:10], v[19:20]
	v_add_f64 v[13:14], v[13:14], v[17:18]
	v_mov_b32_dpp v19, v11 row_shr:8 row_mask:0xf bank_mask:0xc
	v_mov_b32_dpp v17, v15 row_shr:2 row_mask:0xf bank_mask:0xf
	;; [unrolled: 1-line block ×3, first 2 shown]
	v_add_f64 v[15:16], v[15:16], v[17:18]
	v_mov_b32_dpp v20, v12 row_shr:8 row_mask:0xf bank_mask:0xc
	v_add_f64 v[11:12], v[11:12], v[19:20]
	v_mov_b32_dpp v17, v9 row_bcast:15 row_mask:0xa bank_mask:0xf
	v_mov_b32_dpp v18, v10 row_bcast:15 row_mask:0xa bank_mask:0xf
	v_add_f64 v[9:10], v[9:10], v[17:18]
	v_mov_b32_dpp v19, v14 row_shr:4 row_mask:0xf bank_mask:0xe
	v_mov_b32_dpp v18, v13 row_shr:4 row_mask:0xf bank_mask:0xe
	v_add_f64 v[13:14], v[13:14], v[18:19]
	v_mov_b32_dpp v19, v16 row_shr:4 row_mask:0xf bank_mask:0xe
	v_mov_b32_dpp v18, v15 row_shr:4 row_mask:0xf bank_mask:0xe
	;; [unrolled: 3-line block ×3, first 2 shown]
	v_add_f64 v[19:20], v[33:34], v[18:19]
	v_mov_b32_dpp v17, v11 row_bcast:15 row_mask:0xa bank_mask:0xf
	v_mov_b32_dpp v23, v13 row_shr:8 row_mask:0xf bank_mask:0xc
	v_mov_b32_dpp v24, v14 row_shr:8 row_mask:0xf bank_mask:0xc
	v_add_f64 v[13:14], v[13:14], v[23:24]
	v_mov_b32_dpp v23, v15 row_shr:8 row_mask:0xf bank_mask:0xc
	v_mov_b32_dpp v24, v16 row_shr:8 row_mask:0xf bank_mask:0xc
	v_add_f64 v[15:16], v[15:16], v[23:24]
	;; [unrolled: 3-line block ×3, first 2 shown]
	v_mov_b32_dpp v18, v12 row_bcast:15 row_mask:0xa bank_mask:0xf
	v_add_f64 v[11:12], v[11:12], v[17:18]
	v_mov_b32_dpp v17, v13 row_bcast:15 row_mask:0xa bank_mask:0xf
	v_mov_b32_dpp v18, v14 row_bcast:15 row_mask:0xa bank_mask:0xf
	v_add_f64 v[13:14], v[13:14], v[17:18]
	v_mov_b32_dpp v17, v15 row_bcast:15 row_mask:0xa bank_mask:0xf
	v_mov_b32_dpp v18, v16 row_bcast:15 row_mask:0xa bank_mask:0xf
	v_add_f64 v[15:16], v[15:16], v[17:18]
	v_mov_b32_dpp v17, v19 row_shr:4 row_mask:0xf bank_mask:0xe
	v_mov_b32_dpp v18, v20 row_shr:4 row_mask:0xf bank_mask:0xe
	v_add_f64 v[33:34], v[19:20], v[17:18]
	v_mov_b32_dpp v38, v30 row_shr:1 row_mask:0xf bank_mask:0xf
	v_add_f64 v[29:30], v[29:30], v[37:38]
	v_mov_b32_dpp v37, v31 row_shr:1 row_mask:0xf bank_mask:0xf
	v_mov_b32_dpp v38, v32 row_shr:1 row_mask:0xf bank_mask:0xf
	v_add_f64 v[31:32], v[31:32], v[37:38]
	v_mov_b32_dpp v37, v27 row_shr:1 row_mask:0xf bank_mask:0xf
	;; [unrolled: 3-line block ×6, first 2 shown]
	v_mov_b32_dpp v36, v28 row_shr:2 row_mask:0xf bank_mask:0xf
	v_add_f64 v[27:28], v[27:28], v[35:36]
	v_mov_b32_dpp v35, v33 row_bcast:15 row_mask:0xa bank_mask:0xf
	v_mov_b32_dpp v36, v29 row_shr:4 row_mask:0xf bank_mask:0xe
	v_mov_b32_dpp v37, v30 row_shr:4 row_mask:0xf bank_mask:0xe
	v_add_f64 v[29:30], v[29:30], v[36:37]
	v_mov_b32_dpp v36, v31 row_shr:4 row_mask:0xf bank_mask:0xe
	v_mov_b32_dpp v37, v32 row_shr:4 row_mask:0xf bank_mask:0xe
	v_add_f64 v[31:32], v[31:32], v[36:37]
	;; [unrolled: 3-line block ×3, first 2 shown]
	v_mov_b32_dpp v36, v34 row_bcast:15 row_mask:0xa bank_mask:0xf
	v_mov_b32_dpp v37, v29 row_shr:8 row_mask:0xf bank_mask:0xc
	v_mov_b32_dpp v38, v30 row_shr:8 row_mask:0xf bank_mask:0xc
	v_add_f64 v[29:30], v[29:30], v[37:38]
	v_mov_b32_dpp v37, v31 row_shr:8 row_mask:0xf bank_mask:0xc
	v_mov_b32_dpp v38, v32 row_shr:8 row_mask:0xf bank_mask:0xc
	v_add_f64 v[31:32], v[31:32], v[37:38]
	v_mov_b32_dpp v37, v27 row_shr:8 row_mask:0xf bank_mask:0xc
	v_mov_b32_dpp v38, v28 row_shr:8 row_mask:0xf bank_mask:0xc
	v_add_f64 v[37:38], v[27:28], v[37:38]
	v_add_f64 v[27:28], v[33:34], v[35:36]
	v_mov_b32_dpp v33, v29 row_bcast:15 row_mask:0xa bank_mask:0xf
	v_mov_b32_dpp v34, v30 row_bcast:15 row_mask:0xa bank_mask:0xf
	v_add_f64 v[29:30], v[29:30], v[33:34]
	v_mov_b32_dpp v33, v31 row_bcast:15 row_mask:0xa bank_mask:0xf
	v_mov_b32_dpp v34, v32 row_bcast:15 row_mask:0xa bank_mask:0xf
	;; [unrolled: 3-line block ×4, first 2 shown]
	v_mov_b32_dpp v23, v11 row_bcast:31 row_mask:0xc bank_mask:0xf
	v_mov_b32_dpp v24, v12 row_bcast:31 row_mask:0xc bank_mask:0xf
	;; [unrolled: 1-line block ×14, first 2 shown]
	s_and_b64 exec, exec, vcc
	s_cbranch_execz .LBB59_8
; %bb.38:
	v_add_f64 v[11:12], v[11:12], v[23:24]
	v_add_f64 v[23:24], v[13:14], v[19:20]
	v_add_f64 v[13:14], v[15:16], v[17:18]
	v_add_f64 v[15:16], v[29:30], v[39:40]
	v_add_f64 v[17:18], v[33:34], v[35:36]
	v_add_f64 v[9:10], v[9:10], v[25:26]
	v_add_f64 v[25:26], v[27:28], v[41:42]
	v_add_f64 v[27:28], v[31:32], v[37:38]
	v_mul_f64 v[19:20], v[11:12], -v[7:8]
	v_mul_f64 v[11:12], v[5:6], v[11:12]
	v_mul_f64 v[29:30], v[13:14], -v[7:8]
	v_mul_f64 v[31:32], v[5:6], v[13:14]
	;; [unrolled: 2-line block ×4, first 2 shown]
	v_cmp_eq_f64_e32 vcc, 0, v[1:2]
	v_cmp_eq_f64_e64 s[0:1], 0, v[3:4]
	v_fma_f64 v[17:18], v[5:6], v[9:10], v[19:20]
	v_fma_f64 v[19:20], v[7:8], v[9:10], v[11:12]
	;; [unrolled: 1-line block ×8, first 2 shown]
	s_load_dwordx2 s[2:3], s[4:5], 0x68
	v_lshlrev_b64 v[21:22], 6, v[21:22]
	s_and_b64 s[0:1], vcc, s[0:1]
	s_and_saveexec_b64 s[4:5], s[0:1]
	s_xor_b64 s[0:1], exec, s[4:5]
	s_cbranch_execz .LBB59_40
; %bb.39:
	s_waitcnt lgkmcnt(0)
	v_mov_b32_e32 v1, s3
	v_add_co_u32_e32 v0, vcc, s2, v21
	v_addc_co_u32_e32 v1, vcc, v1, v22, vcc
	global_store_dwordx4 v[0:1], v[17:20], off
	global_store_dwordx4 v[0:1], v[13:16], off offset:16
	global_store_dwordx4 v[0:1], v[9:12], off offset:32
	;; [unrolled: 1-line block ×3, first 2 shown]
                                        ; implicit-def: $vgpr3_vgpr4
                                        ; implicit-def: $vgpr17_vgpr18
                                        ; implicit-def: $vgpr21_vgpr22
                                        ; implicit-def: $vgpr13_vgpr14
                                        ; implicit-def: $vgpr9_vgpr10
                                        ; implicit-def: $vgpr5_vgpr6
.LBB59_40:
	s_andn2_saveexec_b64 s[0:1], s[0:1]
	s_cbranch_execz .LBB59_8
; %bb.41:
	s_waitcnt lgkmcnt(0)
	v_mov_b32_e32 v0, s3
	v_add_co_u32_e32 v37, vcc, s2, v21
	v_addc_co_u32_e32 v38, vcc, v0, v22, vcc
	global_load_dwordx4 v[21:24], v[37:38], off
	global_load_dwordx4 v[25:28], v[37:38], off offset:16
	global_load_dwordx4 v[29:32], v[37:38], off offset:32
	;; [unrolled: 1-line block ×3, first 2 shown]
	s_waitcnt vmcnt(3)
	v_fma_f64 v[17:18], v[1:2], v[21:22], v[17:18]
	v_fma_f64 v[19:20], v[3:4], v[21:22], v[19:20]
	s_waitcnt vmcnt(2)
	v_fma_f64 v[13:14], v[1:2], v[25:26], v[13:14]
	v_fma_f64 v[15:16], v[3:4], v[25:26], v[15:16]
	;; [unrolled: 3-line block ×4, first 2 shown]
	v_fma_f64 v[5:6], -v[3:4], v[23:24], v[17:18]
	v_fma_f64 v[7:8], v[1:2], v[23:24], v[19:20]
	v_fma_f64 v[9:10], -v[3:4], v[27:28], v[13:14]
	v_fma_f64 v[11:12], v[1:2], v[27:28], v[15:16]
	;; [unrolled: 2-line block ×4, first 2 shown]
	global_store_dwordx4 v[37:38], v[5:8], off
	global_store_dwordx4 v[37:38], v[9:12], off offset:16
	global_store_dwordx4 v[37:38], v[13:16], off offset:32
	;; [unrolled: 1-line block ×3, first 2 shown]
	s_endpgm
	.section	.rodata,"a",@progbits
	.p2align	6, 0x0
	.amdhsa_kernel _ZN9rocsparseL18bsrxmvn_4x4_kernelILj128ELj64E21rocsparse_complex_numIdEllS2_S2_S2_EEvT3_20rocsparse_direction_NS_24const_host_device_scalarIT1_EES3_PKS3_PKT2_SC_S9_PKT4_PKT5_S7_PT6_21rocsparse_index_base_b
		.amdhsa_group_segment_fixed_size 0
		.amdhsa_private_segment_fixed_size 0
		.amdhsa_kernarg_size 120
		.amdhsa_user_sgpr_count 6
		.amdhsa_user_sgpr_private_segment_buffer 1
		.amdhsa_user_sgpr_dispatch_ptr 0
		.amdhsa_user_sgpr_queue_ptr 0
		.amdhsa_user_sgpr_kernarg_segment_ptr 1
		.amdhsa_user_sgpr_dispatch_id 0
		.amdhsa_user_sgpr_flat_scratch_init 0
		.amdhsa_user_sgpr_private_segment_size 0
		.amdhsa_uses_dynamic_stack 0
		.amdhsa_system_sgpr_private_segment_wavefront_offset 0
		.amdhsa_system_sgpr_workgroup_id_x 1
		.amdhsa_system_sgpr_workgroup_id_y 0
		.amdhsa_system_sgpr_workgroup_id_z 0
		.amdhsa_system_sgpr_workgroup_info 0
		.amdhsa_system_vgpr_workitem_id 0
		.amdhsa_next_free_vgpr 90
		.amdhsa_next_free_sgpr 19
		.amdhsa_reserve_vcc 1
		.amdhsa_reserve_flat_scratch 0
		.amdhsa_float_round_mode_32 0
		.amdhsa_float_round_mode_16_64 0
		.amdhsa_float_denorm_mode_32 3
		.amdhsa_float_denorm_mode_16_64 3
		.amdhsa_dx10_clamp 1
		.amdhsa_ieee_mode 1
		.amdhsa_fp16_overflow 0
		.amdhsa_exception_fp_ieee_invalid_op 0
		.amdhsa_exception_fp_denorm_src 0
		.amdhsa_exception_fp_ieee_div_zero 0
		.amdhsa_exception_fp_ieee_overflow 0
		.amdhsa_exception_fp_ieee_underflow 0
		.amdhsa_exception_fp_ieee_inexact 0
		.amdhsa_exception_int_div_zero 0
	.end_amdhsa_kernel
	.section	.text._ZN9rocsparseL18bsrxmvn_4x4_kernelILj128ELj64E21rocsparse_complex_numIdEllS2_S2_S2_EEvT3_20rocsparse_direction_NS_24const_host_device_scalarIT1_EES3_PKS3_PKT2_SC_S9_PKT4_PKT5_S7_PT6_21rocsparse_index_base_b,"axG",@progbits,_ZN9rocsparseL18bsrxmvn_4x4_kernelILj128ELj64E21rocsparse_complex_numIdEllS2_S2_S2_EEvT3_20rocsparse_direction_NS_24const_host_device_scalarIT1_EES3_PKS3_PKT2_SC_S9_PKT4_PKT5_S7_PT6_21rocsparse_index_base_b,comdat
.Lfunc_end59:
	.size	_ZN9rocsparseL18bsrxmvn_4x4_kernelILj128ELj64E21rocsparse_complex_numIdEllS2_S2_S2_EEvT3_20rocsparse_direction_NS_24const_host_device_scalarIT1_EES3_PKS3_PKT2_SC_S9_PKT4_PKT5_S7_PT6_21rocsparse_index_base_b, .Lfunc_end59-_ZN9rocsparseL18bsrxmvn_4x4_kernelILj128ELj64E21rocsparse_complex_numIdEllS2_S2_S2_EEvT3_20rocsparse_direction_NS_24const_host_device_scalarIT1_EES3_PKS3_PKT2_SC_S9_PKT4_PKT5_S7_PT6_21rocsparse_index_base_b
                                        ; -- End function
	.set _ZN9rocsparseL18bsrxmvn_4x4_kernelILj128ELj64E21rocsparse_complex_numIdEllS2_S2_S2_EEvT3_20rocsparse_direction_NS_24const_host_device_scalarIT1_EES3_PKS3_PKT2_SC_S9_PKT4_PKT5_S7_PT6_21rocsparse_index_base_b.num_vgpr, 90
	.set _ZN9rocsparseL18bsrxmvn_4x4_kernelILj128ELj64E21rocsparse_complex_numIdEllS2_S2_S2_EEvT3_20rocsparse_direction_NS_24const_host_device_scalarIT1_EES3_PKS3_PKT2_SC_S9_PKT4_PKT5_S7_PT6_21rocsparse_index_base_b.num_agpr, 0
	.set _ZN9rocsparseL18bsrxmvn_4x4_kernelILj128ELj64E21rocsparse_complex_numIdEllS2_S2_S2_EEvT3_20rocsparse_direction_NS_24const_host_device_scalarIT1_EES3_PKS3_PKT2_SC_S9_PKT4_PKT5_S7_PT6_21rocsparse_index_base_b.numbered_sgpr, 19
	.set _ZN9rocsparseL18bsrxmvn_4x4_kernelILj128ELj64E21rocsparse_complex_numIdEllS2_S2_S2_EEvT3_20rocsparse_direction_NS_24const_host_device_scalarIT1_EES3_PKS3_PKT2_SC_S9_PKT4_PKT5_S7_PT6_21rocsparse_index_base_b.num_named_barrier, 0
	.set _ZN9rocsparseL18bsrxmvn_4x4_kernelILj128ELj64E21rocsparse_complex_numIdEllS2_S2_S2_EEvT3_20rocsparse_direction_NS_24const_host_device_scalarIT1_EES3_PKS3_PKT2_SC_S9_PKT4_PKT5_S7_PT6_21rocsparse_index_base_b.private_seg_size, 0
	.set _ZN9rocsparseL18bsrxmvn_4x4_kernelILj128ELj64E21rocsparse_complex_numIdEllS2_S2_S2_EEvT3_20rocsparse_direction_NS_24const_host_device_scalarIT1_EES3_PKS3_PKT2_SC_S9_PKT4_PKT5_S7_PT6_21rocsparse_index_base_b.uses_vcc, 1
	.set _ZN9rocsparseL18bsrxmvn_4x4_kernelILj128ELj64E21rocsparse_complex_numIdEllS2_S2_S2_EEvT3_20rocsparse_direction_NS_24const_host_device_scalarIT1_EES3_PKS3_PKT2_SC_S9_PKT4_PKT5_S7_PT6_21rocsparse_index_base_b.uses_flat_scratch, 0
	.set _ZN9rocsparseL18bsrxmvn_4x4_kernelILj128ELj64E21rocsparse_complex_numIdEllS2_S2_S2_EEvT3_20rocsparse_direction_NS_24const_host_device_scalarIT1_EES3_PKS3_PKT2_SC_S9_PKT4_PKT5_S7_PT6_21rocsparse_index_base_b.has_dyn_sized_stack, 0
	.set _ZN9rocsparseL18bsrxmvn_4x4_kernelILj128ELj64E21rocsparse_complex_numIdEllS2_S2_S2_EEvT3_20rocsparse_direction_NS_24const_host_device_scalarIT1_EES3_PKS3_PKT2_SC_S9_PKT4_PKT5_S7_PT6_21rocsparse_index_base_b.has_recursion, 0
	.set _ZN9rocsparseL18bsrxmvn_4x4_kernelILj128ELj64E21rocsparse_complex_numIdEllS2_S2_S2_EEvT3_20rocsparse_direction_NS_24const_host_device_scalarIT1_EES3_PKS3_PKT2_SC_S9_PKT4_PKT5_S7_PT6_21rocsparse_index_base_b.has_indirect_call, 0
	.section	.AMDGPU.csdata,"",@progbits
; Kernel info:
; codeLenInByte = 10636
; TotalNumSgprs: 23
; NumVgprs: 90
; ScratchSize: 0
; MemoryBound: 1
; FloatMode: 240
; IeeeMode: 1
; LDSByteSize: 0 bytes/workgroup (compile time only)
; SGPRBlocks: 2
; VGPRBlocks: 22
; NumSGPRsForWavesPerEU: 23
; NumVGPRsForWavesPerEU: 90
; Occupancy: 2
; WaveLimiterHint : 1
; COMPUTE_PGM_RSRC2:SCRATCH_EN: 0
; COMPUTE_PGM_RSRC2:USER_SGPR: 6
; COMPUTE_PGM_RSRC2:TRAP_HANDLER: 0
; COMPUTE_PGM_RSRC2:TGID_X_EN: 1
; COMPUTE_PGM_RSRC2:TGID_Y_EN: 0
; COMPUTE_PGM_RSRC2:TGID_Z_EN: 0
; COMPUTE_PGM_RSRC2:TIDIG_COMP_CNT: 0
	.section	.text._ZN9rocsparseL18bsrxmvn_4x4_kernelILj128ELj4EiiiaaiEEvT3_20rocsparse_direction_NS_24const_host_device_scalarIT1_EES1_PKS1_PKT2_SA_S7_PKT4_PKT5_S5_PT6_21rocsparse_index_base_b,"axG",@progbits,_ZN9rocsparseL18bsrxmvn_4x4_kernelILj128ELj4EiiiaaiEEvT3_20rocsparse_direction_NS_24const_host_device_scalarIT1_EES1_PKS1_PKT2_SA_S7_PKT4_PKT5_S5_PT6_21rocsparse_index_base_b,comdat
	.globl	_ZN9rocsparseL18bsrxmvn_4x4_kernelILj128ELj4EiiiaaiEEvT3_20rocsparse_direction_NS_24const_host_device_scalarIT1_EES1_PKS1_PKT2_SA_S7_PKT4_PKT5_S5_PT6_21rocsparse_index_base_b ; -- Begin function _ZN9rocsparseL18bsrxmvn_4x4_kernelILj128ELj4EiiiaaiEEvT3_20rocsparse_direction_NS_24const_host_device_scalarIT1_EES1_PKS1_PKT2_SA_S7_PKT4_PKT5_S5_PT6_21rocsparse_index_base_b
	.p2align	8
	.type	_ZN9rocsparseL18bsrxmvn_4x4_kernelILj128ELj4EiiiaaiEEvT3_20rocsparse_direction_NS_24const_host_device_scalarIT1_EES1_PKS1_PKT2_SA_S7_PKT4_PKT5_S5_PT6_21rocsparse_index_base_b,@function
_ZN9rocsparseL18bsrxmvn_4x4_kernelILj128ELj4EiiiaaiEEvT3_20rocsparse_direction_NS_24const_host_device_scalarIT1_EES1_PKS1_PKT2_SA_S7_PKT4_PKT5_S5_PT6_21rocsparse_index_base_b: ; @_ZN9rocsparseL18bsrxmvn_4x4_kernelILj128ELj4EiiiaaiEEvT3_20rocsparse_direction_NS_24const_host_device_scalarIT1_EES1_PKS1_PKT2_SA_S7_PKT4_PKT5_S5_PT6_21rocsparse_index_base_b
; %bb.0:
	s_load_dwordx2 s[16:17], s[4:5], 0x58
	s_load_dwordx2 s[8:9], s[4:5], 0x8
	s_mov_b64 s[10:11], -1
	s_waitcnt lgkmcnt(0)
	s_bitcmp1_b32 s17, 0
	s_cselect_b64 s[0:1], -1, 0
	s_xor_b64 s[2:3], s[0:1], -1
	s_and_b64 vcc, exec, s[2:3]
                                        ; implicit-def: $sgpr17
	s_cbranch_vccnz .LBB60_4
; %bb.1:
	s_load_dwordx2 s[0:1], s[4:5], 0x48
	s_andn2_b64 vcc, exec, s[10:11]
	s_cbranch_vccz .LBB60_5
.LBB60_2:
	s_and_b64 vcc, exec, s[2:3]
	s_cbranch_vccz .LBB60_6
.LBB60_3:
	s_waitcnt lgkmcnt(0)
	s_load_dword s22, s[0:1], 0x0
	s_cbranch_execz .LBB60_7
	s_branch .LBB60_8
.LBB60_4:
	s_load_dword s17, s[8:9], 0x0
	s_load_dwordx2 s[0:1], s[4:5], 0x48
	s_cbranch_execnz .LBB60_2
.LBB60_5:
	s_waitcnt lgkmcnt(0)
	s_mov_b32 s17, s8
	s_and_b64 vcc, exec, s[2:3]
	s_cbranch_vccnz .LBB60_3
.LBB60_6:
                                        ; implicit-def: $sgpr22
.LBB60_7:
	s_waitcnt lgkmcnt(0)
	s_mov_b32 s22, s0
.LBB60_8:
	s_waitcnt lgkmcnt(0)
	s_cmp_lg_u32 s17, 0
	s_cselect_b64 s[0:1], -1, 0
	s_cmp_lg_u32 s22, 1
	s_cselect_b64 s[2:3], -1, 0
	s_or_b64 s[0:1], s[0:1], s[2:3]
	s_andn2_b64 vcc, exec, s[0:1]
	s_cbranch_vccnz .LBB60_14
; %bb.9:
	s_load_dwordx2 s[8:9], s[4:5], 0x18
	s_load_dwordx2 s[0:1], s[4:5], 0x0
	v_lshrrev_b32_e32 v1, 2, v0
	v_lshl_or_b32 v3, s6, 5, v1
	s_mov_b64 s[2:3], 0
	s_waitcnt lgkmcnt(0)
	s_cmp_lg_u64 s[8:9], 0
	s_cbranch_scc0 .LBB60_15
; %bb.10:
	s_load_dword s6, s[4:5], 0x10
                                        ; implicit-def: $vgpr1
	s_waitcnt lgkmcnt(0)
	v_cmp_gt_i32_e32 vcc, s6, v3
	s_and_saveexec_b64 s[6:7], vcc
	s_xor_b64 s[6:7], exec, s[6:7]
	s_cbranch_execz .LBB60_12
; %bb.11:
	v_ashrrev_i32_e32 v4, 31, v3
	v_lshlrev_b64 v[1:2], 2, v[3:4]
	v_mov_b32_e32 v4, s9
	v_add_co_u32_e32 v1, vcc, s8, v1
	v_addc_co_u32_e32 v2, vcc, v4, v2, vcc
	global_load_dword v1, v[1:2], off
	s_mov_b64 s[2:3], exec
	s_waitcnt vmcnt(0)
	v_subrev_u32_e32 v1, s16, v1
.LBB60_12:
	s_or_b64 exec, exec, s[6:7]
	s_branch .LBB60_16
.LBB60_13:
	v_cmp_gt_i32_e32 vcc, s0, v3
	s_andn2_b64 s[2:3], s[2:3], exec
	s_and_b64 s[6:7], vcc, exec
	s_or_b64 s[2:3], s[2:3], s[6:7]
	s_and_saveexec_b64 s[6:7], s[2:3]
	s_cbranch_execnz .LBB60_17
.LBB60_14:
	s_endpgm
.LBB60_15:
                                        ; implicit-def: $vgpr1
	s_cbranch_execnz .LBB60_13
.LBB60_16:
	v_mov_b32_e32 v3, v1
	s_and_saveexec_b64 s[6:7], s[2:3]
	s_cbranch_execz .LBB60_14
.LBB60_17:
	s_load_dwordx8 s[8:15], s[4:5], 0x20
	v_ashrrev_i32_e32 v4, 31, v3
	v_lshlrev_b64 v[1:2], 2, v[3:4]
	v_and_b32_e32 v8, 3, v0
	s_waitcnt lgkmcnt(0)
	v_mov_b32_e32 v5, s9
	v_add_co_u32_e32 v4, vcc, s8, v1
	v_addc_co_u32_e32 v5, vcc, v5, v2, vcc
	global_load_dword v14, v[4:5], off
	v_add_co_u32_e32 v4, vcc, 4, v4
	v_addc_co_u32_e32 v5, vcc, 0, v5, vcc
	v_mov_b32_e32 v6, s11
	v_add_co_u32_e32 v1, vcc, s10, v1
	s_cmp_eq_u64 s[10:11], 0
	v_addc_co_u32_e32 v2, vcc, v6, v2, vcc
	s_cselect_b64 vcc, -1, 0
	v_cndmask_b32_e32 v2, v2, v5, vcc
	v_cndmask_b32_e32 v1, v1, v4, vcc
	global_load_dword v1, v[1:2], off
	s_load_dwordx2 s[10:11], s[4:5], 0x40
	v_mov_b32_e32 v5, s15
	s_cmp_eq_u32 s1, 1
	s_waitcnt vmcnt(1)
	v_subrev_u32_e32 v0, s16, v14
	v_add_u32_e32 v0, v0, v8
	s_waitcnt vmcnt(0)
	v_subrev_u32_e32 v9, s16, v1
	v_ashrrev_i32_e32 v1, 31, v0
	v_lshlrev_b64 v[1:2], 4, v[0:1]
	v_cmp_lt_i32_e64 s[0:1], v0, v9
	v_add_co_u32_e32 v4, vcc, s14, v1
	v_addc_co_u32_e32 v5, vcc, v5, v2, vcc
	s_cbranch_scc1 .LBB60_29
; %bb.18:
	v_mov_b32_e32 v11, 0
	v_mov_b32_e32 v12, 0
	;; [unrolled: 1-line block ×4, first 2 shown]
	s_and_saveexec_b64 s[14:15], s[0:1]
	s_cbranch_execz .LBB60_28
; %bb.19:
	v_add_u32_e32 v1, v14, v8
	v_subrev_u32_e32 v1, s16, v1
	v_add_u32_e32 v1, 4, v1
	v_max_i32_e32 v1, v1, v9
	v_not_b32_e32 v2, v14
	v_add3_u32 v1, s16, v1, v2
	v_sub_u32_e32 v15, v1, v8
	v_and_b32_e32 v1, 12, v15
	v_mov_b32_e32 v10, 0
	v_mov_b32_e32 v7, v5
	v_cmp_ne_u32_e32 vcc, 12, v1
	v_mov_b32_e32 v13, v10
	v_mov_b32_e32 v12, v10
	;; [unrolled: 1-line block ×5, first 2 shown]
	s_and_saveexec_b64 s[2:3], vcc
	s_cbranch_execz .LBB60_23
; %bb.20:
	v_lshrrev_b32_e32 v1, 2, v15
	v_add_u32_e32 v1, 1, v1
	v_and_b32_e32 v1, 3, v1
	v_mov_b32_e32 v7, v5
	v_sub_u32_e32 v16, 0, v1
	s_mov_b64 s[6:7], 0
	v_mov_b32_e32 v17, s13
	s_waitcnt lgkmcnt(0)
	v_mov_b32_e32 v18, s11
	v_mov_b32_e32 v6, v4
	;; [unrolled: 1-line block ×6, first 2 shown]
.LBB60_21:                              ; =>This Inner Loop Header: Depth=1
	v_ashrrev_i32_e32 v2, 31, v1
	v_lshlrev_b64 v[19:20], 2, v[1:2]
	v_add_u32_e32 v1, 4, v1
	v_add_co_u32_e32 v23, vcc, s12, v19
	v_addc_co_u32_e32 v24, vcc, v17, v20, vcc
	global_load_dword v2, v[23:24], off
	global_load_dwordx4 v[19:22], v[6:7], off
	s_waitcnt vmcnt(1)
	v_subrev_u32_e32 v2, s16, v2
	v_lshlrev_b32_e32 v2, 2, v2
	v_ashrrev_i32_e32 v24, 31, v2
	v_add_co_u32_e32 v23, vcc, s10, v2
	v_addc_co_u32_e32 v24, vcc, v18, v24, vcc
	global_load_dword v2, v[23:24], off
	v_add_co_u32_e32 v6, vcc, 64, v6
	v_addc_co_u32_e32 v7, vcc, 0, v7, vcc
	v_add_co_u32_e32 v16, vcc, 1, v16
	s_or_b64 s[6:7], vcc, s[6:7]
	s_waitcnt vmcnt(0)
	v_dot4_i32_i8 v11, v2, v22, v11
	v_dot4_i32_i8 v12, v2, v21, v12
	;; [unrolled: 1-line block ×4, first 2 shown]
	s_andn2_b64 exec, exec, s[6:7]
	s_cbranch_execnz .LBB60_21
; %bb.22:
	s_or_b64 exec, exec, s[6:7]
.LBB60_23:
	s_or_b64 exec, exec, s[2:3]
	v_cmp_lt_u32_e32 vcc, 11, v15
	s_and_saveexec_b64 s[18:19], vcc
	s_cbranch_execz .LBB60_27
; %bb.24:
	s_mov_b64 s[20:21], 0
	v_mov_b32_e32 v15, s13
	s_waitcnt lgkmcnt(0)
	v_mov_b32_e32 v16, s11
.LBB60_25:                              ; =>This Inner Loop Header: Depth=1
	v_ashrrev_i32_e32 v2, 31, v1
	v_lshlrev_b64 v[17:18], 2, v[1:2]
	v_add_u32_e32 v1, 16, v1
	v_add_co_u32_e32 v33, vcc, s12, v17
	v_addc_co_u32_e32 v34, vcc, v15, v18, vcc
	global_load_dword v2, v[33:34], off
	global_load_dword v35, v[33:34], off offset:16
	global_load_dword v36, v[33:34], off offset:32
	;; [unrolled: 1-line block ×3, first 2 shown]
	global_load_dwordx4 v[17:20], v[6:7], off
	global_load_dwordx4 v[21:24], v[6:7], off offset:64
	global_load_dwordx4 v[25:28], v[6:7], off offset:128
	;; [unrolled: 1-line block ×3, first 2 shown]
	s_waitcnt vmcnt(7)
	v_subrev_u32_e32 v2, s16, v2
	s_waitcnt vmcnt(6)
	v_subrev_u32_e32 v33, s16, v35
	;; [unrolled: 2-line block ×4, first 2 shown]
	v_lshlrev_b32_e32 v2, 2, v2
	v_lshlrev_b32_e32 v33, 2, v33
	;; [unrolled: 1-line block ×4, first 2 shown]
	v_ashrrev_i32_e32 v38, 31, v2
	v_add_co_u32_e64 v39, s[8:9], s10, v2
	v_ashrrev_i32_e32 v41, 31, v33
	v_add_co_u32_e32 v33, vcc, s10, v33
	v_ashrrev_i32_e32 v42, 31, v34
	v_add_co_u32_e64 v35, s[2:3], s10, v34
	v_ashrrev_i32_e32 v43, 31, v36
	v_add_co_u32_e64 v37, s[6:7], s10, v36
	v_addc_co_u32_e64 v40, s[8:9], v16, v38, s[8:9]
	v_addc_co_u32_e32 v34, vcc, v16, v41, vcc
	v_addc_co_u32_e64 v36, vcc, v16, v42, s[2:3]
	v_addc_co_u32_e64 v38, vcc, v16, v43, s[6:7]
	global_load_dword v2, v[39:40], off
	global_load_dword v41, v[33:34], off
	;; [unrolled: 1-line block ×4, first 2 shown]
	v_add_co_u32_e32 v6, vcc, 0x100, v6
	v_addc_co_u32_e32 v7, vcc, 0, v7, vcc
	v_cmp_ge_i32_e32 vcc, v1, v9
	s_or_b64 s[20:21], vcc, s[20:21]
	s_waitcnt vmcnt(3)
	v_dot4_i32_i8 v10, v2, v17, v10
	v_dot4_i32_i8 v13, v2, v18, v13
	v_dot4_i32_i8 v12, v2, v19, v12
	v_dot4_i32_i8 v2, v2, v20, v11
	s_waitcnt vmcnt(2)
	v_dot4_i32_i8 v2, v41, v24, v2
	v_dot4_i32_i8 v11, v41, v23, v12
	v_dot4_i32_i8 v12, v41, v22, v13
	v_dot4_i32_i8 v10, v41, v21, v10
	;; [unrolled: 5-line block ×4, first 2 shown]
	s_andn2_b64 exec, exec, s[20:21]
	s_cbranch_execnz .LBB60_25
; %bb.26:
	s_or_b64 exec, exec, s[20:21]
.LBB60_27:
	s_or_b64 exec, exec, s[18:19]
.LBB60_28:
	s_or_b64 exec, exec, s[14:15]
	s_cbranch_execz .LBB60_30
	s_branch .LBB60_41
.LBB60_29:
                                        ; implicit-def: $vgpr11
                                        ; implicit-def: $vgpr10
                                        ; implicit-def: $vgpr13
                                        ; implicit-def: $vgpr12
.LBB60_30:
	v_mov_b32_e32 v11, 0
	v_mov_b32_e32 v12, 0
	;; [unrolled: 1-line block ×4, first 2 shown]
	s_and_saveexec_b64 s[8:9], s[0:1]
	s_cbranch_execz .LBB60_40
; %bb.31:
	v_add_u32_e32 v1, v14, v8
	v_subrev_u32_e32 v1, s16, v1
	v_add_u32_e32 v1, 4, v1
	v_max_i32_e32 v1, v1, v9
	v_not_b32_e32 v2, v14
	v_add3_u32 v1, s16, v1, v2
	v_sub_u32_e32 v2, v1, v8
	v_and_b32_e32 v1, 12, v2
	v_mov_b32_e32 v10, 0
	v_cmp_ne_u32_e32 vcc, 12, v1
	v_mov_b32_e32 v13, v10
	v_mov_b32_e32 v12, v10
	;; [unrolled: 1-line block ×3, first 2 shown]
	s_and_saveexec_b64 s[0:1], vcc
	s_cbranch_execz .LBB60_35
; %bb.32:
	v_lshrrev_b32_e32 v1, 2, v2
	v_add_u32_e32 v1, 1, v1
	v_and_b32_e32 v1, 3, v1
	v_sub_u32_e32 v6, 0, v1
	s_mov_b64 s[2:3], 0
	v_mov_b32_e32 v7, s13
	s_waitcnt lgkmcnt(0)
	v_mov_b32_e32 v14, s11
	s_mov_b32 s6, 0xc0c0703
	s_mov_b32 s7, 0x7030c0c
	;; [unrolled: 1-line block ×8, first 2 shown]
	v_mov_b32_e32 v13, 0
	v_mov_b32_e32 v12, 0
	v_mov_b32_e32 v11, 0
.LBB60_33:                              ; =>This Inner Loop Header: Depth=1
	v_ashrrev_i32_e32 v1, 31, v0
	v_lshlrev_b64 v[15:16], 2, v[0:1]
	v_add_u32_e32 v0, 4, v0
	v_add_co_u32_e32 v19, vcc, s12, v15
	v_addc_co_u32_e32 v20, vcc, v7, v16, vcc
	global_load_dword v1, v[19:20], off
	global_load_dwordx4 v[15:18], v[4:5], off
	s_waitcnt vmcnt(1)
	v_subrev_u32_e32 v1, s16, v1
	v_lshlrev_b32_e32 v1, 2, v1
	v_ashrrev_i32_e32 v20, 31, v1
	v_add_co_u32_e32 v19, vcc, s10, v1
	v_addc_co_u32_e32 v20, vcc, v14, v20, vcc
	global_load_dword v1, v[19:20], off
	v_add_co_u32_e32 v4, vcc, 64, v4
	v_addc_co_u32_e32 v5, vcc, 0, v5, vcc
	s_waitcnt vmcnt(1)
	v_perm_b32 v19, v16, v15, s6
	v_perm_b32 v20, v18, v17, s7
	;; [unrolled: 1-line block ×8, first 2 shown]
	v_add_co_u32_e32 v6, vcc, 1, v6
	v_or_b32_e32 v17, v20, v19
	v_or_b32_e32 v18, v22, v21
	;; [unrolled: 1-line block ×4, first 2 shown]
	s_or_b64 s[2:3], vcc, s[2:3]
	s_waitcnt vmcnt(0)
	v_dot4_i32_i8 v11, v1, v17, v11
	v_dot4_i32_i8 v12, v1, v18, v12
	;; [unrolled: 1-line block ×4, first 2 shown]
	s_andn2_b64 exec, exec, s[2:3]
	s_cbranch_execnz .LBB60_33
; %bb.34:
	s_or_b64 exec, exec, s[2:3]
.LBB60_35:
	s_or_b64 exec, exec, s[0:1]
	v_cmp_lt_u32_e32 vcc, 11, v2
	s_and_saveexec_b64 s[14:15], vcc
	s_cbranch_execz .LBB60_39
; %bb.36:
	s_mov_b64 s[18:19], 0
	v_mov_b32_e32 v2, s13
	s_waitcnt lgkmcnt(0)
	v_mov_b32_e32 v6, s11
	s_mov_b32 s11, 0xc0c0400
	s_mov_b32 s13, 0x4000c0c
	;; [unrolled: 1-line block ×8, first 2 shown]
.LBB60_37:                              ; =>This Inner Loop Header: Depth=1
	v_ashrrev_i32_e32 v1, 31, v0
	v_lshlrev_b64 v[14:15], 2, v[0:1]
	v_add_u32_e32 v0, 16, v0
	v_add_co_u32_e32 v30, vcc, s12, v14
	v_addc_co_u32_e32 v31, vcc, v2, v15, vcc
	global_load_dword v1, v[30:31], off
	global_load_dword v7, v[30:31], off offset:16
	global_load_dword v32, v[30:31], off offset:32
	;; [unrolled: 1-line block ×3, first 2 shown]
	global_load_dwordx4 v[14:17], v[4:5], off
	global_load_dwordx4 v[18:21], v[4:5], off offset:64
	global_load_dwordx4 v[22:25], v[4:5], off offset:128
	;; [unrolled: 1-line block ×3, first 2 shown]
	s_waitcnt vmcnt(7)
	v_subrev_u32_e32 v1, s16, v1
	s_waitcnt vmcnt(6)
	v_subrev_u32_e32 v7, s16, v7
	;; [unrolled: 2-line block ×4, first 2 shown]
	v_lshlrev_b32_e32 v1, 2, v1
	v_lshlrev_b32_e32 v7, 2, v7
	;; [unrolled: 1-line block ×4, first 2 shown]
	v_ashrrev_i32_e32 v33, 31, v1
	v_add_co_u32_e64 v36, s[6:7], s10, v1
	v_ashrrev_i32_e32 v35, 31, v7
	v_add_co_u32_e32 v30, vcc, s10, v7
	v_ashrrev_i32_e32 v7, 31, v32
	v_add_co_u32_e64 v32, s[0:1], s10, v32
	v_ashrrev_i32_e32 v38, 31, v31
	v_add_co_u32_e64 v34, s[2:3], s10, v31
	v_addc_co_u32_e64 v37, s[6:7], v6, v33, s[6:7]
	v_addc_co_u32_e32 v31, vcc, v6, v35, vcc
	v_addc_co_u32_e64 v33, vcc, v6, v7, s[0:1]
	v_addc_co_u32_e64 v35, vcc, v6, v38, s[2:3]
	global_load_dword v1, v[36:37], off
	global_load_dword v7, v[30:31], off
	;; [unrolled: 1-line block ×4, first 2 shown]
	s_waitcnt vmcnt(7)
	v_perm_b32 v30, v15, v14, s11
	v_perm_b32 v31, v17, v16, s13
	v_perm_b32 v32, v15, v14, s20
	v_perm_b32 v33, v17, v16, s21
	v_perm_b32 v34, v15, v14, s23
	v_perm_b32 v35, v17, v16, s24
	v_perm_b32 v14, v15, v14, s25
	v_perm_b32 v15, v17, v16, s26
	s_waitcnt vmcnt(6)
	v_perm_b32 v16, v19, v18, s25
	v_perm_b32 v17, v21, v20, s26
	v_perm_b32 v36, v19, v18, s23
	v_perm_b32 v37, v21, v20, s24
	v_perm_b32 v40, v19, v18, s20
	v_perm_b32 v41, v21, v20, s21
	v_perm_b32 v18, v19, v18, s11
	v_perm_b32 v19, v21, v20, s13
	;; [unrolled: 9-line block ×4, first 2 shown]
	v_or_b32_e32 v28, v31, v30
	v_or_b32_e32 v29, v33, v32
	;; [unrolled: 1-line block ×4, first 2 shown]
	v_add_co_u32_e32 v4, vcc, 0x100, v4
	v_or_b32_e32 v15, v17, v16
	v_or_b32_e32 v16, v37, v36
	;; [unrolled: 1-line block ×4, first 2 shown]
	v_addc_co_u32_e32 v5, vcc, 0, v5, vcc
	v_or_b32_e32 v19, v21, v20
	v_or_b32_e32 v20, v43, v42
	;; [unrolled: 1-line block ×4, first 2 shown]
	v_cmp_ge_i32_e32 vcc, v0, v9
	v_or_b32_e32 v23, v25, v24
	v_or_b32_e32 v24, v47, v46
	;; [unrolled: 1-line block ×4, first 2 shown]
	s_or_b64 s[18:19], vcc, s[18:19]
	s_waitcnt vmcnt(3)
	v_dot4_i32_i8 v10, v1, v28, v10
	v_dot4_i32_i8 v13, v1, v29, v13
	v_dot4_i32_i8 v12, v1, v30, v12
	v_dot4_i32_i8 v1, v1, v14, v11
	s_waitcnt vmcnt(2)
	v_dot4_i32_i8 v1, v7, v15, v1
	v_dot4_i32_i8 v11, v7, v16, v12
	v_dot4_i32_i8 v12, v7, v17, v13
	v_dot4_i32_i8 v7, v7, v18, v10
	;; [unrolled: 5-line block ×4, first 2 shown]
	s_andn2_b64 exec, exec, s[18:19]
	s_cbranch_execnz .LBB60_37
; %bb.38:
	s_or_b64 exec, exec, s[18:19]
.LBB60_39:
	s_or_b64 exec, exec, s[14:15]
.LBB60_40:
	s_or_b64 exec, exec, s[8:9]
.LBB60_41:
	v_mov_b32_dpp v0, v10 row_shr:1 row_mask:0xf bank_mask:0xf
	v_mov_b32_dpp v2, v13 row_shr:1 row_mask:0xf bank_mask:0xf
	;; [unrolled: 1-line block ×4, first 2 shown]
	v_add_u32_e32 v0, v0, v10
	v_add_u32_e32 v2, v2, v13
	;; [unrolled: 1-line block ×4, first 2 shown]
	v_mov_b32_dpp v1, v0 row_shr:2 row_mask:0xf bank_mask:0xf
	v_mov_b32_dpp v4, v2 row_shr:2 row_mask:0xf bank_mask:0xf
	;; [unrolled: 1-line block ×4, first 2 shown]
	v_cmp_eq_u32_e32 vcc, 3, v8
	s_and_b64 exec, exec, vcc
	s_cbranch_execz .LBB60_14
; %bb.42:
	s_load_dwordx2 s[0:1], s[4:5], 0x50
	v_add_u32_e32 v0, v0, v1
	v_add_u32_e32 v1, v2, v4
	;; [unrolled: 1-line block ×4, first 2 shown]
	v_mul_lo_u32 v0, v0, s17
	v_mul_lo_u32 v1, v1, s17
	;; [unrolled: 1-line block ×4, first 2 shown]
	s_cmp_eq_u32 s22, 0
	v_lshlrev_b32_e32 v5, 2, v3
	s_cbranch_scc1 .LBB60_44
; %bb.43:
	v_ashrrev_i32_e32 v6, 31, v5
	v_lshlrev_b64 v[6:7], 2, v[5:6]
	s_waitcnt lgkmcnt(0)
	v_mov_b32_e32 v3, s1
	v_add_co_u32_e32 v14, vcc, s0, v6
	v_addc_co_u32_e32 v15, vcc, v3, v7, vcc
	global_load_dwordx4 v[6:9], v[14:15], off
	s_waitcnt vmcnt(0)
	v_mad_u64_u32 v[10:11], s[2:3], v6, s22, v[0:1]
	v_mad_u64_u32 v[16:17], s[2:3], v9, s22, v[4:5]
	;; [unrolled: 1-line block ×4, first 2 shown]
	v_mov_b32_e32 v13, v16
	global_store_dwordx4 v[14:15], v[10:13], off
	s_cbranch_execnz .LBB60_14
	s_branch .LBB60_45
.LBB60_44:
.LBB60_45:
	v_ashrrev_i32_e32 v6, 31, v5
	v_lshlrev_b64 v[5:6], 2, v[5:6]
	s_waitcnt lgkmcnt(0)
	v_mov_b32_e32 v3, s1
	v_add_co_u32_e32 v5, vcc, s0, v5
	v_addc_co_u32_e32 v6, vcc, v3, v6, vcc
	v_mov_b32_e32 v3, v4
	global_store_dwordx4 v[5:6], v[0:3], off
	s_endpgm
	.section	.rodata,"a",@progbits
	.p2align	6, 0x0
	.amdhsa_kernel _ZN9rocsparseL18bsrxmvn_4x4_kernelILj128ELj4EiiiaaiEEvT3_20rocsparse_direction_NS_24const_host_device_scalarIT1_EES1_PKS1_PKT2_SA_S7_PKT4_PKT5_S5_PT6_21rocsparse_index_base_b
		.amdhsa_group_segment_fixed_size 0
		.amdhsa_private_segment_fixed_size 0
		.amdhsa_kernarg_size 96
		.amdhsa_user_sgpr_count 6
		.amdhsa_user_sgpr_private_segment_buffer 1
		.amdhsa_user_sgpr_dispatch_ptr 0
		.amdhsa_user_sgpr_queue_ptr 0
		.amdhsa_user_sgpr_kernarg_segment_ptr 1
		.amdhsa_user_sgpr_dispatch_id 0
		.amdhsa_user_sgpr_flat_scratch_init 0
		.amdhsa_user_sgpr_private_segment_size 0
		.amdhsa_uses_dynamic_stack 0
		.amdhsa_system_sgpr_private_segment_wavefront_offset 0
		.amdhsa_system_sgpr_workgroup_id_x 1
		.amdhsa_system_sgpr_workgroup_id_y 0
		.amdhsa_system_sgpr_workgroup_id_z 0
		.amdhsa_system_sgpr_workgroup_info 0
		.amdhsa_system_vgpr_workitem_id 0
		.amdhsa_next_free_vgpr 50
		.amdhsa_next_free_sgpr 27
		.amdhsa_reserve_vcc 1
		.amdhsa_reserve_flat_scratch 0
		.amdhsa_float_round_mode_32 0
		.amdhsa_float_round_mode_16_64 0
		.amdhsa_float_denorm_mode_32 3
		.amdhsa_float_denorm_mode_16_64 3
		.amdhsa_dx10_clamp 1
		.amdhsa_ieee_mode 1
		.amdhsa_fp16_overflow 0
		.amdhsa_exception_fp_ieee_invalid_op 0
		.amdhsa_exception_fp_denorm_src 0
		.amdhsa_exception_fp_ieee_div_zero 0
		.amdhsa_exception_fp_ieee_overflow 0
		.amdhsa_exception_fp_ieee_underflow 0
		.amdhsa_exception_fp_ieee_inexact 0
		.amdhsa_exception_int_div_zero 0
	.end_amdhsa_kernel
	.section	.text._ZN9rocsparseL18bsrxmvn_4x4_kernelILj128ELj4EiiiaaiEEvT3_20rocsparse_direction_NS_24const_host_device_scalarIT1_EES1_PKS1_PKT2_SA_S7_PKT4_PKT5_S5_PT6_21rocsparse_index_base_b,"axG",@progbits,_ZN9rocsparseL18bsrxmvn_4x4_kernelILj128ELj4EiiiaaiEEvT3_20rocsparse_direction_NS_24const_host_device_scalarIT1_EES1_PKS1_PKT2_SA_S7_PKT4_PKT5_S5_PT6_21rocsparse_index_base_b,comdat
.Lfunc_end60:
	.size	_ZN9rocsparseL18bsrxmvn_4x4_kernelILj128ELj4EiiiaaiEEvT3_20rocsparse_direction_NS_24const_host_device_scalarIT1_EES1_PKS1_PKT2_SA_S7_PKT4_PKT5_S5_PT6_21rocsparse_index_base_b, .Lfunc_end60-_ZN9rocsparseL18bsrxmvn_4x4_kernelILj128ELj4EiiiaaiEEvT3_20rocsparse_direction_NS_24const_host_device_scalarIT1_EES1_PKS1_PKT2_SA_S7_PKT4_PKT5_S5_PT6_21rocsparse_index_base_b
                                        ; -- End function
	.set _ZN9rocsparseL18bsrxmvn_4x4_kernelILj128ELj4EiiiaaiEEvT3_20rocsparse_direction_NS_24const_host_device_scalarIT1_EES1_PKS1_PKT2_SA_S7_PKT4_PKT5_S5_PT6_21rocsparse_index_base_b.num_vgpr, 50
	.set _ZN9rocsparseL18bsrxmvn_4x4_kernelILj128ELj4EiiiaaiEEvT3_20rocsparse_direction_NS_24const_host_device_scalarIT1_EES1_PKS1_PKT2_SA_S7_PKT4_PKT5_S5_PT6_21rocsparse_index_base_b.num_agpr, 0
	.set _ZN9rocsparseL18bsrxmvn_4x4_kernelILj128ELj4EiiiaaiEEvT3_20rocsparse_direction_NS_24const_host_device_scalarIT1_EES1_PKS1_PKT2_SA_S7_PKT4_PKT5_S5_PT6_21rocsparse_index_base_b.numbered_sgpr, 27
	.set _ZN9rocsparseL18bsrxmvn_4x4_kernelILj128ELj4EiiiaaiEEvT3_20rocsparse_direction_NS_24const_host_device_scalarIT1_EES1_PKS1_PKT2_SA_S7_PKT4_PKT5_S5_PT6_21rocsparse_index_base_b.num_named_barrier, 0
	.set _ZN9rocsparseL18bsrxmvn_4x4_kernelILj128ELj4EiiiaaiEEvT3_20rocsparse_direction_NS_24const_host_device_scalarIT1_EES1_PKS1_PKT2_SA_S7_PKT4_PKT5_S5_PT6_21rocsparse_index_base_b.private_seg_size, 0
	.set _ZN9rocsparseL18bsrxmvn_4x4_kernelILj128ELj4EiiiaaiEEvT3_20rocsparse_direction_NS_24const_host_device_scalarIT1_EES1_PKS1_PKT2_SA_S7_PKT4_PKT5_S5_PT6_21rocsparse_index_base_b.uses_vcc, 1
	.set _ZN9rocsparseL18bsrxmvn_4x4_kernelILj128ELj4EiiiaaiEEvT3_20rocsparse_direction_NS_24const_host_device_scalarIT1_EES1_PKS1_PKT2_SA_S7_PKT4_PKT5_S5_PT6_21rocsparse_index_base_b.uses_flat_scratch, 0
	.set _ZN9rocsparseL18bsrxmvn_4x4_kernelILj128ELj4EiiiaaiEEvT3_20rocsparse_direction_NS_24const_host_device_scalarIT1_EES1_PKS1_PKT2_SA_S7_PKT4_PKT5_S5_PT6_21rocsparse_index_base_b.has_dyn_sized_stack, 0
	.set _ZN9rocsparseL18bsrxmvn_4x4_kernelILj128ELj4EiiiaaiEEvT3_20rocsparse_direction_NS_24const_host_device_scalarIT1_EES1_PKS1_PKT2_SA_S7_PKT4_PKT5_S5_PT6_21rocsparse_index_base_b.has_recursion, 0
	.set _ZN9rocsparseL18bsrxmvn_4x4_kernelILj128ELj4EiiiaaiEEvT3_20rocsparse_direction_NS_24const_host_device_scalarIT1_EES1_PKS1_PKT2_SA_S7_PKT4_PKT5_S5_PT6_21rocsparse_index_base_b.has_indirect_call, 0
	.section	.AMDGPU.csdata,"",@progbits
; Kernel info:
; codeLenInByte = 2816
; TotalNumSgprs: 31
; NumVgprs: 50
; ScratchSize: 0
; MemoryBound: 0
; FloatMode: 240
; IeeeMode: 1
; LDSByteSize: 0 bytes/workgroup (compile time only)
; SGPRBlocks: 3
; VGPRBlocks: 12
; NumSGPRsForWavesPerEU: 31
; NumVGPRsForWavesPerEU: 50
; Occupancy: 4
; WaveLimiterHint : 1
; COMPUTE_PGM_RSRC2:SCRATCH_EN: 0
; COMPUTE_PGM_RSRC2:USER_SGPR: 6
; COMPUTE_PGM_RSRC2:TRAP_HANDLER: 0
; COMPUTE_PGM_RSRC2:TGID_X_EN: 1
; COMPUTE_PGM_RSRC2:TGID_Y_EN: 0
; COMPUTE_PGM_RSRC2:TGID_Z_EN: 0
; COMPUTE_PGM_RSRC2:TIDIG_COMP_CNT: 0
	.section	.text._ZN9rocsparseL18bsrxmvn_4x4_kernelILj128ELj8EiiiaaiEEvT3_20rocsparse_direction_NS_24const_host_device_scalarIT1_EES1_PKS1_PKT2_SA_S7_PKT4_PKT5_S5_PT6_21rocsparse_index_base_b,"axG",@progbits,_ZN9rocsparseL18bsrxmvn_4x4_kernelILj128ELj8EiiiaaiEEvT3_20rocsparse_direction_NS_24const_host_device_scalarIT1_EES1_PKS1_PKT2_SA_S7_PKT4_PKT5_S5_PT6_21rocsparse_index_base_b,comdat
	.globl	_ZN9rocsparseL18bsrxmvn_4x4_kernelILj128ELj8EiiiaaiEEvT3_20rocsparse_direction_NS_24const_host_device_scalarIT1_EES1_PKS1_PKT2_SA_S7_PKT4_PKT5_S5_PT6_21rocsparse_index_base_b ; -- Begin function _ZN9rocsparseL18bsrxmvn_4x4_kernelILj128ELj8EiiiaaiEEvT3_20rocsparse_direction_NS_24const_host_device_scalarIT1_EES1_PKS1_PKT2_SA_S7_PKT4_PKT5_S5_PT6_21rocsparse_index_base_b
	.p2align	8
	.type	_ZN9rocsparseL18bsrxmvn_4x4_kernelILj128ELj8EiiiaaiEEvT3_20rocsparse_direction_NS_24const_host_device_scalarIT1_EES1_PKS1_PKT2_SA_S7_PKT4_PKT5_S5_PT6_21rocsparse_index_base_b,@function
_ZN9rocsparseL18bsrxmvn_4x4_kernelILj128ELj8EiiiaaiEEvT3_20rocsparse_direction_NS_24const_host_device_scalarIT1_EES1_PKS1_PKT2_SA_S7_PKT4_PKT5_S5_PT6_21rocsparse_index_base_b: ; @_ZN9rocsparseL18bsrxmvn_4x4_kernelILj128ELj8EiiiaaiEEvT3_20rocsparse_direction_NS_24const_host_device_scalarIT1_EES1_PKS1_PKT2_SA_S7_PKT4_PKT5_S5_PT6_21rocsparse_index_base_b
; %bb.0:
	s_load_dwordx2 s[16:17], s[4:5], 0x58
	s_load_dwordx2 s[8:9], s[4:5], 0x8
	s_mov_b64 s[10:11], -1
	s_waitcnt lgkmcnt(0)
	s_bitcmp1_b32 s17, 0
	s_cselect_b64 s[0:1], -1, 0
	s_xor_b64 s[2:3], s[0:1], -1
	s_and_b64 vcc, exec, s[2:3]
                                        ; implicit-def: $sgpr17
	s_cbranch_vccnz .LBB61_4
; %bb.1:
	s_load_dwordx2 s[0:1], s[4:5], 0x48
	s_andn2_b64 vcc, exec, s[10:11]
	s_cbranch_vccz .LBB61_5
.LBB61_2:
	s_and_b64 vcc, exec, s[2:3]
	s_cbranch_vccz .LBB61_6
.LBB61_3:
	s_waitcnt lgkmcnt(0)
	s_load_dword s22, s[0:1], 0x0
	s_cbranch_execz .LBB61_7
	s_branch .LBB61_8
.LBB61_4:
	s_load_dword s17, s[8:9], 0x0
	s_load_dwordx2 s[0:1], s[4:5], 0x48
	s_cbranch_execnz .LBB61_2
.LBB61_5:
	s_waitcnt lgkmcnt(0)
	s_mov_b32 s17, s8
	s_and_b64 vcc, exec, s[2:3]
	s_cbranch_vccnz .LBB61_3
.LBB61_6:
                                        ; implicit-def: $sgpr22
.LBB61_7:
	s_waitcnt lgkmcnt(0)
	s_mov_b32 s22, s0
.LBB61_8:
	s_waitcnt lgkmcnt(0)
	s_cmp_lg_u32 s17, 0
	s_cselect_b64 s[0:1], -1, 0
	s_cmp_lg_u32 s22, 1
	s_cselect_b64 s[2:3], -1, 0
	s_or_b64 s[0:1], s[0:1], s[2:3]
	s_andn2_b64 vcc, exec, s[0:1]
	s_cbranch_vccnz .LBB61_14
; %bb.9:
	s_load_dwordx2 s[8:9], s[4:5], 0x18
	s_load_dwordx2 s[0:1], s[4:5], 0x0
	v_lshrrev_b32_e32 v1, 3, v0
	v_lshl_or_b32 v3, s6, 4, v1
	s_mov_b64 s[2:3], 0
	s_waitcnt lgkmcnt(0)
	s_cmp_lg_u64 s[8:9], 0
	s_cbranch_scc0 .LBB61_15
; %bb.10:
	s_load_dword s6, s[4:5], 0x10
                                        ; implicit-def: $vgpr1
	s_waitcnt lgkmcnt(0)
	v_cmp_gt_i32_e32 vcc, s6, v3
	s_and_saveexec_b64 s[6:7], vcc
	s_xor_b64 s[6:7], exec, s[6:7]
	s_cbranch_execz .LBB61_12
; %bb.11:
	v_ashrrev_i32_e32 v4, 31, v3
	v_lshlrev_b64 v[1:2], 2, v[3:4]
	v_mov_b32_e32 v4, s9
	v_add_co_u32_e32 v1, vcc, s8, v1
	v_addc_co_u32_e32 v2, vcc, v4, v2, vcc
	global_load_dword v1, v[1:2], off
	s_mov_b64 s[2:3], exec
	s_waitcnt vmcnt(0)
	v_subrev_u32_e32 v1, s16, v1
.LBB61_12:
	s_or_b64 exec, exec, s[6:7]
	s_branch .LBB61_16
.LBB61_13:
	v_cmp_gt_i32_e32 vcc, s0, v3
	s_andn2_b64 s[2:3], s[2:3], exec
	s_and_b64 s[6:7], vcc, exec
	s_or_b64 s[2:3], s[2:3], s[6:7]
	s_and_saveexec_b64 s[6:7], s[2:3]
	s_cbranch_execnz .LBB61_17
.LBB61_14:
	s_endpgm
.LBB61_15:
                                        ; implicit-def: $vgpr1
	s_cbranch_execnz .LBB61_13
.LBB61_16:
	v_mov_b32_e32 v3, v1
	s_and_saveexec_b64 s[6:7], s[2:3]
	s_cbranch_execz .LBB61_14
.LBB61_17:
	s_load_dwordx8 s[8:15], s[4:5], 0x20
	v_ashrrev_i32_e32 v4, 31, v3
	v_lshlrev_b64 v[1:2], 2, v[3:4]
	v_and_b32_e32 v8, 7, v0
	s_waitcnt lgkmcnt(0)
	v_mov_b32_e32 v5, s9
	v_add_co_u32_e32 v4, vcc, s8, v1
	v_addc_co_u32_e32 v5, vcc, v5, v2, vcc
	global_load_dword v14, v[4:5], off
	v_add_co_u32_e32 v4, vcc, 4, v4
	v_addc_co_u32_e32 v5, vcc, 0, v5, vcc
	v_mov_b32_e32 v6, s11
	v_add_co_u32_e32 v1, vcc, s10, v1
	s_cmp_eq_u64 s[10:11], 0
	v_addc_co_u32_e32 v2, vcc, v6, v2, vcc
	s_cselect_b64 vcc, -1, 0
	v_cndmask_b32_e32 v2, v2, v5, vcc
	v_cndmask_b32_e32 v1, v1, v4, vcc
	global_load_dword v1, v[1:2], off
	s_load_dwordx2 s[10:11], s[4:5], 0x40
	v_mov_b32_e32 v5, s15
	s_cmp_eq_u32 s1, 1
	s_waitcnt vmcnt(1)
	v_subrev_u32_e32 v0, s16, v14
	v_add_u32_e32 v0, v0, v8
	s_waitcnt vmcnt(0)
	v_subrev_u32_e32 v9, s16, v1
	v_ashrrev_i32_e32 v1, 31, v0
	v_lshlrev_b64 v[1:2], 4, v[0:1]
	v_cmp_lt_i32_e64 s[0:1], v0, v9
	v_add_co_u32_e32 v4, vcc, s14, v1
	v_addc_co_u32_e32 v5, vcc, v5, v2, vcc
	s_cbranch_scc1 .LBB61_29
; %bb.18:
	v_mov_b32_e32 v11, 0
	v_mov_b32_e32 v12, 0
	v_mov_b32_e32 v13, 0
	v_mov_b32_e32 v10, 0
	s_and_saveexec_b64 s[14:15], s[0:1]
	s_cbranch_execz .LBB61_28
; %bb.19:
	v_add_u32_e32 v1, v14, v8
	v_subrev_u32_e32 v1, s16, v1
	v_add_u32_e32 v1, 8, v1
	v_max_i32_e32 v1, v1, v9
	v_not_b32_e32 v2, v14
	v_add3_u32 v1, s16, v1, v2
	v_sub_u32_e32 v15, v1, v8
	v_and_b32_e32 v1, 24, v15
	v_mov_b32_e32 v10, 0
	v_mov_b32_e32 v7, v5
	v_cmp_ne_u32_e32 vcc, 24, v1
	v_mov_b32_e32 v13, v10
	v_mov_b32_e32 v12, v10
	;; [unrolled: 1-line block ×5, first 2 shown]
	s_and_saveexec_b64 s[6:7], vcc
	s_cbranch_execz .LBB61_23
; %bb.20:
	v_lshrrev_b32_e32 v1, 3, v15
	v_add_u32_e32 v1, 1, v1
	v_and_b32_e32 v1, 3, v1
	v_mov_b32_e32 v7, v5
	v_sub_u32_e32 v16, 0, v1
	s_mov_b64 s[8:9], 0
	v_mov_b32_e32 v17, s13
	s_waitcnt lgkmcnt(0)
	v_mov_b32_e32 v18, s11
	v_mov_b32_e32 v6, v4
	;; [unrolled: 1-line block ×6, first 2 shown]
.LBB61_21:                              ; =>This Inner Loop Header: Depth=1
	v_ashrrev_i32_e32 v2, 31, v1
	v_lshlrev_b64 v[19:20], 2, v[1:2]
	v_add_co_u32_e64 v16, s[2:3], 1, v16
	v_add_co_u32_e32 v23, vcc, s12, v19
	v_addc_co_u32_e32 v24, vcc, v17, v20, vcc
	global_load_dword v2, v[23:24], off
	global_load_dwordx4 v[19:22], v[6:7], off
	v_add_u32_e32 v1, 8, v1
	s_or_b64 s[8:9], s[2:3], s[8:9]
	s_waitcnt vmcnt(1)
	v_subrev_u32_e32 v2, s16, v2
	v_lshlrev_b32_e32 v2, 2, v2
	v_ashrrev_i32_e32 v24, 31, v2
	v_add_co_u32_e32 v23, vcc, s10, v2
	v_addc_co_u32_e32 v24, vcc, v18, v24, vcc
	global_load_dword v2, v[23:24], off
	v_add_co_u32_e32 v6, vcc, 0x80, v6
	v_addc_co_u32_e32 v7, vcc, 0, v7, vcc
	s_waitcnt vmcnt(0)
	v_dot4_i32_i8 v11, v2, v22, v11
	v_dot4_i32_i8 v12, v2, v21, v12
	;; [unrolled: 1-line block ×4, first 2 shown]
	s_andn2_b64 exec, exec, s[8:9]
	s_cbranch_execnz .LBB61_21
; %bb.22:
	s_or_b64 exec, exec, s[8:9]
.LBB61_23:
	s_or_b64 exec, exec, s[6:7]
	v_cmp_lt_u32_e32 vcc, 23, v15
	s_and_saveexec_b64 s[18:19], vcc
	s_cbranch_execz .LBB61_27
; %bb.24:
	s_mov_b64 s[20:21], 0
	v_mov_b32_e32 v15, s13
	s_waitcnt lgkmcnt(0)
	v_mov_b32_e32 v16, s11
.LBB61_25:                              ; =>This Inner Loop Header: Depth=1
	v_ashrrev_i32_e32 v2, 31, v1
	v_lshlrev_b64 v[17:18], 2, v[1:2]
	v_add_u32_e32 v1, 32, v1
	v_add_co_u32_e32 v33, vcc, s12, v17
	v_addc_co_u32_e32 v34, vcc, v15, v18, vcc
	global_load_dword v2, v[33:34], off
	global_load_dword v35, v[33:34], off offset:32
	global_load_dword v36, v[33:34], off offset:64
	global_load_dword v37, v[33:34], off offset:96
	global_load_dwordx4 v[17:20], v[6:7], off
	global_load_dwordx4 v[21:24], v[6:7], off offset:128
	global_load_dwordx4 v[25:28], v[6:7], off offset:256
	global_load_dwordx4 v[29:32], v[6:7], off offset:384
	s_waitcnt vmcnt(7)
	v_subrev_u32_e32 v2, s16, v2
	s_waitcnt vmcnt(6)
	v_subrev_u32_e32 v33, s16, v35
	s_waitcnt vmcnt(5)
	v_subrev_u32_e32 v34, s16, v36
	s_waitcnt vmcnt(4)
	v_subrev_u32_e32 v35, s16, v37
	v_lshlrev_b32_e32 v2, 2, v2
	v_lshlrev_b32_e32 v33, 2, v33
	;; [unrolled: 1-line block ×4, first 2 shown]
	v_ashrrev_i32_e32 v38, 31, v2
	v_add_co_u32_e64 v39, s[8:9], s10, v2
	v_ashrrev_i32_e32 v41, 31, v33
	v_add_co_u32_e32 v33, vcc, s10, v33
	v_ashrrev_i32_e32 v42, 31, v34
	v_add_co_u32_e64 v35, s[2:3], s10, v34
	v_ashrrev_i32_e32 v43, 31, v36
	v_add_co_u32_e64 v37, s[6:7], s10, v36
	v_addc_co_u32_e64 v40, s[8:9], v16, v38, s[8:9]
	v_addc_co_u32_e32 v34, vcc, v16, v41, vcc
	v_addc_co_u32_e64 v36, vcc, v16, v42, s[2:3]
	v_addc_co_u32_e64 v38, vcc, v16, v43, s[6:7]
	global_load_dword v2, v[39:40], off
	global_load_dword v41, v[33:34], off
	;; [unrolled: 1-line block ×4, first 2 shown]
	v_add_co_u32_e32 v6, vcc, 0x200, v6
	v_addc_co_u32_e32 v7, vcc, 0, v7, vcc
	v_cmp_ge_i32_e32 vcc, v1, v9
	s_or_b64 s[20:21], vcc, s[20:21]
	s_waitcnt vmcnt(3)
	v_dot4_i32_i8 v10, v2, v17, v10
	v_dot4_i32_i8 v13, v2, v18, v13
	v_dot4_i32_i8 v12, v2, v19, v12
	v_dot4_i32_i8 v2, v2, v20, v11
	s_waitcnt vmcnt(2)
	v_dot4_i32_i8 v2, v41, v24, v2
	v_dot4_i32_i8 v11, v41, v23, v12
	v_dot4_i32_i8 v12, v41, v22, v13
	v_dot4_i32_i8 v10, v41, v21, v10
	;; [unrolled: 5-line block ×4, first 2 shown]
	s_andn2_b64 exec, exec, s[20:21]
	s_cbranch_execnz .LBB61_25
; %bb.26:
	s_or_b64 exec, exec, s[20:21]
.LBB61_27:
	s_or_b64 exec, exec, s[18:19]
.LBB61_28:
	s_or_b64 exec, exec, s[14:15]
	s_cbranch_execz .LBB61_30
	s_branch .LBB61_41
.LBB61_29:
                                        ; implicit-def: $vgpr11
                                        ; implicit-def: $vgpr10
                                        ; implicit-def: $vgpr13
                                        ; implicit-def: $vgpr12
.LBB61_30:
	v_mov_b32_e32 v11, 0
	v_mov_b32_e32 v12, 0
	;; [unrolled: 1-line block ×4, first 2 shown]
	s_and_saveexec_b64 s[8:9], s[0:1]
	s_cbranch_execz .LBB61_40
; %bb.31:
	v_add_u32_e32 v1, v14, v8
	v_subrev_u32_e32 v1, s16, v1
	v_add_u32_e32 v1, 8, v1
	v_max_i32_e32 v1, v1, v9
	v_not_b32_e32 v2, v14
	v_add3_u32 v1, s16, v1, v2
	v_sub_u32_e32 v2, v1, v8
	v_and_b32_e32 v1, 24, v2
	v_mov_b32_e32 v10, 0
	v_cmp_ne_u32_e32 vcc, 24, v1
	v_mov_b32_e32 v13, v10
	v_mov_b32_e32 v12, v10
	;; [unrolled: 1-line block ×3, first 2 shown]
	s_and_saveexec_b64 s[2:3], vcc
	s_cbranch_execz .LBB61_35
; %bb.32:
	v_lshrrev_b32_e32 v1, 3, v2
	v_add_u32_e32 v1, 1, v1
	v_and_b32_e32 v1, 3, v1
	v_sub_u32_e32 v6, 0, v1
	s_mov_b64 s[6:7], 0
	v_mov_b32_e32 v7, s13
	s_waitcnt lgkmcnt(0)
	v_mov_b32_e32 v14, s11
	s_mov_b32 s14, 0xc0c0703
	s_mov_b32 s15, 0x7030c0c
	;; [unrolled: 1-line block ×8, first 2 shown]
	v_mov_b32_e32 v13, 0
	v_mov_b32_e32 v12, 0
	;; [unrolled: 1-line block ×3, first 2 shown]
.LBB61_33:                              ; =>This Inner Loop Header: Depth=1
	v_ashrrev_i32_e32 v1, 31, v0
	v_lshlrev_b64 v[15:16], 2, v[0:1]
	v_add_co_u32_e64 v6, s[0:1], 1, v6
	v_add_co_u32_e32 v19, vcc, s12, v15
	v_addc_co_u32_e32 v20, vcc, v7, v16, vcc
	global_load_dword v1, v[19:20], off
	global_load_dwordx4 v[15:18], v[4:5], off
	v_add_u32_e32 v0, 8, v0
	s_or_b64 s[6:7], s[0:1], s[6:7]
	s_waitcnt vmcnt(1)
	v_subrev_u32_e32 v1, s16, v1
	v_lshlrev_b32_e32 v1, 2, v1
	v_ashrrev_i32_e32 v20, 31, v1
	v_add_co_u32_e32 v19, vcc, s10, v1
	v_addc_co_u32_e32 v20, vcc, v14, v20, vcc
	global_load_dword v1, v[19:20], off
	s_waitcnt vmcnt(1)
	v_perm_b32 v19, v16, v15, s14
	v_perm_b32 v20, v18, v17, s15
	;; [unrolled: 1-line block ×8, first 2 shown]
	v_add_co_u32_e32 v4, vcc, 0x80, v4
	v_or_b32_e32 v17, v20, v19
	v_or_b32_e32 v18, v22, v21
	;; [unrolled: 1-line block ×4, first 2 shown]
	v_addc_co_u32_e32 v5, vcc, 0, v5, vcc
	s_waitcnt vmcnt(0)
	v_dot4_i32_i8 v11, v1, v17, v11
	v_dot4_i32_i8 v12, v1, v18, v12
	;; [unrolled: 1-line block ×4, first 2 shown]
	s_andn2_b64 exec, exec, s[6:7]
	s_cbranch_execnz .LBB61_33
; %bb.34:
	s_or_b64 exec, exec, s[6:7]
.LBB61_35:
	s_or_b64 exec, exec, s[2:3]
	v_cmp_lt_u32_e32 vcc, 23, v2
	s_and_saveexec_b64 s[14:15], vcc
	s_cbranch_execz .LBB61_39
; %bb.36:
	s_mov_b64 s[18:19], 0
	v_mov_b32_e32 v2, s13
	s_waitcnt lgkmcnt(0)
	v_mov_b32_e32 v6, s11
	s_mov_b32 s11, 0xc0c0400
	s_mov_b32 s13, 0x4000c0c
	;; [unrolled: 1-line block ×8, first 2 shown]
.LBB61_37:                              ; =>This Inner Loop Header: Depth=1
	v_ashrrev_i32_e32 v1, 31, v0
	v_lshlrev_b64 v[14:15], 2, v[0:1]
	v_add_u32_e32 v0, 32, v0
	v_add_co_u32_e32 v30, vcc, s12, v14
	v_addc_co_u32_e32 v31, vcc, v2, v15, vcc
	global_load_dword v1, v[30:31], off
	global_load_dword v7, v[30:31], off offset:32
	global_load_dword v32, v[30:31], off offset:64
	;; [unrolled: 1-line block ×3, first 2 shown]
	global_load_dwordx4 v[14:17], v[4:5], off
	global_load_dwordx4 v[18:21], v[4:5], off offset:128
	global_load_dwordx4 v[22:25], v[4:5], off offset:256
	;; [unrolled: 1-line block ×3, first 2 shown]
	s_waitcnt vmcnt(7)
	v_subrev_u32_e32 v1, s16, v1
	s_waitcnt vmcnt(6)
	v_subrev_u32_e32 v7, s16, v7
	;; [unrolled: 2-line block ×4, first 2 shown]
	v_lshlrev_b32_e32 v1, 2, v1
	v_lshlrev_b32_e32 v7, 2, v7
	;; [unrolled: 1-line block ×4, first 2 shown]
	v_ashrrev_i32_e32 v33, 31, v1
	v_add_co_u32_e64 v36, s[6:7], s10, v1
	v_ashrrev_i32_e32 v35, 31, v7
	v_add_co_u32_e32 v30, vcc, s10, v7
	v_ashrrev_i32_e32 v7, 31, v32
	v_add_co_u32_e64 v32, s[0:1], s10, v32
	v_ashrrev_i32_e32 v38, 31, v31
	v_add_co_u32_e64 v34, s[2:3], s10, v31
	v_addc_co_u32_e64 v37, s[6:7], v6, v33, s[6:7]
	v_addc_co_u32_e32 v31, vcc, v6, v35, vcc
	v_addc_co_u32_e64 v33, vcc, v6, v7, s[0:1]
	v_addc_co_u32_e64 v35, vcc, v6, v38, s[2:3]
	global_load_dword v1, v[36:37], off
	global_load_dword v7, v[30:31], off
	;; [unrolled: 1-line block ×4, first 2 shown]
	s_waitcnt vmcnt(7)
	v_perm_b32 v30, v15, v14, s11
	v_perm_b32 v31, v17, v16, s13
	v_perm_b32 v32, v15, v14, s20
	v_perm_b32 v33, v17, v16, s21
	v_perm_b32 v34, v15, v14, s23
	v_perm_b32 v35, v17, v16, s24
	v_perm_b32 v14, v15, v14, s25
	v_perm_b32 v15, v17, v16, s26
	s_waitcnt vmcnt(6)
	v_perm_b32 v16, v19, v18, s25
	v_perm_b32 v17, v21, v20, s26
	v_perm_b32 v36, v19, v18, s23
	v_perm_b32 v37, v21, v20, s24
	v_perm_b32 v40, v19, v18, s20
	v_perm_b32 v41, v21, v20, s21
	v_perm_b32 v18, v19, v18, s11
	v_perm_b32 v19, v21, v20, s13
	;; [unrolled: 9-line block ×4, first 2 shown]
	v_or_b32_e32 v28, v31, v30
	v_or_b32_e32 v29, v33, v32
	;; [unrolled: 1-line block ×4, first 2 shown]
	v_add_co_u32_e32 v4, vcc, 0x200, v4
	v_or_b32_e32 v15, v17, v16
	v_or_b32_e32 v16, v37, v36
	;; [unrolled: 1-line block ×4, first 2 shown]
	v_addc_co_u32_e32 v5, vcc, 0, v5, vcc
	v_or_b32_e32 v19, v21, v20
	v_or_b32_e32 v20, v43, v42
	;; [unrolled: 1-line block ×4, first 2 shown]
	v_cmp_ge_i32_e32 vcc, v0, v9
	v_or_b32_e32 v23, v25, v24
	v_or_b32_e32 v24, v47, v46
	v_or_b32_e32 v25, v49, v48
	v_or_b32_e32 v26, v27, v26
	s_or_b64 s[18:19], vcc, s[18:19]
	s_waitcnt vmcnt(3)
	v_dot4_i32_i8 v10, v1, v28, v10
	v_dot4_i32_i8 v13, v1, v29, v13
	v_dot4_i32_i8 v12, v1, v30, v12
	v_dot4_i32_i8 v1, v1, v14, v11
	s_waitcnt vmcnt(2)
	v_dot4_i32_i8 v1, v7, v15, v1
	v_dot4_i32_i8 v11, v7, v16, v12
	v_dot4_i32_i8 v12, v7, v17, v13
	v_dot4_i32_i8 v7, v7, v18, v10
	s_waitcnt vmcnt(1)
	v_dot4_i32_i8 v7, v38, v19, v7
	v_dot4_i32_i8 v10, v38, v20, v12
	v_dot4_i32_i8 v12, v38, v21, v11
	v_dot4_i32_i8 v1, v38, v22, v1
	s_waitcnt vmcnt(0)
	v_dot4_i32_i8 v11, v39, v23, v1
	v_dot4_i32_i8 v12, v39, v24, v12
	v_dot4_i32_i8 v13, v39, v25, v10
	v_dot4_i32_i8 v10, v39, v26, v7
	s_andn2_b64 exec, exec, s[18:19]
	s_cbranch_execnz .LBB61_37
; %bb.38:
	s_or_b64 exec, exec, s[18:19]
.LBB61_39:
	s_or_b64 exec, exec, s[14:15]
.LBB61_40:
	s_or_b64 exec, exec, s[8:9]
.LBB61_41:
	v_mov_b32_dpp v0, v10 row_shr:1 row_mask:0xf bank_mask:0xf
	v_mov_b32_dpp v2, v13 row_shr:1 row_mask:0xf bank_mask:0xf
	;; [unrolled: 1-line block ×4, first 2 shown]
	v_add_u32_e32 v0, v0, v10
	v_add_u32_e32 v2, v2, v13
	;; [unrolled: 1-line block ×4, first 2 shown]
	v_mov_b32_dpp v1, v0 row_shr:2 row_mask:0xf bank_mask:0xf
	v_mov_b32_dpp v4, v2 row_shr:2 row_mask:0xf bank_mask:0xf
	;; [unrolled: 1-line block ×4, first 2 shown]
	v_add_u32_e32 v0, v0, v1
	v_add_u32_e32 v2, v2, v4
	;; [unrolled: 1-line block ×4, first 2 shown]
	v_mov_b32_dpp v1, v0 row_shr:4 row_mask:0xf bank_mask:0xe
	v_mov_b32_dpp v4, v2 row_shr:4 row_mask:0xf bank_mask:0xe
	v_mov_b32_dpp v6, v5 row_shr:4 row_mask:0xf bank_mask:0xe
	v_mov_b32_dpp v9, v7 row_shr:4 row_mask:0xf bank_mask:0xe
	v_cmp_eq_u32_e32 vcc, 7, v8
	s_and_b64 exec, exec, vcc
	s_cbranch_execz .LBB61_14
; %bb.42:
	s_load_dwordx2 s[0:1], s[4:5], 0x50
	v_add_u32_e32 v0, v0, v1
	v_add_u32_e32 v1, v2, v4
	;; [unrolled: 1-line block ×4, first 2 shown]
	v_mul_lo_u32 v0, v0, s17
	v_mul_lo_u32 v1, v1, s17
	;; [unrolled: 1-line block ×4, first 2 shown]
	s_cmp_eq_u32 s22, 0
	v_lshlrev_b32_e32 v5, 2, v3
	s_cbranch_scc1 .LBB61_44
; %bb.43:
	v_ashrrev_i32_e32 v6, 31, v5
	v_lshlrev_b64 v[6:7], 2, v[5:6]
	s_waitcnt lgkmcnt(0)
	v_mov_b32_e32 v3, s1
	v_add_co_u32_e32 v14, vcc, s0, v6
	v_addc_co_u32_e32 v15, vcc, v3, v7, vcc
	global_load_dwordx4 v[6:9], v[14:15], off
	s_waitcnt vmcnt(0)
	v_mad_u64_u32 v[10:11], s[2:3], v6, s22, v[0:1]
	v_mad_u64_u32 v[16:17], s[2:3], v9, s22, v[4:5]
	;; [unrolled: 1-line block ×4, first 2 shown]
	v_mov_b32_e32 v13, v16
	global_store_dwordx4 v[14:15], v[10:13], off
	s_cbranch_execnz .LBB61_14
	s_branch .LBB61_45
.LBB61_44:
.LBB61_45:
	v_ashrrev_i32_e32 v6, 31, v5
	v_lshlrev_b64 v[5:6], 2, v[5:6]
	s_waitcnt lgkmcnt(0)
	v_mov_b32_e32 v3, s1
	v_add_co_u32_e32 v5, vcc, s0, v5
	v_addc_co_u32_e32 v6, vcc, v3, v6, vcc
	v_mov_b32_e32 v3, v4
	global_store_dwordx4 v[5:6], v[0:3], off
	s_endpgm
	.section	.rodata,"a",@progbits
	.p2align	6, 0x0
	.amdhsa_kernel _ZN9rocsparseL18bsrxmvn_4x4_kernelILj128ELj8EiiiaaiEEvT3_20rocsparse_direction_NS_24const_host_device_scalarIT1_EES1_PKS1_PKT2_SA_S7_PKT4_PKT5_S5_PT6_21rocsparse_index_base_b
		.amdhsa_group_segment_fixed_size 0
		.amdhsa_private_segment_fixed_size 0
		.amdhsa_kernarg_size 96
		.amdhsa_user_sgpr_count 6
		.amdhsa_user_sgpr_private_segment_buffer 1
		.amdhsa_user_sgpr_dispatch_ptr 0
		.amdhsa_user_sgpr_queue_ptr 0
		.amdhsa_user_sgpr_kernarg_segment_ptr 1
		.amdhsa_user_sgpr_dispatch_id 0
		.amdhsa_user_sgpr_flat_scratch_init 0
		.amdhsa_user_sgpr_private_segment_size 0
		.amdhsa_uses_dynamic_stack 0
		.amdhsa_system_sgpr_private_segment_wavefront_offset 0
		.amdhsa_system_sgpr_workgroup_id_x 1
		.amdhsa_system_sgpr_workgroup_id_y 0
		.amdhsa_system_sgpr_workgroup_id_z 0
		.amdhsa_system_sgpr_workgroup_info 0
		.amdhsa_system_vgpr_workitem_id 0
		.amdhsa_next_free_vgpr 50
		.amdhsa_next_free_sgpr 27
		.amdhsa_reserve_vcc 1
		.amdhsa_reserve_flat_scratch 0
		.amdhsa_float_round_mode_32 0
		.amdhsa_float_round_mode_16_64 0
		.amdhsa_float_denorm_mode_32 3
		.amdhsa_float_denorm_mode_16_64 3
		.amdhsa_dx10_clamp 1
		.amdhsa_ieee_mode 1
		.amdhsa_fp16_overflow 0
		.amdhsa_exception_fp_ieee_invalid_op 0
		.amdhsa_exception_fp_denorm_src 0
		.amdhsa_exception_fp_ieee_div_zero 0
		.amdhsa_exception_fp_ieee_overflow 0
		.amdhsa_exception_fp_ieee_underflow 0
		.amdhsa_exception_fp_ieee_inexact 0
		.amdhsa_exception_int_div_zero 0
	.end_amdhsa_kernel
	.section	.text._ZN9rocsparseL18bsrxmvn_4x4_kernelILj128ELj8EiiiaaiEEvT3_20rocsparse_direction_NS_24const_host_device_scalarIT1_EES1_PKS1_PKT2_SA_S7_PKT4_PKT5_S5_PT6_21rocsparse_index_base_b,"axG",@progbits,_ZN9rocsparseL18bsrxmvn_4x4_kernelILj128ELj8EiiiaaiEEvT3_20rocsparse_direction_NS_24const_host_device_scalarIT1_EES1_PKS1_PKT2_SA_S7_PKT4_PKT5_S5_PT6_21rocsparse_index_base_b,comdat
.Lfunc_end61:
	.size	_ZN9rocsparseL18bsrxmvn_4x4_kernelILj128ELj8EiiiaaiEEvT3_20rocsparse_direction_NS_24const_host_device_scalarIT1_EES1_PKS1_PKT2_SA_S7_PKT4_PKT5_S5_PT6_21rocsparse_index_base_b, .Lfunc_end61-_ZN9rocsparseL18bsrxmvn_4x4_kernelILj128ELj8EiiiaaiEEvT3_20rocsparse_direction_NS_24const_host_device_scalarIT1_EES1_PKS1_PKT2_SA_S7_PKT4_PKT5_S5_PT6_21rocsparse_index_base_b
                                        ; -- End function
	.set _ZN9rocsparseL18bsrxmvn_4x4_kernelILj128ELj8EiiiaaiEEvT3_20rocsparse_direction_NS_24const_host_device_scalarIT1_EES1_PKS1_PKT2_SA_S7_PKT4_PKT5_S5_PT6_21rocsparse_index_base_b.num_vgpr, 50
	.set _ZN9rocsparseL18bsrxmvn_4x4_kernelILj128ELj8EiiiaaiEEvT3_20rocsparse_direction_NS_24const_host_device_scalarIT1_EES1_PKS1_PKT2_SA_S7_PKT4_PKT5_S5_PT6_21rocsparse_index_base_b.num_agpr, 0
	.set _ZN9rocsparseL18bsrxmvn_4x4_kernelILj128ELj8EiiiaaiEEvT3_20rocsparse_direction_NS_24const_host_device_scalarIT1_EES1_PKS1_PKT2_SA_S7_PKT4_PKT5_S5_PT6_21rocsparse_index_base_b.numbered_sgpr, 27
	.set _ZN9rocsparseL18bsrxmvn_4x4_kernelILj128ELj8EiiiaaiEEvT3_20rocsparse_direction_NS_24const_host_device_scalarIT1_EES1_PKS1_PKT2_SA_S7_PKT4_PKT5_S5_PT6_21rocsparse_index_base_b.num_named_barrier, 0
	.set _ZN9rocsparseL18bsrxmvn_4x4_kernelILj128ELj8EiiiaaiEEvT3_20rocsparse_direction_NS_24const_host_device_scalarIT1_EES1_PKS1_PKT2_SA_S7_PKT4_PKT5_S5_PT6_21rocsparse_index_base_b.private_seg_size, 0
	.set _ZN9rocsparseL18bsrxmvn_4x4_kernelILj128ELj8EiiiaaiEEvT3_20rocsparse_direction_NS_24const_host_device_scalarIT1_EES1_PKS1_PKT2_SA_S7_PKT4_PKT5_S5_PT6_21rocsparse_index_base_b.uses_vcc, 1
	.set _ZN9rocsparseL18bsrxmvn_4x4_kernelILj128ELj8EiiiaaiEEvT3_20rocsparse_direction_NS_24const_host_device_scalarIT1_EES1_PKS1_PKT2_SA_S7_PKT4_PKT5_S5_PT6_21rocsparse_index_base_b.uses_flat_scratch, 0
	.set _ZN9rocsparseL18bsrxmvn_4x4_kernelILj128ELj8EiiiaaiEEvT3_20rocsparse_direction_NS_24const_host_device_scalarIT1_EES1_PKS1_PKT2_SA_S7_PKT4_PKT5_S5_PT6_21rocsparse_index_base_b.has_dyn_sized_stack, 0
	.set _ZN9rocsparseL18bsrxmvn_4x4_kernelILj128ELj8EiiiaaiEEvT3_20rocsparse_direction_NS_24const_host_device_scalarIT1_EES1_PKS1_PKT2_SA_S7_PKT4_PKT5_S5_PT6_21rocsparse_index_base_b.has_recursion, 0
	.set _ZN9rocsparseL18bsrxmvn_4x4_kernelILj128ELj8EiiiaaiEEvT3_20rocsparse_direction_NS_24const_host_device_scalarIT1_EES1_PKS1_PKT2_SA_S7_PKT4_PKT5_S5_PT6_21rocsparse_index_base_b.has_indirect_call, 0
	.section	.AMDGPU.csdata,"",@progbits
; Kernel info:
; codeLenInByte = 2880
; TotalNumSgprs: 31
; NumVgprs: 50
; ScratchSize: 0
; MemoryBound: 0
; FloatMode: 240
; IeeeMode: 1
; LDSByteSize: 0 bytes/workgroup (compile time only)
; SGPRBlocks: 3
; VGPRBlocks: 12
; NumSGPRsForWavesPerEU: 31
; NumVGPRsForWavesPerEU: 50
; Occupancy: 4
; WaveLimiterHint : 1
; COMPUTE_PGM_RSRC2:SCRATCH_EN: 0
; COMPUTE_PGM_RSRC2:USER_SGPR: 6
; COMPUTE_PGM_RSRC2:TRAP_HANDLER: 0
; COMPUTE_PGM_RSRC2:TGID_X_EN: 1
; COMPUTE_PGM_RSRC2:TGID_Y_EN: 0
; COMPUTE_PGM_RSRC2:TGID_Z_EN: 0
; COMPUTE_PGM_RSRC2:TIDIG_COMP_CNT: 0
	.section	.text._ZN9rocsparseL18bsrxmvn_4x4_kernelILj128ELj16EiiiaaiEEvT3_20rocsparse_direction_NS_24const_host_device_scalarIT1_EES1_PKS1_PKT2_SA_S7_PKT4_PKT5_S5_PT6_21rocsparse_index_base_b,"axG",@progbits,_ZN9rocsparseL18bsrxmvn_4x4_kernelILj128ELj16EiiiaaiEEvT3_20rocsparse_direction_NS_24const_host_device_scalarIT1_EES1_PKS1_PKT2_SA_S7_PKT4_PKT5_S5_PT6_21rocsparse_index_base_b,comdat
	.globl	_ZN9rocsparseL18bsrxmvn_4x4_kernelILj128ELj16EiiiaaiEEvT3_20rocsparse_direction_NS_24const_host_device_scalarIT1_EES1_PKS1_PKT2_SA_S7_PKT4_PKT5_S5_PT6_21rocsparse_index_base_b ; -- Begin function _ZN9rocsparseL18bsrxmvn_4x4_kernelILj128ELj16EiiiaaiEEvT3_20rocsparse_direction_NS_24const_host_device_scalarIT1_EES1_PKS1_PKT2_SA_S7_PKT4_PKT5_S5_PT6_21rocsparse_index_base_b
	.p2align	8
	.type	_ZN9rocsparseL18bsrxmvn_4x4_kernelILj128ELj16EiiiaaiEEvT3_20rocsparse_direction_NS_24const_host_device_scalarIT1_EES1_PKS1_PKT2_SA_S7_PKT4_PKT5_S5_PT6_21rocsparse_index_base_b,@function
_ZN9rocsparseL18bsrxmvn_4x4_kernelILj128ELj16EiiiaaiEEvT3_20rocsparse_direction_NS_24const_host_device_scalarIT1_EES1_PKS1_PKT2_SA_S7_PKT4_PKT5_S5_PT6_21rocsparse_index_base_b: ; @_ZN9rocsparseL18bsrxmvn_4x4_kernelILj128ELj16EiiiaaiEEvT3_20rocsparse_direction_NS_24const_host_device_scalarIT1_EES1_PKS1_PKT2_SA_S7_PKT4_PKT5_S5_PT6_21rocsparse_index_base_b
; %bb.0:
	s_load_dwordx2 s[16:17], s[4:5], 0x58
	s_load_dwordx2 s[8:9], s[4:5], 0x8
	s_mov_b64 s[10:11], -1
	s_waitcnt lgkmcnt(0)
	s_bitcmp1_b32 s17, 0
	s_cselect_b64 s[0:1], -1, 0
	s_xor_b64 s[2:3], s[0:1], -1
	s_and_b64 vcc, exec, s[2:3]
                                        ; implicit-def: $sgpr17
	s_cbranch_vccnz .LBB62_4
; %bb.1:
	s_load_dwordx2 s[0:1], s[4:5], 0x48
	s_andn2_b64 vcc, exec, s[10:11]
	s_cbranch_vccz .LBB62_5
.LBB62_2:
	s_and_b64 vcc, exec, s[2:3]
	s_cbranch_vccz .LBB62_6
.LBB62_3:
	s_waitcnt lgkmcnt(0)
	s_load_dword s22, s[0:1], 0x0
	s_cbranch_execz .LBB62_7
	s_branch .LBB62_8
.LBB62_4:
	s_load_dword s17, s[8:9], 0x0
	s_load_dwordx2 s[0:1], s[4:5], 0x48
	s_cbranch_execnz .LBB62_2
.LBB62_5:
	s_waitcnt lgkmcnt(0)
	s_mov_b32 s17, s8
	s_and_b64 vcc, exec, s[2:3]
	s_cbranch_vccnz .LBB62_3
.LBB62_6:
                                        ; implicit-def: $sgpr22
.LBB62_7:
	s_waitcnt lgkmcnt(0)
	s_mov_b32 s22, s0
.LBB62_8:
	s_waitcnt lgkmcnt(0)
	s_cmp_lg_u32 s17, 0
	s_cselect_b64 s[0:1], -1, 0
	s_cmp_lg_u32 s22, 1
	s_cselect_b64 s[2:3], -1, 0
	s_or_b64 s[0:1], s[0:1], s[2:3]
	s_andn2_b64 vcc, exec, s[0:1]
	s_cbranch_vccnz .LBB62_14
; %bb.9:
	s_load_dwordx2 s[8:9], s[4:5], 0x18
	s_load_dwordx2 s[0:1], s[4:5], 0x0
	v_lshrrev_b32_e32 v1, 4, v0
	v_lshl_or_b32 v3, s6, 3, v1
	s_mov_b64 s[2:3], 0
	s_waitcnt lgkmcnt(0)
	s_cmp_lg_u64 s[8:9], 0
	s_cbranch_scc0 .LBB62_15
; %bb.10:
	s_load_dword s6, s[4:5], 0x10
                                        ; implicit-def: $vgpr1
	s_waitcnt lgkmcnt(0)
	v_cmp_gt_i32_e32 vcc, s6, v3
	s_and_saveexec_b64 s[6:7], vcc
	s_xor_b64 s[6:7], exec, s[6:7]
	s_cbranch_execz .LBB62_12
; %bb.11:
	v_ashrrev_i32_e32 v4, 31, v3
	v_lshlrev_b64 v[1:2], 2, v[3:4]
	v_mov_b32_e32 v4, s9
	v_add_co_u32_e32 v1, vcc, s8, v1
	v_addc_co_u32_e32 v2, vcc, v4, v2, vcc
	global_load_dword v1, v[1:2], off
	s_mov_b64 s[2:3], exec
	s_waitcnt vmcnt(0)
	v_subrev_u32_e32 v1, s16, v1
.LBB62_12:
	s_or_b64 exec, exec, s[6:7]
	s_branch .LBB62_16
.LBB62_13:
	v_cmp_gt_i32_e32 vcc, s0, v3
	s_andn2_b64 s[2:3], s[2:3], exec
	s_and_b64 s[6:7], vcc, exec
	s_or_b64 s[2:3], s[2:3], s[6:7]
	s_and_saveexec_b64 s[6:7], s[2:3]
	s_cbranch_execnz .LBB62_17
.LBB62_14:
	s_endpgm
.LBB62_15:
                                        ; implicit-def: $vgpr1
	s_cbranch_execnz .LBB62_13
.LBB62_16:
	v_mov_b32_e32 v3, v1
	s_and_saveexec_b64 s[6:7], s[2:3]
	s_cbranch_execz .LBB62_14
.LBB62_17:
	s_load_dwordx8 s[8:15], s[4:5], 0x20
	v_ashrrev_i32_e32 v4, 31, v3
	v_lshlrev_b64 v[1:2], 2, v[3:4]
	v_and_b32_e32 v8, 15, v0
	s_waitcnt lgkmcnt(0)
	v_mov_b32_e32 v5, s9
	v_add_co_u32_e32 v4, vcc, s8, v1
	v_addc_co_u32_e32 v5, vcc, v5, v2, vcc
	global_load_dword v14, v[4:5], off
	v_add_co_u32_e32 v4, vcc, 4, v4
	v_addc_co_u32_e32 v5, vcc, 0, v5, vcc
	v_mov_b32_e32 v6, s11
	v_add_co_u32_e32 v1, vcc, s10, v1
	s_cmp_eq_u64 s[10:11], 0
	v_addc_co_u32_e32 v2, vcc, v6, v2, vcc
	s_cselect_b64 vcc, -1, 0
	v_cndmask_b32_e32 v2, v2, v5, vcc
	v_cndmask_b32_e32 v1, v1, v4, vcc
	global_load_dword v1, v[1:2], off
	s_load_dwordx2 s[10:11], s[4:5], 0x40
	v_mov_b32_e32 v5, s15
	s_cmp_eq_u32 s1, 1
	s_waitcnt vmcnt(1)
	v_subrev_u32_e32 v0, s16, v14
	v_add_u32_e32 v0, v0, v8
	s_waitcnt vmcnt(0)
	v_subrev_u32_e32 v9, s16, v1
	v_ashrrev_i32_e32 v1, 31, v0
	v_lshlrev_b64 v[1:2], 4, v[0:1]
	v_cmp_lt_i32_e64 s[0:1], v0, v9
	v_add_co_u32_e32 v4, vcc, s14, v1
	v_addc_co_u32_e32 v5, vcc, v5, v2, vcc
	s_cbranch_scc1 .LBB62_29
; %bb.18:
	v_mov_b32_e32 v11, 0
	v_mov_b32_e32 v12, 0
	;; [unrolled: 1-line block ×4, first 2 shown]
	s_and_saveexec_b64 s[14:15], s[0:1]
	s_cbranch_execz .LBB62_28
; %bb.19:
	v_add_u32_e32 v1, v14, v8
	v_subrev_u32_e32 v1, s16, v1
	v_add_u32_e32 v1, 16, v1
	v_max_i32_e32 v1, v1, v9
	v_not_b32_e32 v2, v14
	v_add3_u32 v1, s16, v1, v2
	v_sub_u32_e32 v15, v1, v8
	v_and_b32_e32 v1, 48, v15
	v_mov_b32_e32 v10, 0
	v_mov_b32_e32 v7, v5
	v_cmp_ne_u32_e32 vcc, 48, v1
	v_mov_b32_e32 v13, v10
	v_mov_b32_e32 v12, v10
	;; [unrolled: 1-line block ×5, first 2 shown]
	s_and_saveexec_b64 s[6:7], vcc
	s_cbranch_execz .LBB62_23
; %bb.20:
	v_lshrrev_b32_e32 v1, 4, v15
	v_add_u32_e32 v1, 1, v1
	v_and_b32_e32 v1, 3, v1
	v_mov_b32_e32 v7, v5
	v_sub_u32_e32 v16, 0, v1
	s_mov_b64 s[8:9], 0
	v_mov_b32_e32 v17, s13
	s_waitcnt lgkmcnt(0)
	v_mov_b32_e32 v18, s11
	v_mov_b32_e32 v6, v4
	;; [unrolled: 1-line block ×6, first 2 shown]
.LBB62_21:                              ; =>This Inner Loop Header: Depth=1
	v_ashrrev_i32_e32 v2, 31, v1
	v_lshlrev_b64 v[19:20], 2, v[1:2]
	v_add_co_u32_e64 v16, s[2:3], 1, v16
	v_add_co_u32_e32 v23, vcc, s12, v19
	v_addc_co_u32_e32 v24, vcc, v17, v20, vcc
	global_load_dword v2, v[23:24], off
	global_load_dwordx4 v[19:22], v[6:7], off
	v_add_u32_e32 v1, 16, v1
	s_or_b64 s[8:9], s[2:3], s[8:9]
	s_waitcnt vmcnt(1)
	v_subrev_u32_e32 v2, s16, v2
	v_lshlrev_b32_e32 v2, 2, v2
	v_ashrrev_i32_e32 v24, 31, v2
	v_add_co_u32_e32 v23, vcc, s10, v2
	v_addc_co_u32_e32 v24, vcc, v18, v24, vcc
	global_load_dword v2, v[23:24], off
	v_add_co_u32_e32 v6, vcc, 0x100, v6
	v_addc_co_u32_e32 v7, vcc, 0, v7, vcc
	s_waitcnt vmcnt(0)
	v_dot4_i32_i8 v11, v2, v22, v11
	v_dot4_i32_i8 v12, v2, v21, v12
	;; [unrolled: 1-line block ×4, first 2 shown]
	s_andn2_b64 exec, exec, s[8:9]
	s_cbranch_execnz .LBB62_21
; %bb.22:
	s_or_b64 exec, exec, s[8:9]
.LBB62_23:
	s_or_b64 exec, exec, s[6:7]
	v_cmp_lt_u32_e32 vcc, 47, v15
	s_and_saveexec_b64 s[18:19], vcc
	s_cbranch_execz .LBB62_27
; %bb.24:
	s_mov_b64 s[20:21], 0
	v_mov_b32_e32 v15, s13
	s_waitcnt lgkmcnt(0)
	v_mov_b32_e32 v16, s11
.LBB62_25:                              ; =>This Inner Loop Header: Depth=1
	v_ashrrev_i32_e32 v2, 31, v1
	v_lshlrev_b64 v[17:18], 2, v[1:2]
	v_add_u32_e32 v1, 64, v1
	v_add_co_u32_e32 v33, vcc, s12, v17
	v_addc_co_u32_e32 v34, vcc, v15, v18, vcc
	global_load_dword v2, v[33:34], off
	global_load_dword v35, v[33:34], off offset:64
	global_load_dword v36, v[33:34], off offset:128
	;; [unrolled: 1-line block ×3, first 2 shown]
	global_load_dwordx4 v[17:20], v[6:7], off
	global_load_dwordx4 v[21:24], v[6:7], off offset:256
	global_load_dwordx4 v[25:28], v[6:7], off offset:512
	;; [unrolled: 1-line block ×3, first 2 shown]
	s_waitcnt vmcnt(7)
	v_subrev_u32_e32 v2, s16, v2
	s_waitcnt vmcnt(6)
	v_subrev_u32_e32 v33, s16, v35
	;; [unrolled: 2-line block ×4, first 2 shown]
	v_lshlrev_b32_e32 v2, 2, v2
	v_lshlrev_b32_e32 v33, 2, v33
	;; [unrolled: 1-line block ×4, first 2 shown]
	v_ashrrev_i32_e32 v38, 31, v2
	v_add_co_u32_e64 v39, s[8:9], s10, v2
	v_ashrrev_i32_e32 v41, 31, v33
	v_add_co_u32_e32 v33, vcc, s10, v33
	v_ashrrev_i32_e32 v42, 31, v34
	v_add_co_u32_e64 v35, s[2:3], s10, v34
	v_ashrrev_i32_e32 v43, 31, v36
	v_add_co_u32_e64 v37, s[6:7], s10, v36
	v_addc_co_u32_e64 v40, s[8:9], v16, v38, s[8:9]
	v_addc_co_u32_e32 v34, vcc, v16, v41, vcc
	v_addc_co_u32_e64 v36, vcc, v16, v42, s[2:3]
	v_addc_co_u32_e64 v38, vcc, v16, v43, s[6:7]
	global_load_dword v2, v[39:40], off
	global_load_dword v41, v[33:34], off
	;; [unrolled: 1-line block ×4, first 2 shown]
	v_add_co_u32_e32 v6, vcc, 0x400, v6
	v_addc_co_u32_e32 v7, vcc, 0, v7, vcc
	v_cmp_ge_i32_e32 vcc, v1, v9
	s_or_b64 s[20:21], vcc, s[20:21]
	s_waitcnt vmcnt(3)
	v_dot4_i32_i8 v10, v2, v17, v10
	v_dot4_i32_i8 v13, v2, v18, v13
	v_dot4_i32_i8 v12, v2, v19, v12
	v_dot4_i32_i8 v2, v2, v20, v11
	s_waitcnt vmcnt(2)
	v_dot4_i32_i8 v2, v41, v24, v2
	v_dot4_i32_i8 v11, v41, v23, v12
	v_dot4_i32_i8 v12, v41, v22, v13
	v_dot4_i32_i8 v10, v41, v21, v10
	;; [unrolled: 5-line block ×4, first 2 shown]
	s_andn2_b64 exec, exec, s[20:21]
	s_cbranch_execnz .LBB62_25
; %bb.26:
	s_or_b64 exec, exec, s[20:21]
.LBB62_27:
	s_or_b64 exec, exec, s[18:19]
.LBB62_28:
	s_or_b64 exec, exec, s[14:15]
	s_cbranch_execz .LBB62_30
	s_branch .LBB62_41
.LBB62_29:
                                        ; implicit-def: $vgpr11
                                        ; implicit-def: $vgpr10
                                        ; implicit-def: $vgpr13
                                        ; implicit-def: $vgpr12
.LBB62_30:
	v_mov_b32_e32 v11, 0
	v_mov_b32_e32 v12, 0
	;; [unrolled: 1-line block ×4, first 2 shown]
	s_and_saveexec_b64 s[8:9], s[0:1]
	s_cbranch_execz .LBB62_40
; %bb.31:
	v_add_u32_e32 v1, v14, v8
	v_subrev_u32_e32 v1, s16, v1
	v_add_u32_e32 v1, 16, v1
	v_max_i32_e32 v1, v1, v9
	v_not_b32_e32 v2, v14
	v_add3_u32 v1, s16, v1, v2
	v_sub_u32_e32 v2, v1, v8
	v_and_b32_e32 v1, 48, v2
	v_mov_b32_e32 v10, 0
	v_cmp_ne_u32_e32 vcc, 48, v1
	v_mov_b32_e32 v13, v10
	v_mov_b32_e32 v12, v10
	;; [unrolled: 1-line block ×3, first 2 shown]
	s_and_saveexec_b64 s[2:3], vcc
	s_cbranch_execz .LBB62_35
; %bb.32:
	v_lshrrev_b32_e32 v1, 4, v2
	v_add_u32_e32 v1, 1, v1
	v_and_b32_e32 v1, 3, v1
	v_sub_u32_e32 v6, 0, v1
	s_mov_b64 s[6:7], 0
	v_mov_b32_e32 v7, s13
	s_waitcnt lgkmcnt(0)
	v_mov_b32_e32 v14, s11
	s_mov_b32 s14, 0xc0c0703
	s_mov_b32 s15, 0x7030c0c
	;; [unrolled: 1-line block ×8, first 2 shown]
	v_mov_b32_e32 v13, 0
	v_mov_b32_e32 v12, 0
	;; [unrolled: 1-line block ×3, first 2 shown]
.LBB62_33:                              ; =>This Inner Loop Header: Depth=1
	v_ashrrev_i32_e32 v1, 31, v0
	v_lshlrev_b64 v[15:16], 2, v[0:1]
	v_add_co_u32_e64 v6, s[0:1], 1, v6
	v_add_co_u32_e32 v19, vcc, s12, v15
	v_addc_co_u32_e32 v20, vcc, v7, v16, vcc
	global_load_dword v1, v[19:20], off
	global_load_dwordx4 v[15:18], v[4:5], off
	v_add_u32_e32 v0, 16, v0
	s_or_b64 s[6:7], s[0:1], s[6:7]
	s_waitcnt vmcnt(1)
	v_subrev_u32_e32 v1, s16, v1
	v_lshlrev_b32_e32 v1, 2, v1
	v_ashrrev_i32_e32 v20, 31, v1
	v_add_co_u32_e32 v19, vcc, s10, v1
	v_addc_co_u32_e32 v20, vcc, v14, v20, vcc
	global_load_dword v1, v[19:20], off
	s_waitcnt vmcnt(1)
	v_perm_b32 v19, v16, v15, s14
	v_perm_b32 v20, v18, v17, s15
	;; [unrolled: 1-line block ×8, first 2 shown]
	v_add_co_u32_e32 v4, vcc, 0x100, v4
	v_or_b32_e32 v17, v20, v19
	v_or_b32_e32 v18, v22, v21
	;; [unrolled: 1-line block ×4, first 2 shown]
	v_addc_co_u32_e32 v5, vcc, 0, v5, vcc
	s_waitcnt vmcnt(0)
	v_dot4_i32_i8 v11, v1, v17, v11
	v_dot4_i32_i8 v12, v1, v18, v12
	;; [unrolled: 1-line block ×4, first 2 shown]
	s_andn2_b64 exec, exec, s[6:7]
	s_cbranch_execnz .LBB62_33
; %bb.34:
	s_or_b64 exec, exec, s[6:7]
.LBB62_35:
	s_or_b64 exec, exec, s[2:3]
	v_cmp_lt_u32_e32 vcc, 47, v2
	s_and_saveexec_b64 s[14:15], vcc
	s_cbranch_execz .LBB62_39
; %bb.36:
	s_mov_b64 s[18:19], 0
	v_mov_b32_e32 v2, s13
	s_waitcnt lgkmcnt(0)
	v_mov_b32_e32 v6, s11
	s_mov_b32 s11, 0xc0c0400
	s_mov_b32 s13, 0x4000c0c
	;; [unrolled: 1-line block ×8, first 2 shown]
.LBB62_37:                              ; =>This Inner Loop Header: Depth=1
	v_ashrrev_i32_e32 v1, 31, v0
	v_lshlrev_b64 v[14:15], 2, v[0:1]
	v_add_u32_e32 v0, 64, v0
	v_add_co_u32_e32 v30, vcc, s12, v14
	v_addc_co_u32_e32 v31, vcc, v2, v15, vcc
	global_load_dword v1, v[30:31], off
	global_load_dword v7, v[30:31], off offset:64
	global_load_dword v32, v[30:31], off offset:128
	global_load_dword v33, v[30:31], off offset:192
	global_load_dwordx4 v[14:17], v[4:5], off
	global_load_dwordx4 v[18:21], v[4:5], off offset:256
	global_load_dwordx4 v[22:25], v[4:5], off offset:512
	;; [unrolled: 1-line block ×3, first 2 shown]
	s_waitcnt vmcnt(7)
	v_subrev_u32_e32 v1, s16, v1
	s_waitcnt vmcnt(6)
	v_subrev_u32_e32 v7, s16, v7
	;; [unrolled: 2-line block ×4, first 2 shown]
	v_lshlrev_b32_e32 v1, 2, v1
	v_lshlrev_b32_e32 v7, 2, v7
	;; [unrolled: 1-line block ×4, first 2 shown]
	v_ashrrev_i32_e32 v33, 31, v1
	v_add_co_u32_e64 v36, s[6:7], s10, v1
	v_ashrrev_i32_e32 v35, 31, v7
	v_add_co_u32_e32 v30, vcc, s10, v7
	v_ashrrev_i32_e32 v7, 31, v32
	v_add_co_u32_e64 v32, s[0:1], s10, v32
	v_ashrrev_i32_e32 v38, 31, v31
	v_add_co_u32_e64 v34, s[2:3], s10, v31
	v_addc_co_u32_e64 v37, s[6:7], v6, v33, s[6:7]
	v_addc_co_u32_e32 v31, vcc, v6, v35, vcc
	v_addc_co_u32_e64 v33, vcc, v6, v7, s[0:1]
	v_addc_co_u32_e64 v35, vcc, v6, v38, s[2:3]
	global_load_dword v1, v[36:37], off
	global_load_dword v7, v[30:31], off
	;; [unrolled: 1-line block ×4, first 2 shown]
	s_waitcnt vmcnt(7)
	v_perm_b32 v30, v15, v14, s11
	v_perm_b32 v31, v17, v16, s13
	v_perm_b32 v32, v15, v14, s20
	v_perm_b32 v33, v17, v16, s21
	v_perm_b32 v34, v15, v14, s23
	v_perm_b32 v35, v17, v16, s24
	v_perm_b32 v14, v15, v14, s25
	v_perm_b32 v15, v17, v16, s26
	s_waitcnt vmcnt(6)
	v_perm_b32 v16, v19, v18, s25
	v_perm_b32 v17, v21, v20, s26
	v_perm_b32 v36, v19, v18, s23
	v_perm_b32 v37, v21, v20, s24
	v_perm_b32 v40, v19, v18, s20
	v_perm_b32 v41, v21, v20, s21
	v_perm_b32 v18, v19, v18, s11
	v_perm_b32 v19, v21, v20, s13
	s_waitcnt vmcnt(5)
	v_perm_b32 v20, v23, v22, s11
	v_perm_b32 v21, v25, v24, s13
	v_perm_b32 v42, v23, v22, s20
	v_perm_b32 v43, v25, v24, s21
	v_perm_b32 v44, v23, v22, s23
	v_perm_b32 v45, v25, v24, s24
	v_perm_b32 v22, v23, v22, s25
	v_perm_b32 v23, v25, v24, s26
	s_waitcnt vmcnt(4)
	v_perm_b32 v24, v27, v26, s25
	v_perm_b32 v25, v29, v28, s26
	v_perm_b32 v46, v27, v26, s23
	v_perm_b32 v47, v29, v28, s24
	v_perm_b32 v48, v27, v26, s20
	v_perm_b32 v49, v29, v28, s21
	v_perm_b32 v26, v27, v26, s11
	v_perm_b32 v27, v29, v28, s13
	v_or_b32_e32 v28, v31, v30
	v_or_b32_e32 v29, v33, v32
	;; [unrolled: 1-line block ×4, first 2 shown]
	v_add_co_u32_e32 v4, vcc, 0x400, v4
	v_or_b32_e32 v15, v17, v16
	v_or_b32_e32 v16, v37, v36
	;; [unrolled: 1-line block ×4, first 2 shown]
	v_addc_co_u32_e32 v5, vcc, 0, v5, vcc
	v_or_b32_e32 v19, v21, v20
	v_or_b32_e32 v20, v43, v42
	;; [unrolled: 1-line block ×4, first 2 shown]
	v_cmp_ge_i32_e32 vcc, v0, v9
	v_or_b32_e32 v23, v25, v24
	v_or_b32_e32 v24, v47, v46
	;; [unrolled: 1-line block ×4, first 2 shown]
	s_or_b64 s[18:19], vcc, s[18:19]
	s_waitcnt vmcnt(3)
	v_dot4_i32_i8 v10, v1, v28, v10
	v_dot4_i32_i8 v13, v1, v29, v13
	v_dot4_i32_i8 v12, v1, v30, v12
	v_dot4_i32_i8 v1, v1, v14, v11
	s_waitcnt vmcnt(2)
	v_dot4_i32_i8 v1, v7, v15, v1
	v_dot4_i32_i8 v11, v7, v16, v12
	v_dot4_i32_i8 v12, v7, v17, v13
	v_dot4_i32_i8 v7, v7, v18, v10
	;; [unrolled: 5-line block ×4, first 2 shown]
	s_andn2_b64 exec, exec, s[18:19]
	s_cbranch_execnz .LBB62_37
; %bb.38:
	s_or_b64 exec, exec, s[18:19]
.LBB62_39:
	s_or_b64 exec, exec, s[14:15]
.LBB62_40:
	s_or_b64 exec, exec, s[8:9]
.LBB62_41:
	v_mov_b32_dpp v0, v10 row_shr:1 row_mask:0xf bank_mask:0xf
	v_mov_b32_dpp v2, v13 row_shr:1 row_mask:0xf bank_mask:0xf
	v_mov_b32_dpp v5, v12 row_shr:1 row_mask:0xf bank_mask:0xf
	v_mov_b32_dpp v7, v11 row_shr:1 row_mask:0xf bank_mask:0xf
	v_add_u32_e32 v0, v0, v10
	v_add_u32_e32 v2, v2, v13
	v_add_u32_e32 v5, v5, v12
	v_add_u32_e32 v7, v7, v11
	v_mov_b32_dpp v1, v0 row_shr:2 row_mask:0xf bank_mask:0xf
	v_mov_b32_dpp v4, v2 row_shr:2 row_mask:0xf bank_mask:0xf
	v_mov_b32_dpp v6, v5 row_shr:2 row_mask:0xf bank_mask:0xf
	v_mov_b32_dpp v9, v7 row_shr:2 row_mask:0xf bank_mask:0xf
	v_add_u32_e32 v0, v0, v1
	v_add_u32_e32 v2, v2, v4
	v_add_u32_e32 v5, v5, v6
	v_add_u32_e32 v7, v7, v9
	;; [unrolled: 8-line block ×3, first 2 shown]
	v_mov_b32_dpp v1, v0 row_shr:8 row_mask:0xf bank_mask:0xc
	v_mov_b32_dpp v4, v2 row_shr:8 row_mask:0xf bank_mask:0xc
	;; [unrolled: 1-line block ×4, first 2 shown]
	v_cmp_eq_u32_e32 vcc, 15, v8
	s_and_b64 exec, exec, vcc
	s_cbranch_execz .LBB62_14
; %bb.42:
	s_load_dwordx2 s[0:1], s[4:5], 0x50
	v_add_u32_e32 v0, v0, v1
	v_add_u32_e32 v1, v2, v4
	;; [unrolled: 1-line block ×4, first 2 shown]
	v_mul_lo_u32 v0, v0, s17
	v_mul_lo_u32 v1, v1, s17
	;; [unrolled: 1-line block ×4, first 2 shown]
	s_cmp_eq_u32 s22, 0
	v_lshlrev_b32_e32 v5, 2, v3
	s_cbranch_scc1 .LBB62_44
; %bb.43:
	v_ashrrev_i32_e32 v6, 31, v5
	v_lshlrev_b64 v[6:7], 2, v[5:6]
	s_waitcnt lgkmcnt(0)
	v_mov_b32_e32 v3, s1
	v_add_co_u32_e32 v14, vcc, s0, v6
	v_addc_co_u32_e32 v15, vcc, v3, v7, vcc
	global_load_dwordx4 v[6:9], v[14:15], off
	s_waitcnt vmcnt(0)
	v_mad_u64_u32 v[10:11], s[2:3], v6, s22, v[0:1]
	v_mad_u64_u32 v[16:17], s[2:3], v9, s22, v[4:5]
	;; [unrolled: 1-line block ×4, first 2 shown]
	v_mov_b32_e32 v13, v16
	global_store_dwordx4 v[14:15], v[10:13], off
	s_cbranch_execnz .LBB62_14
	s_branch .LBB62_45
.LBB62_44:
.LBB62_45:
	v_ashrrev_i32_e32 v6, 31, v5
	v_lshlrev_b64 v[5:6], 2, v[5:6]
	s_waitcnt lgkmcnt(0)
	v_mov_b32_e32 v3, s1
	v_add_co_u32_e32 v5, vcc, s0, v5
	v_addc_co_u32_e32 v6, vcc, v3, v6, vcc
	v_mov_b32_e32 v3, v4
	global_store_dwordx4 v[5:6], v[0:3], off
	s_endpgm
	.section	.rodata,"a",@progbits
	.p2align	6, 0x0
	.amdhsa_kernel _ZN9rocsparseL18bsrxmvn_4x4_kernelILj128ELj16EiiiaaiEEvT3_20rocsparse_direction_NS_24const_host_device_scalarIT1_EES1_PKS1_PKT2_SA_S7_PKT4_PKT5_S5_PT6_21rocsparse_index_base_b
		.amdhsa_group_segment_fixed_size 0
		.amdhsa_private_segment_fixed_size 0
		.amdhsa_kernarg_size 96
		.amdhsa_user_sgpr_count 6
		.amdhsa_user_sgpr_private_segment_buffer 1
		.amdhsa_user_sgpr_dispatch_ptr 0
		.amdhsa_user_sgpr_queue_ptr 0
		.amdhsa_user_sgpr_kernarg_segment_ptr 1
		.amdhsa_user_sgpr_dispatch_id 0
		.amdhsa_user_sgpr_flat_scratch_init 0
		.amdhsa_user_sgpr_private_segment_size 0
		.amdhsa_uses_dynamic_stack 0
		.amdhsa_system_sgpr_private_segment_wavefront_offset 0
		.amdhsa_system_sgpr_workgroup_id_x 1
		.amdhsa_system_sgpr_workgroup_id_y 0
		.amdhsa_system_sgpr_workgroup_id_z 0
		.amdhsa_system_sgpr_workgroup_info 0
		.amdhsa_system_vgpr_workitem_id 0
		.amdhsa_next_free_vgpr 50
		.amdhsa_next_free_sgpr 27
		.amdhsa_reserve_vcc 1
		.amdhsa_reserve_flat_scratch 0
		.amdhsa_float_round_mode_32 0
		.amdhsa_float_round_mode_16_64 0
		.amdhsa_float_denorm_mode_32 3
		.amdhsa_float_denorm_mode_16_64 3
		.amdhsa_dx10_clamp 1
		.amdhsa_ieee_mode 1
		.amdhsa_fp16_overflow 0
		.amdhsa_exception_fp_ieee_invalid_op 0
		.amdhsa_exception_fp_denorm_src 0
		.amdhsa_exception_fp_ieee_div_zero 0
		.amdhsa_exception_fp_ieee_overflow 0
		.amdhsa_exception_fp_ieee_underflow 0
		.amdhsa_exception_fp_ieee_inexact 0
		.amdhsa_exception_int_div_zero 0
	.end_amdhsa_kernel
	.section	.text._ZN9rocsparseL18bsrxmvn_4x4_kernelILj128ELj16EiiiaaiEEvT3_20rocsparse_direction_NS_24const_host_device_scalarIT1_EES1_PKS1_PKT2_SA_S7_PKT4_PKT5_S5_PT6_21rocsparse_index_base_b,"axG",@progbits,_ZN9rocsparseL18bsrxmvn_4x4_kernelILj128ELj16EiiiaaiEEvT3_20rocsparse_direction_NS_24const_host_device_scalarIT1_EES1_PKS1_PKT2_SA_S7_PKT4_PKT5_S5_PT6_21rocsparse_index_base_b,comdat
.Lfunc_end62:
	.size	_ZN9rocsparseL18bsrxmvn_4x4_kernelILj128ELj16EiiiaaiEEvT3_20rocsparse_direction_NS_24const_host_device_scalarIT1_EES1_PKS1_PKT2_SA_S7_PKT4_PKT5_S5_PT6_21rocsparse_index_base_b, .Lfunc_end62-_ZN9rocsparseL18bsrxmvn_4x4_kernelILj128ELj16EiiiaaiEEvT3_20rocsparse_direction_NS_24const_host_device_scalarIT1_EES1_PKS1_PKT2_SA_S7_PKT4_PKT5_S5_PT6_21rocsparse_index_base_b
                                        ; -- End function
	.set _ZN9rocsparseL18bsrxmvn_4x4_kernelILj128ELj16EiiiaaiEEvT3_20rocsparse_direction_NS_24const_host_device_scalarIT1_EES1_PKS1_PKT2_SA_S7_PKT4_PKT5_S5_PT6_21rocsparse_index_base_b.num_vgpr, 50
	.set _ZN9rocsparseL18bsrxmvn_4x4_kernelILj128ELj16EiiiaaiEEvT3_20rocsparse_direction_NS_24const_host_device_scalarIT1_EES1_PKS1_PKT2_SA_S7_PKT4_PKT5_S5_PT6_21rocsparse_index_base_b.num_agpr, 0
	.set _ZN9rocsparseL18bsrxmvn_4x4_kernelILj128ELj16EiiiaaiEEvT3_20rocsparse_direction_NS_24const_host_device_scalarIT1_EES1_PKS1_PKT2_SA_S7_PKT4_PKT5_S5_PT6_21rocsparse_index_base_b.numbered_sgpr, 27
	.set _ZN9rocsparseL18bsrxmvn_4x4_kernelILj128ELj16EiiiaaiEEvT3_20rocsparse_direction_NS_24const_host_device_scalarIT1_EES1_PKS1_PKT2_SA_S7_PKT4_PKT5_S5_PT6_21rocsparse_index_base_b.num_named_barrier, 0
	.set _ZN9rocsparseL18bsrxmvn_4x4_kernelILj128ELj16EiiiaaiEEvT3_20rocsparse_direction_NS_24const_host_device_scalarIT1_EES1_PKS1_PKT2_SA_S7_PKT4_PKT5_S5_PT6_21rocsparse_index_base_b.private_seg_size, 0
	.set _ZN9rocsparseL18bsrxmvn_4x4_kernelILj128ELj16EiiiaaiEEvT3_20rocsparse_direction_NS_24const_host_device_scalarIT1_EES1_PKS1_PKT2_SA_S7_PKT4_PKT5_S5_PT6_21rocsparse_index_base_b.uses_vcc, 1
	.set _ZN9rocsparseL18bsrxmvn_4x4_kernelILj128ELj16EiiiaaiEEvT3_20rocsparse_direction_NS_24const_host_device_scalarIT1_EES1_PKS1_PKT2_SA_S7_PKT4_PKT5_S5_PT6_21rocsparse_index_base_b.uses_flat_scratch, 0
	.set _ZN9rocsparseL18bsrxmvn_4x4_kernelILj128ELj16EiiiaaiEEvT3_20rocsparse_direction_NS_24const_host_device_scalarIT1_EES1_PKS1_PKT2_SA_S7_PKT4_PKT5_S5_PT6_21rocsparse_index_base_b.has_dyn_sized_stack, 0
	.set _ZN9rocsparseL18bsrxmvn_4x4_kernelILj128ELj16EiiiaaiEEvT3_20rocsparse_direction_NS_24const_host_device_scalarIT1_EES1_PKS1_PKT2_SA_S7_PKT4_PKT5_S5_PT6_21rocsparse_index_base_b.has_recursion, 0
	.set _ZN9rocsparseL18bsrxmvn_4x4_kernelILj128ELj16EiiiaaiEEvT3_20rocsparse_direction_NS_24const_host_device_scalarIT1_EES1_PKS1_PKT2_SA_S7_PKT4_PKT5_S5_PT6_21rocsparse_index_base_b.has_indirect_call, 0
	.section	.AMDGPU.csdata,"",@progbits
; Kernel info:
; codeLenInByte = 2928
; TotalNumSgprs: 31
; NumVgprs: 50
; ScratchSize: 0
; MemoryBound: 0
; FloatMode: 240
; IeeeMode: 1
; LDSByteSize: 0 bytes/workgroup (compile time only)
; SGPRBlocks: 3
; VGPRBlocks: 12
; NumSGPRsForWavesPerEU: 31
; NumVGPRsForWavesPerEU: 50
; Occupancy: 4
; WaveLimiterHint : 1
; COMPUTE_PGM_RSRC2:SCRATCH_EN: 0
; COMPUTE_PGM_RSRC2:USER_SGPR: 6
; COMPUTE_PGM_RSRC2:TRAP_HANDLER: 0
; COMPUTE_PGM_RSRC2:TGID_X_EN: 1
; COMPUTE_PGM_RSRC2:TGID_Y_EN: 0
; COMPUTE_PGM_RSRC2:TGID_Z_EN: 0
; COMPUTE_PGM_RSRC2:TIDIG_COMP_CNT: 0
	.section	.text._ZN9rocsparseL18bsrxmvn_4x4_kernelILj128ELj32EiiiaaiEEvT3_20rocsparse_direction_NS_24const_host_device_scalarIT1_EES1_PKS1_PKT2_SA_S7_PKT4_PKT5_S5_PT6_21rocsparse_index_base_b,"axG",@progbits,_ZN9rocsparseL18bsrxmvn_4x4_kernelILj128ELj32EiiiaaiEEvT3_20rocsparse_direction_NS_24const_host_device_scalarIT1_EES1_PKS1_PKT2_SA_S7_PKT4_PKT5_S5_PT6_21rocsparse_index_base_b,comdat
	.globl	_ZN9rocsparseL18bsrxmvn_4x4_kernelILj128ELj32EiiiaaiEEvT3_20rocsparse_direction_NS_24const_host_device_scalarIT1_EES1_PKS1_PKT2_SA_S7_PKT4_PKT5_S5_PT6_21rocsparse_index_base_b ; -- Begin function _ZN9rocsparseL18bsrxmvn_4x4_kernelILj128ELj32EiiiaaiEEvT3_20rocsparse_direction_NS_24const_host_device_scalarIT1_EES1_PKS1_PKT2_SA_S7_PKT4_PKT5_S5_PT6_21rocsparse_index_base_b
	.p2align	8
	.type	_ZN9rocsparseL18bsrxmvn_4x4_kernelILj128ELj32EiiiaaiEEvT3_20rocsparse_direction_NS_24const_host_device_scalarIT1_EES1_PKS1_PKT2_SA_S7_PKT4_PKT5_S5_PT6_21rocsparse_index_base_b,@function
_ZN9rocsparseL18bsrxmvn_4x4_kernelILj128ELj32EiiiaaiEEvT3_20rocsparse_direction_NS_24const_host_device_scalarIT1_EES1_PKS1_PKT2_SA_S7_PKT4_PKT5_S5_PT6_21rocsparse_index_base_b: ; @_ZN9rocsparseL18bsrxmvn_4x4_kernelILj128ELj32EiiiaaiEEvT3_20rocsparse_direction_NS_24const_host_device_scalarIT1_EES1_PKS1_PKT2_SA_S7_PKT4_PKT5_S5_PT6_21rocsparse_index_base_b
; %bb.0:
	s_load_dwordx2 s[16:17], s[4:5], 0x58
	s_load_dwordx2 s[8:9], s[4:5], 0x8
	s_mov_b64 s[10:11], -1
	s_waitcnt lgkmcnt(0)
	s_bitcmp1_b32 s17, 0
	s_cselect_b64 s[0:1], -1, 0
	s_xor_b64 s[2:3], s[0:1], -1
	s_and_b64 vcc, exec, s[2:3]
                                        ; implicit-def: $sgpr17
	s_cbranch_vccnz .LBB63_4
; %bb.1:
	s_load_dwordx2 s[0:1], s[4:5], 0x48
	s_andn2_b64 vcc, exec, s[10:11]
	s_cbranch_vccz .LBB63_5
.LBB63_2:
	s_and_b64 vcc, exec, s[2:3]
	s_cbranch_vccz .LBB63_6
.LBB63_3:
	s_waitcnt lgkmcnt(0)
	s_load_dword s22, s[0:1], 0x0
	s_cbranch_execz .LBB63_7
	s_branch .LBB63_8
.LBB63_4:
	s_load_dword s17, s[8:9], 0x0
	s_load_dwordx2 s[0:1], s[4:5], 0x48
	s_cbranch_execnz .LBB63_2
.LBB63_5:
	s_waitcnt lgkmcnt(0)
	s_mov_b32 s17, s8
	s_and_b64 vcc, exec, s[2:3]
	s_cbranch_vccnz .LBB63_3
.LBB63_6:
                                        ; implicit-def: $sgpr22
.LBB63_7:
	s_waitcnt lgkmcnt(0)
	s_mov_b32 s22, s0
.LBB63_8:
	s_waitcnt lgkmcnt(0)
	s_cmp_lg_u32 s17, 0
	s_cselect_b64 s[0:1], -1, 0
	s_cmp_lg_u32 s22, 1
	s_cselect_b64 s[2:3], -1, 0
	s_or_b64 s[0:1], s[0:1], s[2:3]
	s_andn2_b64 vcc, exec, s[0:1]
	s_cbranch_vccnz .LBB63_14
; %bb.9:
	s_load_dwordx2 s[8:9], s[4:5], 0x18
	s_load_dwordx2 s[0:1], s[4:5], 0x0
	v_lshrrev_b32_e32 v1, 5, v0
	v_lshl_or_b32 v3, s6, 2, v1
	s_mov_b64 s[2:3], 0
	s_waitcnt lgkmcnt(0)
	s_cmp_lg_u64 s[8:9], 0
	s_cbranch_scc0 .LBB63_15
; %bb.10:
	s_load_dword s6, s[4:5], 0x10
                                        ; implicit-def: $vgpr1
	s_waitcnt lgkmcnt(0)
	v_cmp_gt_i32_e32 vcc, s6, v3
	s_and_saveexec_b64 s[6:7], vcc
	s_xor_b64 s[6:7], exec, s[6:7]
	s_cbranch_execz .LBB63_12
; %bb.11:
	v_ashrrev_i32_e32 v4, 31, v3
	v_lshlrev_b64 v[1:2], 2, v[3:4]
	v_mov_b32_e32 v4, s9
	v_add_co_u32_e32 v1, vcc, s8, v1
	v_addc_co_u32_e32 v2, vcc, v4, v2, vcc
	global_load_dword v1, v[1:2], off
	s_mov_b64 s[2:3], exec
	s_waitcnt vmcnt(0)
	v_subrev_u32_e32 v1, s16, v1
.LBB63_12:
	s_or_b64 exec, exec, s[6:7]
	s_branch .LBB63_16
.LBB63_13:
	v_cmp_gt_i32_e32 vcc, s0, v3
	s_andn2_b64 s[2:3], s[2:3], exec
	s_and_b64 s[6:7], vcc, exec
	s_or_b64 s[2:3], s[2:3], s[6:7]
	s_and_saveexec_b64 s[6:7], s[2:3]
	s_cbranch_execnz .LBB63_17
.LBB63_14:
	s_endpgm
.LBB63_15:
                                        ; implicit-def: $vgpr1
	s_cbranch_execnz .LBB63_13
.LBB63_16:
	v_mov_b32_e32 v3, v1
	s_and_saveexec_b64 s[6:7], s[2:3]
	s_cbranch_execz .LBB63_14
.LBB63_17:
	s_load_dwordx8 s[8:15], s[4:5], 0x20
	v_ashrrev_i32_e32 v4, 31, v3
	v_lshlrev_b64 v[1:2], 2, v[3:4]
	v_and_b32_e32 v8, 31, v0
	s_waitcnt lgkmcnt(0)
	v_mov_b32_e32 v5, s9
	v_add_co_u32_e32 v4, vcc, s8, v1
	v_addc_co_u32_e32 v5, vcc, v5, v2, vcc
	global_load_dword v14, v[4:5], off
	v_add_co_u32_e32 v4, vcc, 4, v4
	v_addc_co_u32_e32 v5, vcc, 0, v5, vcc
	v_mov_b32_e32 v6, s11
	v_add_co_u32_e32 v1, vcc, s10, v1
	s_cmp_eq_u64 s[10:11], 0
	v_addc_co_u32_e32 v2, vcc, v6, v2, vcc
	s_cselect_b64 vcc, -1, 0
	v_cndmask_b32_e32 v2, v2, v5, vcc
	v_cndmask_b32_e32 v1, v1, v4, vcc
	global_load_dword v1, v[1:2], off
	s_load_dwordx2 s[10:11], s[4:5], 0x40
	v_mov_b32_e32 v5, s15
	s_cmp_eq_u32 s1, 1
	s_waitcnt vmcnt(1)
	v_subrev_u32_e32 v0, s16, v14
	v_add_u32_e32 v0, v0, v8
	s_waitcnt vmcnt(0)
	v_subrev_u32_e32 v9, s16, v1
	v_ashrrev_i32_e32 v1, 31, v0
	v_lshlrev_b64 v[1:2], 4, v[0:1]
	v_cmp_lt_i32_e64 s[0:1], v0, v9
	v_add_co_u32_e32 v4, vcc, s14, v1
	v_addc_co_u32_e32 v5, vcc, v5, v2, vcc
	s_cbranch_scc1 .LBB63_29
; %bb.18:
	v_mov_b32_e32 v10, 0
	v_mov_b32_e32 v12, 0
	;; [unrolled: 1-line block ×4, first 2 shown]
	s_and_saveexec_b64 s[14:15], s[0:1]
	s_cbranch_execz .LBB63_28
; %bb.19:
	v_add_u32_e32 v1, v14, v8
	v_subrev_u32_e32 v1, s16, v1
	v_add_u32_e32 v1, 32, v1
	v_max_i32_e32 v1, v1, v9
	v_not_b32_e32 v2, v14
	v_add3_u32 v1, s16, v1, v2
	v_sub_u32_e32 v15, v1, v8
	s_movk_i32 s2, 0x60
	v_and_b32_e32 v1, 0x60, v15
	v_mov_b32_e32 v11, 0
	v_mov_b32_e32 v7, v5
	v_cmp_ne_u32_e32 vcc, s2, v1
	v_mov_b32_e32 v13, v11
	v_mov_b32_e32 v12, v11
	;; [unrolled: 1-line block ×5, first 2 shown]
	s_and_saveexec_b64 s[6:7], vcc
	s_cbranch_execz .LBB63_23
; %bb.20:
	v_lshrrev_b32_e32 v1, 5, v15
	v_add_u32_e32 v1, 1, v1
	v_and_b32_e32 v1, 3, v1
	v_mov_b32_e32 v7, v5
	v_sub_u32_e32 v16, 0, v1
	s_mov_b64 s[8:9], 0
	v_mov_b32_e32 v17, s13
	s_waitcnt lgkmcnt(0)
	v_mov_b32_e32 v18, s11
	v_mov_b32_e32 v6, v4
	;; [unrolled: 1-line block ×6, first 2 shown]
.LBB63_21:                              ; =>This Inner Loop Header: Depth=1
	v_ashrrev_i32_e32 v2, 31, v1
	v_lshlrev_b64 v[19:20], 2, v[1:2]
	v_add_co_u32_e64 v16, s[2:3], 1, v16
	v_add_co_u32_e32 v23, vcc, s12, v19
	v_addc_co_u32_e32 v24, vcc, v17, v20, vcc
	global_load_dword v2, v[23:24], off
	global_load_dwordx4 v[19:22], v[6:7], off
	v_add_u32_e32 v1, 32, v1
	s_or_b64 s[8:9], s[2:3], s[8:9]
	s_waitcnt vmcnt(1)
	v_subrev_u32_e32 v2, s16, v2
	v_lshlrev_b32_e32 v2, 2, v2
	v_ashrrev_i32_e32 v24, 31, v2
	v_add_co_u32_e32 v23, vcc, s10, v2
	v_addc_co_u32_e32 v24, vcc, v18, v24, vcc
	global_load_dword v2, v[23:24], off
	v_add_co_u32_e32 v6, vcc, 0x200, v6
	v_addc_co_u32_e32 v7, vcc, 0, v7, vcc
	s_waitcnt vmcnt(0)
	v_dot4_i32_i8 v10, v2, v22, v10
	v_dot4_i32_i8 v12, v2, v21, v12
	;; [unrolled: 1-line block ×4, first 2 shown]
	s_andn2_b64 exec, exec, s[8:9]
	s_cbranch_execnz .LBB63_21
; %bb.22:
	s_or_b64 exec, exec, s[8:9]
.LBB63_23:
	s_or_b64 exec, exec, s[6:7]
	s_movk_i32 s2, 0x5f
	v_cmp_lt_u32_e32 vcc, s2, v15
	s_and_saveexec_b64 s[18:19], vcc
	s_cbranch_execz .LBB63_27
; %bb.24:
	s_mov_b64 s[20:21], 0
	v_mov_b32_e32 v15, s13
	s_waitcnt lgkmcnt(0)
	v_mov_b32_e32 v16, s11
.LBB63_25:                              ; =>This Inner Loop Header: Depth=1
	v_ashrrev_i32_e32 v2, 31, v1
	v_lshlrev_b64 v[17:18], 2, v[1:2]
	v_add_u32_e32 v1, 0x80, v1
	v_add_co_u32_e32 v33, vcc, s12, v17
	v_addc_co_u32_e32 v34, vcc, v15, v18, vcc
	global_load_dword v2, v[33:34], off
	global_load_dword v35, v[33:34], off offset:128
	global_load_dword v36, v[33:34], off offset:256
	;; [unrolled: 1-line block ×3, first 2 shown]
	global_load_dwordx4 v[17:20], v[6:7], off
	global_load_dwordx4 v[21:24], v[6:7], off offset:512
	global_load_dwordx4 v[25:28], v[6:7], off offset:1024
	;; [unrolled: 1-line block ×3, first 2 shown]
	s_waitcnt vmcnt(7)
	v_subrev_u32_e32 v2, s16, v2
	s_waitcnt vmcnt(6)
	v_subrev_u32_e32 v33, s16, v35
	;; [unrolled: 2-line block ×4, first 2 shown]
	v_lshlrev_b32_e32 v2, 2, v2
	v_lshlrev_b32_e32 v33, 2, v33
	;; [unrolled: 1-line block ×4, first 2 shown]
	v_ashrrev_i32_e32 v38, 31, v2
	v_add_co_u32_e64 v39, s[8:9], s10, v2
	v_ashrrev_i32_e32 v41, 31, v33
	v_add_co_u32_e32 v33, vcc, s10, v33
	v_ashrrev_i32_e32 v42, 31, v34
	v_add_co_u32_e64 v35, s[2:3], s10, v34
	v_ashrrev_i32_e32 v43, 31, v36
	v_add_co_u32_e64 v37, s[6:7], s10, v36
	v_addc_co_u32_e64 v40, s[8:9], v16, v38, s[8:9]
	v_addc_co_u32_e32 v34, vcc, v16, v41, vcc
	v_addc_co_u32_e64 v36, vcc, v16, v42, s[2:3]
	v_addc_co_u32_e64 v38, vcc, v16, v43, s[6:7]
	global_load_dword v2, v[39:40], off
	global_load_dword v41, v[33:34], off
	;; [unrolled: 1-line block ×4, first 2 shown]
	v_add_co_u32_e32 v6, vcc, 0x800, v6
	v_addc_co_u32_e32 v7, vcc, 0, v7, vcc
	v_cmp_ge_i32_e32 vcc, v1, v9
	s_or_b64 s[20:21], vcc, s[20:21]
	s_waitcnt vmcnt(3)
	v_dot4_i32_i8 v11, v2, v17, v11
	v_dot4_i32_i8 v13, v2, v18, v13
	v_dot4_i32_i8 v12, v2, v19, v12
	v_dot4_i32_i8 v2, v2, v20, v10
	s_waitcnt vmcnt(2)
	v_dot4_i32_i8 v2, v41, v24, v2
	v_dot4_i32_i8 v10, v41, v23, v12
	v_dot4_i32_i8 v12, v41, v22, v13
	v_dot4_i32_i8 v11, v41, v21, v11
	;; [unrolled: 5-line block ×4, first 2 shown]
	s_andn2_b64 exec, exec, s[20:21]
	s_cbranch_execnz .LBB63_25
; %bb.26:
	s_or_b64 exec, exec, s[20:21]
.LBB63_27:
	s_or_b64 exec, exec, s[18:19]
.LBB63_28:
	s_or_b64 exec, exec, s[14:15]
	s_cbranch_execz .LBB63_30
	s_branch .LBB63_41
.LBB63_29:
                                        ; implicit-def: $vgpr10
                                        ; implicit-def: $vgpr11
                                        ; implicit-def: $vgpr13
                                        ; implicit-def: $vgpr12
.LBB63_30:
	v_mov_b32_e32 v10, 0
	v_mov_b32_e32 v12, 0
	;; [unrolled: 1-line block ×4, first 2 shown]
	s_and_saveexec_b64 s[8:9], s[0:1]
	s_cbranch_execz .LBB63_40
; %bb.31:
	v_add_u32_e32 v1, v14, v8
	v_subrev_u32_e32 v1, s16, v1
	v_add_u32_e32 v1, 32, v1
	v_max_i32_e32 v1, v1, v9
	v_not_b32_e32 v2, v14
	v_add3_u32 v1, s16, v1, v2
	v_sub_u32_e32 v2, v1, v8
	s_movk_i32 s0, 0x60
	v_and_b32_e32 v1, 0x60, v2
	v_mov_b32_e32 v11, 0
	v_cmp_ne_u32_e32 vcc, s0, v1
	v_mov_b32_e32 v13, v11
	v_mov_b32_e32 v12, v11
	;; [unrolled: 1-line block ×3, first 2 shown]
	s_and_saveexec_b64 s[2:3], vcc
	s_cbranch_execz .LBB63_35
; %bb.32:
	v_lshrrev_b32_e32 v1, 5, v2
	v_add_u32_e32 v1, 1, v1
	v_and_b32_e32 v1, 3, v1
	v_sub_u32_e32 v6, 0, v1
	s_mov_b64 s[6:7], 0
	v_mov_b32_e32 v7, s13
	s_waitcnt lgkmcnt(0)
	v_mov_b32_e32 v14, s11
	s_mov_b32 s14, 0xc0c0703
	s_mov_b32 s15, 0x7030c0c
	s_mov_b32 s18, 0xc0c0602
	s_mov_b32 s19, 0x6020c0c
	s_mov_b32 s20, 0xc0c0501
	s_mov_b32 s21, 0x5010c0c
	s_mov_b32 s23, 0xc0c0400
	s_mov_b32 s24, 0x4000c0c
	v_mov_b32_e32 v13, 0
	v_mov_b32_e32 v12, 0
	;; [unrolled: 1-line block ×3, first 2 shown]
.LBB63_33:                              ; =>This Inner Loop Header: Depth=1
	v_ashrrev_i32_e32 v1, 31, v0
	v_lshlrev_b64 v[15:16], 2, v[0:1]
	v_add_co_u32_e64 v6, s[0:1], 1, v6
	v_add_co_u32_e32 v19, vcc, s12, v15
	v_addc_co_u32_e32 v20, vcc, v7, v16, vcc
	global_load_dword v1, v[19:20], off
	global_load_dwordx4 v[15:18], v[4:5], off
	v_add_u32_e32 v0, 32, v0
	s_or_b64 s[6:7], s[0:1], s[6:7]
	s_waitcnt vmcnt(1)
	v_subrev_u32_e32 v1, s16, v1
	v_lshlrev_b32_e32 v1, 2, v1
	v_ashrrev_i32_e32 v20, 31, v1
	v_add_co_u32_e32 v19, vcc, s10, v1
	v_addc_co_u32_e32 v20, vcc, v14, v20, vcc
	global_load_dword v1, v[19:20], off
	s_waitcnt vmcnt(1)
	v_perm_b32 v19, v16, v15, s14
	v_perm_b32 v20, v18, v17, s15
	;; [unrolled: 1-line block ×8, first 2 shown]
	v_add_co_u32_e32 v4, vcc, 0x200, v4
	v_or_b32_e32 v17, v20, v19
	v_or_b32_e32 v18, v22, v21
	;; [unrolled: 1-line block ×4, first 2 shown]
	v_addc_co_u32_e32 v5, vcc, 0, v5, vcc
	s_waitcnt vmcnt(0)
	v_dot4_i32_i8 v10, v1, v17, v10
	v_dot4_i32_i8 v12, v1, v18, v12
	;; [unrolled: 1-line block ×4, first 2 shown]
	s_andn2_b64 exec, exec, s[6:7]
	s_cbranch_execnz .LBB63_33
; %bb.34:
	s_or_b64 exec, exec, s[6:7]
.LBB63_35:
	s_or_b64 exec, exec, s[2:3]
	s_movk_i32 s0, 0x5f
	v_cmp_lt_u32_e32 vcc, s0, v2
	s_and_saveexec_b64 s[14:15], vcc
	s_cbranch_execz .LBB63_39
; %bb.36:
	s_mov_b64 s[18:19], 0
	v_mov_b32_e32 v2, s13
	s_waitcnt lgkmcnt(0)
	v_mov_b32_e32 v6, s11
	s_mov_b32 s11, 0xc0c0400
	s_mov_b32 s13, 0x4000c0c
	;; [unrolled: 1-line block ×8, first 2 shown]
.LBB63_37:                              ; =>This Inner Loop Header: Depth=1
	v_ashrrev_i32_e32 v1, 31, v0
	v_lshlrev_b64 v[14:15], 2, v[0:1]
	v_add_u32_e32 v0, 0x80, v0
	v_add_co_u32_e32 v30, vcc, s12, v14
	v_addc_co_u32_e32 v31, vcc, v2, v15, vcc
	global_load_dword v1, v[30:31], off
	global_load_dword v7, v[30:31], off offset:128
	global_load_dword v32, v[30:31], off offset:256
	;; [unrolled: 1-line block ×3, first 2 shown]
	global_load_dwordx4 v[14:17], v[4:5], off
	global_load_dwordx4 v[18:21], v[4:5], off offset:512
	global_load_dwordx4 v[22:25], v[4:5], off offset:1024
	;; [unrolled: 1-line block ×3, first 2 shown]
	s_waitcnt vmcnt(7)
	v_subrev_u32_e32 v1, s16, v1
	s_waitcnt vmcnt(6)
	v_subrev_u32_e32 v7, s16, v7
	;; [unrolled: 2-line block ×4, first 2 shown]
	v_lshlrev_b32_e32 v1, 2, v1
	v_lshlrev_b32_e32 v7, 2, v7
	;; [unrolled: 1-line block ×4, first 2 shown]
	v_ashrrev_i32_e32 v33, 31, v1
	v_add_co_u32_e64 v36, s[6:7], s10, v1
	v_ashrrev_i32_e32 v35, 31, v7
	v_add_co_u32_e32 v30, vcc, s10, v7
	v_ashrrev_i32_e32 v7, 31, v32
	v_add_co_u32_e64 v32, s[0:1], s10, v32
	v_ashrrev_i32_e32 v38, 31, v31
	v_add_co_u32_e64 v34, s[2:3], s10, v31
	v_addc_co_u32_e64 v37, s[6:7], v6, v33, s[6:7]
	v_addc_co_u32_e32 v31, vcc, v6, v35, vcc
	v_addc_co_u32_e64 v33, vcc, v6, v7, s[0:1]
	v_addc_co_u32_e64 v35, vcc, v6, v38, s[2:3]
	global_load_dword v1, v[36:37], off
	global_load_dword v7, v[30:31], off
	;; [unrolled: 1-line block ×4, first 2 shown]
	s_waitcnt vmcnt(7)
	v_perm_b32 v30, v15, v14, s11
	v_perm_b32 v31, v17, v16, s13
	v_perm_b32 v32, v15, v14, s20
	v_perm_b32 v33, v17, v16, s21
	v_perm_b32 v34, v15, v14, s23
	v_perm_b32 v35, v17, v16, s24
	v_perm_b32 v14, v15, v14, s25
	v_perm_b32 v15, v17, v16, s26
	s_waitcnt vmcnt(6)
	v_perm_b32 v16, v19, v18, s25
	v_perm_b32 v17, v21, v20, s26
	v_perm_b32 v36, v19, v18, s23
	v_perm_b32 v37, v21, v20, s24
	v_perm_b32 v40, v19, v18, s20
	v_perm_b32 v41, v21, v20, s21
	v_perm_b32 v18, v19, v18, s11
	v_perm_b32 v19, v21, v20, s13
	;; [unrolled: 9-line block ×4, first 2 shown]
	v_or_b32_e32 v28, v31, v30
	v_or_b32_e32 v29, v33, v32
	;; [unrolled: 1-line block ×4, first 2 shown]
	v_add_co_u32_e32 v4, vcc, 0x800, v4
	v_or_b32_e32 v15, v17, v16
	v_or_b32_e32 v16, v37, v36
	;; [unrolled: 1-line block ×4, first 2 shown]
	v_addc_co_u32_e32 v5, vcc, 0, v5, vcc
	v_or_b32_e32 v19, v21, v20
	v_or_b32_e32 v20, v43, v42
	;; [unrolled: 1-line block ×4, first 2 shown]
	v_cmp_ge_i32_e32 vcc, v0, v9
	v_or_b32_e32 v23, v25, v24
	v_or_b32_e32 v24, v47, v46
	;; [unrolled: 1-line block ×4, first 2 shown]
	s_or_b64 s[18:19], vcc, s[18:19]
	s_waitcnt vmcnt(3)
	v_dot4_i32_i8 v11, v1, v28, v11
	v_dot4_i32_i8 v13, v1, v29, v13
	v_dot4_i32_i8 v12, v1, v30, v12
	v_dot4_i32_i8 v1, v1, v14, v10
	s_waitcnt vmcnt(2)
	v_dot4_i32_i8 v1, v7, v15, v1
	v_dot4_i32_i8 v10, v7, v16, v12
	v_dot4_i32_i8 v12, v7, v17, v13
	v_dot4_i32_i8 v7, v7, v18, v11
	;; [unrolled: 5-line block ×4, first 2 shown]
	s_andn2_b64 exec, exec, s[18:19]
	s_cbranch_execnz .LBB63_37
; %bb.38:
	s_or_b64 exec, exec, s[18:19]
.LBB63_39:
	s_or_b64 exec, exec, s[14:15]
.LBB63_40:
	s_or_b64 exec, exec, s[8:9]
.LBB63_41:
	v_mov_b32_dpp v0, v11 row_shr:1 row_mask:0xf bank_mask:0xf
	v_mov_b32_dpp v2, v13 row_shr:1 row_mask:0xf bank_mask:0xf
	v_mov_b32_dpp v5, v12 row_shr:1 row_mask:0xf bank_mask:0xf
	v_mov_b32_dpp v7, v10 row_shr:1 row_mask:0xf bank_mask:0xf
	v_add_u32_e32 v0, v0, v11
	v_add_u32_e32 v2, v2, v13
	v_add_u32_e32 v5, v5, v12
	v_add_u32_e32 v7, v7, v10
	v_mov_b32_dpp v1, v0 row_shr:2 row_mask:0xf bank_mask:0xf
	v_mov_b32_dpp v4, v2 row_shr:2 row_mask:0xf bank_mask:0xf
	v_mov_b32_dpp v6, v5 row_shr:2 row_mask:0xf bank_mask:0xf
	v_mov_b32_dpp v9, v7 row_shr:2 row_mask:0xf bank_mask:0xf
	v_add_u32_e32 v0, v0, v1
	v_add_u32_e32 v2, v2, v4
	v_add_u32_e32 v5, v5, v6
	v_add_u32_e32 v7, v7, v9
	;; [unrolled: 8-line block ×4, first 2 shown]
	v_mov_b32_dpp v1, v0 row_bcast:15 row_mask:0xa bank_mask:0xf
	v_mov_b32_dpp v4, v2 row_bcast:15 row_mask:0xa bank_mask:0xf
	;; [unrolled: 1-line block ×4, first 2 shown]
	v_cmp_eq_u32_e32 vcc, 31, v8
	s_and_b64 exec, exec, vcc
	s_cbranch_execz .LBB63_14
; %bb.42:
	s_load_dwordx2 s[0:1], s[4:5], 0x50
	v_add_u32_e32 v0, v0, v1
	v_add_u32_e32 v1, v2, v4
	;; [unrolled: 1-line block ×4, first 2 shown]
	v_mul_lo_u32 v0, v0, s17
	v_mul_lo_u32 v1, v1, s17
	;; [unrolled: 1-line block ×4, first 2 shown]
	s_cmp_eq_u32 s22, 0
	v_lshlrev_b32_e32 v5, 2, v3
	s_cbranch_scc1 .LBB63_44
; %bb.43:
	v_ashrrev_i32_e32 v6, 31, v5
	v_lshlrev_b64 v[6:7], 2, v[5:6]
	s_waitcnt lgkmcnt(0)
	v_mov_b32_e32 v3, s1
	v_add_co_u32_e32 v14, vcc, s0, v6
	v_addc_co_u32_e32 v15, vcc, v3, v7, vcc
	global_load_dwordx4 v[6:9], v[14:15], off
	s_waitcnt vmcnt(0)
	v_mad_u64_u32 v[10:11], s[2:3], v6, s22, v[0:1]
	v_mad_u64_u32 v[16:17], s[2:3], v9, s22, v[4:5]
	;; [unrolled: 1-line block ×4, first 2 shown]
	v_mov_b32_e32 v13, v16
	global_store_dwordx4 v[14:15], v[10:13], off
	s_cbranch_execnz .LBB63_14
	s_branch .LBB63_45
.LBB63_44:
.LBB63_45:
	v_ashrrev_i32_e32 v6, 31, v5
	v_lshlrev_b64 v[5:6], 2, v[5:6]
	s_waitcnt lgkmcnt(0)
	v_mov_b32_e32 v3, s1
	v_add_co_u32_e32 v5, vcc, s0, v5
	v_addc_co_u32_e32 v6, vcc, v3, v6, vcc
	v_mov_b32_e32 v3, v4
	global_store_dwordx4 v[5:6], v[0:3], off
	s_endpgm
	.section	.rodata,"a",@progbits
	.p2align	6, 0x0
	.amdhsa_kernel _ZN9rocsparseL18bsrxmvn_4x4_kernelILj128ELj32EiiiaaiEEvT3_20rocsparse_direction_NS_24const_host_device_scalarIT1_EES1_PKS1_PKT2_SA_S7_PKT4_PKT5_S5_PT6_21rocsparse_index_base_b
		.amdhsa_group_segment_fixed_size 0
		.amdhsa_private_segment_fixed_size 0
		.amdhsa_kernarg_size 96
		.amdhsa_user_sgpr_count 6
		.amdhsa_user_sgpr_private_segment_buffer 1
		.amdhsa_user_sgpr_dispatch_ptr 0
		.amdhsa_user_sgpr_queue_ptr 0
		.amdhsa_user_sgpr_kernarg_segment_ptr 1
		.amdhsa_user_sgpr_dispatch_id 0
		.amdhsa_user_sgpr_flat_scratch_init 0
		.amdhsa_user_sgpr_private_segment_size 0
		.amdhsa_uses_dynamic_stack 0
		.amdhsa_system_sgpr_private_segment_wavefront_offset 0
		.amdhsa_system_sgpr_workgroup_id_x 1
		.amdhsa_system_sgpr_workgroup_id_y 0
		.amdhsa_system_sgpr_workgroup_id_z 0
		.amdhsa_system_sgpr_workgroup_info 0
		.amdhsa_system_vgpr_workitem_id 0
		.amdhsa_next_free_vgpr 50
		.amdhsa_next_free_sgpr 27
		.amdhsa_reserve_vcc 1
		.amdhsa_reserve_flat_scratch 0
		.amdhsa_float_round_mode_32 0
		.amdhsa_float_round_mode_16_64 0
		.amdhsa_float_denorm_mode_32 3
		.amdhsa_float_denorm_mode_16_64 3
		.amdhsa_dx10_clamp 1
		.amdhsa_ieee_mode 1
		.amdhsa_fp16_overflow 0
		.amdhsa_exception_fp_ieee_invalid_op 0
		.amdhsa_exception_fp_denorm_src 0
		.amdhsa_exception_fp_ieee_div_zero 0
		.amdhsa_exception_fp_ieee_overflow 0
		.amdhsa_exception_fp_ieee_underflow 0
		.amdhsa_exception_fp_ieee_inexact 0
		.amdhsa_exception_int_div_zero 0
	.end_amdhsa_kernel
	.section	.text._ZN9rocsparseL18bsrxmvn_4x4_kernelILj128ELj32EiiiaaiEEvT3_20rocsparse_direction_NS_24const_host_device_scalarIT1_EES1_PKS1_PKT2_SA_S7_PKT4_PKT5_S5_PT6_21rocsparse_index_base_b,"axG",@progbits,_ZN9rocsparseL18bsrxmvn_4x4_kernelILj128ELj32EiiiaaiEEvT3_20rocsparse_direction_NS_24const_host_device_scalarIT1_EES1_PKS1_PKT2_SA_S7_PKT4_PKT5_S5_PT6_21rocsparse_index_base_b,comdat
.Lfunc_end63:
	.size	_ZN9rocsparseL18bsrxmvn_4x4_kernelILj128ELj32EiiiaaiEEvT3_20rocsparse_direction_NS_24const_host_device_scalarIT1_EES1_PKS1_PKT2_SA_S7_PKT4_PKT5_S5_PT6_21rocsparse_index_base_b, .Lfunc_end63-_ZN9rocsparseL18bsrxmvn_4x4_kernelILj128ELj32EiiiaaiEEvT3_20rocsparse_direction_NS_24const_host_device_scalarIT1_EES1_PKS1_PKT2_SA_S7_PKT4_PKT5_S5_PT6_21rocsparse_index_base_b
                                        ; -- End function
	.set _ZN9rocsparseL18bsrxmvn_4x4_kernelILj128ELj32EiiiaaiEEvT3_20rocsparse_direction_NS_24const_host_device_scalarIT1_EES1_PKS1_PKT2_SA_S7_PKT4_PKT5_S5_PT6_21rocsparse_index_base_b.num_vgpr, 50
	.set _ZN9rocsparseL18bsrxmvn_4x4_kernelILj128ELj32EiiiaaiEEvT3_20rocsparse_direction_NS_24const_host_device_scalarIT1_EES1_PKS1_PKT2_SA_S7_PKT4_PKT5_S5_PT6_21rocsparse_index_base_b.num_agpr, 0
	.set _ZN9rocsparseL18bsrxmvn_4x4_kernelILj128ELj32EiiiaaiEEvT3_20rocsparse_direction_NS_24const_host_device_scalarIT1_EES1_PKS1_PKT2_SA_S7_PKT4_PKT5_S5_PT6_21rocsparse_index_base_b.numbered_sgpr, 27
	.set _ZN9rocsparseL18bsrxmvn_4x4_kernelILj128ELj32EiiiaaiEEvT3_20rocsparse_direction_NS_24const_host_device_scalarIT1_EES1_PKS1_PKT2_SA_S7_PKT4_PKT5_S5_PT6_21rocsparse_index_base_b.num_named_barrier, 0
	.set _ZN9rocsparseL18bsrxmvn_4x4_kernelILj128ELj32EiiiaaiEEvT3_20rocsparse_direction_NS_24const_host_device_scalarIT1_EES1_PKS1_PKT2_SA_S7_PKT4_PKT5_S5_PT6_21rocsparse_index_base_b.private_seg_size, 0
	.set _ZN9rocsparseL18bsrxmvn_4x4_kernelILj128ELj32EiiiaaiEEvT3_20rocsparse_direction_NS_24const_host_device_scalarIT1_EES1_PKS1_PKT2_SA_S7_PKT4_PKT5_S5_PT6_21rocsparse_index_base_b.uses_vcc, 1
	.set _ZN9rocsparseL18bsrxmvn_4x4_kernelILj128ELj32EiiiaaiEEvT3_20rocsparse_direction_NS_24const_host_device_scalarIT1_EES1_PKS1_PKT2_SA_S7_PKT4_PKT5_S5_PT6_21rocsparse_index_base_b.uses_flat_scratch, 0
	.set _ZN9rocsparseL18bsrxmvn_4x4_kernelILj128ELj32EiiiaaiEEvT3_20rocsparse_direction_NS_24const_host_device_scalarIT1_EES1_PKS1_PKT2_SA_S7_PKT4_PKT5_S5_PT6_21rocsparse_index_base_b.has_dyn_sized_stack, 0
	.set _ZN9rocsparseL18bsrxmvn_4x4_kernelILj128ELj32EiiiaaiEEvT3_20rocsparse_direction_NS_24const_host_device_scalarIT1_EES1_PKS1_PKT2_SA_S7_PKT4_PKT5_S5_PT6_21rocsparse_index_base_b.has_recursion, 0
	.set _ZN9rocsparseL18bsrxmvn_4x4_kernelILj128ELj32EiiiaaiEEvT3_20rocsparse_direction_NS_24const_host_device_scalarIT1_EES1_PKS1_PKT2_SA_S7_PKT4_PKT5_S5_PT6_21rocsparse_index_base_b.has_indirect_call, 0
	.section	.AMDGPU.csdata,"",@progbits
; Kernel info:
; codeLenInByte = 3008
; TotalNumSgprs: 31
; NumVgprs: 50
; ScratchSize: 0
; MemoryBound: 0
; FloatMode: 240
; IeeeMode: 1
; LDSByteSize: 0 bytes/workgroup (compile time only)
; SGPRBlocks: 3
; VGPRBlocks: 12
; NumSGPRsForWavesPerEU: 31
; NumVGPRsForWavesPerEU: 50
; Occupancy: 4
; WaveLimiterHint : 1
; COMPUTE_PGM_RSRC2:SCRATCH_EN: 0
; COMPUTE_PGM_RSRC2:USER_SGPR: 6
; COMPUTE_PGM_RSRC2:TRAP_HANDLER: 0
; COMPUTE_PGM_RSRC2:TGID_X_EN: 1
; COMPUTE_PGM_RSRC2:TGID_Y_EN: 0
; COMPUTE_PGM_RSRC2:TGID_Z_EN: 0
; COMPUTE_PGM_RSRC2:TIDIG_COMP_CNT: 0
	.section	.text._ZN9rocsparseL18bsrxmvn_4x4_kernelILj128ELj64EiiiaaiEEvT3_20rocsparse_direction_NS_24const_host_device_scalarIT1_EES1_PKS1_PKT2_SA_S7_PKT4_PKT5_S5_PT6_21rocsparse_index_base_b,"axG",@progbits,_ZN9rocsparseL18bsrxmvn_4x4_kernelILj128ELj64EiiiaaiEEvT3_20rocsparse_direction_NS_24const_host_device_scalarIT1_EES1_PKS1_PKT2_SA_S7_PKT4_PKT5_S5_PT6_21rocsparse_index_base_b,comdat
	.globl	_ZN9rocsparseL18bsrxmvn_4x4_kernelILj128ELj64EiiiaaiEEvT3_20rocsparse_direction_NS_24const_host_device_scalarIT1_EES1_PKS1_PKT2_SA_S7_PKT4_PKT5_S5_PT6_21rocsparse_index_base_b ; -- Begin function _ZN9rocsparseL18bsrxmvn_4x4_kernelILj128ELj64EiiiaaiEEvT3_20rocsparse_direction_NS_24const_host_device_scalarIT1_EES1_PKS1_PKT2_SA_S7_PKT4_PKT5_S5_PT6_21rocsparse_index_base_b
	.p2align	8
	.type	_ZN9rocsparseL18bsrxmvn_4x4_kernelILj128ELj64EiiiaaiEEvT3_20rocsparse_direction_NS_24const_host_device_scalarIT1_EES1_PKS1_PKT2_SA_S7_PKT4_PKT5_S5_PT6_21rocsparse_index_base_b,@function
_ZN9rocsparseL18bsrxmvn_4x4_kernelILj128ELj64EiiiaaiEEvT3_20rocsparse_direction_NS_24const_host_device_scalarIT1_EES1_PKS1_PKT2_SA_S7_PKT4_PKT5_S5_PT6_21rocsparse_index_base_b: ; @_ZN9rocsparseL18bsrxmvn_4x4_kernelILj128ELj64EiiiaaiEEvT3_20rocsparse_direction_NS_24const_host_device_scalarIT1_EES1_PKS1_PKT2_SA_S7_PKT4_PKT5_S5_PT6_21rocsparse_index_base_b
; %bb.0:
	s_load_dwordx2 s[16:17], s[4:5], 0x58
	s_load_dwordx2 s[8:9], s[4:5], 0x8
	s_mov_b64 s[10:11], -1
	s_waitcnt lgkmcnt(0)
	s_bitcmp1_b32 s17, 0
	s_cselect_b64 s[0:1], -1, 0
	s_xor_b64 s[2:3], s[0:1], -1
	s_and_b64 vcc, exec, s[2:3]
                                        ; implicit-def: $sgpr17
	s_cbranch_vccnz .LBB64_4
; %bb.1:
	s_load_dwordx2 s[0:1], s[4:5], 0x48
	s_andn2_b64 vcc, exec, s[10:11]
	s_cbranch_vccz .LBB64_5
.LBB64_2:
	s_and_b64 vcc, exec, s[2:3]
	s_cbranch_vccz .LBB64_6
.LBB64_3:
	s_waitcnt lgkmcnt(0)
	s_load_dword s22, s[0:1], 0x0
	s_cbranch_execz .LBB64_7
	s_branch .LBB64_8
.LBB64_4:
	s_load_dword s17, s[8:9], 0x0
	s_load_dwordx2 s[0:1], s[4:5], 0x48
	s_cbranch_execnz .LBB64_2
.LBB64_5:
	s_waitcnt lgkmcnt(0)
	s_mov_b32 s17, s8
	s_and_b64 vcc, exec, s[2:3]
	s_cbranch_vccnz .LBB64_3
.LBB64_6:
                                        ; implicit-def: $sgpr22
.LBB64_7:
	s_waitcnt lgkmcnt(0)
	s_mov_b32 s22, s0
.LBB64_8:
	s_waitcnt lgkmcnt(0)
	s_cmp_lg_u32 s17, 0
	s_cselect_b64 s[0:1], -1, 0
	s_cmp_lg_u32 s22, 1
	s_cselect_b64 s[2:3], -1, 0
	s_or_b64 s[0:1], s[0:1], s[2:3]
	s_andn2_b64 vcc, exec, s[0:1]
	s_cbranch_vccnz .LBB64_14
; %bb.9:
	s_load_dwordx2 s[8:9], s[4:5], 0x18
	s_load_dwordx2 s[0:1], s[4:5], 0x0
	v_lshrrev_b32_e32 v1, 6, v0
	v_lshl_or_b32 v3, s6, 1, v1
	s_mov_b64 s[2:3], 0
	s_waitcnt lgkmcnt(0)
	s_cmp_lg_u64 s[8:9], 0
	s_cbranch_scc0 .LBB64_15
; %bb.10:
	s_load_dword s6, s[4:5], 0x10
                                        ; implicit-def: $vgpr1
	s_waitcnt lgkmcnt(0)
	v_cmp_gt_i32_e32 vcc, s6, v3
	s_and_saveexec_b64 s[6:7], vcc
	s_xor_b64 s[6:7], exec, s[6:7]
	s_cbranch_execz .LBB64_12
; %bb.11:
	v_ashrrev_i32_e32 v4, 31, v3
	v_lshlrev_b64 v[1:2], 2, v[3:4]
	v_mov_b32_e32 v4, s9
	v_add_co_u32_e32 v1, vcc, s8, v1
	v_addc_co_u32_e32 v2, vcc, v4, v2, vcc
	global_load_dword v1, v[1:2], off
	s_mov_b64 s[2:3], exec
	s_waitcnt vmcnt(0)
	v_subrev_u32_e32 v1, s16, v1
.LBB64_12:
	s_or_b64 exec, exec, s[6:7]
	s_branch .LBB64_16
.LBB64_13:
	v_cmp_gt_i32_e32 vcc, s0, v3
	s_andn2_b64 s[2:3], s[2:3], exec
	s_and_b64 s[6:7], vcc, exec
	s_or_b64 s[2:3], s[2:3], s[6:7]
	s_and_saveexec_b64 s[6:7], s[2:3]
	s_cbranch_execnz .LBB64_17
.LBB64_14:
	s_endpgm
.LBB64_15:
                                        ; implicit-def: $vgpr1
	s_cbranch_execnz .LBB64_13
.LBB64_16:
	v_mov_b32_e32 v3, v1
	s_and_saveexec_b64 s[6:7], s[2:3]
	s_cbranch_execz .LBB64_14
.LBB64_17:
	s_load_dwordx8 s[8:15], s[4:5], 0x20
	v_ashrrev_i32_e32 v4, 31, v3
	v_lshlrev_b64 v[1:2], 2, v[3:4]
	v_and_b32_e32 v8, 63, v0
	s_waitcnt lgkmcnt(0)
	v_mov_b32_e32 v5, s9
	v_add_co_u32_e32 v4, vcc, s8, v1
	v_addc_co_u32_e32 v5, vcc, v5, v2, vcc
	global_load_dword v14, v[4:5], off
	v_add_co_u32_e32 v4, vcc, 4, v4
	v_addc_co_u32_e32 v5, vcc, 0, v5, vcc
	v_mov_b32_e32 v6, s11
	v_add_co_u32_e32 v1, vcc, s10, v1
	s_cmp_eq_u64 s[10:11], 0
	v_addc_co_u32_e32 v2, vcc, v6, v2, vcc
	s_cselect_b64 vcc, -1, 0
	v_cndmask_b32_e32 v2, v2, v5, vcc
	v_cndmask_b32_e32 v1, v1, v4, vcc
	global_load_dword v1, v[1:2], off
	s_load_dwordx2 s[10:11], s[4:5], 0x40
	v_mov_b32_e32 v5, s15
	s_cmp_eq_u32 s1, 1
	s_waitcnt vmcnt(1)
	v_subrev_u32_e32 v0, s16, v14
	v_add_u32_e32 v0, v0, v8
	s_waitcnt vmcnt(0)
	v_subrev_u32_e32 v9, s16, v1
	v_ashrrev_i32_e32 v1, 31, v0
	v_lshlrev_b64 v[1:2], 4, v[0:1]
	v_cmp_lt_i32_e64 s[0:1], v0, v9
	v_add_co_u32_e32 v4, vcc, s14, v1
	v_addc_co_u32_e32 v5, vcc, v5, v2, vcc
	s_cbranch_scc1 .LBB64_29
; %bb.18:
	v_mov_b32_e32 v10, 0
	v_mov_b32_e32 v12, 0
	;; [unrolled: 1-line block ×4, first 2 shown]
	s_and_saveexec_b64 s[14:15], s[0:1]
	s_cbranch_execz .LBB64_28
; %bb.19:
	v_add_u32_e32 v1, v14, v8
	v_subrev_u32_e32 v1, s16, v1
	v_add_u32_e32 v1, 64, v1
	v_max_i32_e32 v1, v1, v9
	v_not_b32_e32 v2, v14
	v_add3_u32 v1, s16, v1, v2
	v_sub_u32_e32 v15, v1, v8
	s_movk_i32 s2, 0xc0
	v_and_b32_e32 v1, 0xc0, v15
	v_mov_b32_e32 v11, 0
	v_mov_b32_e32 v7, v5
	v_cmp_ne_u32_e32 vcc, s2, v1
	v_mov_b32_e32 v13, v11
	v_mov_b32_e32 v12, v11
	;; [unrolled: 1-line block ×5, first 2 shown]
	s_and_saveexec_b64 s[6:7], vcc
	s_cbranch_execz .LBB64_23
; %bb.20:
	v_lshrrev_b32_e32 v1, 6, v15
	v_add_u32_e32 v1, 1, v1
	v_and_b32_e32 v1, 3, v1
	v_mov_b32_e32 v7, v5
	v_sub_u32_e32 v16, 0, v1
	s_mov_b64 s[8:9], 0
	v_mov_b32_e32 v17, s13
	s_waitcnt lgkmcnt(0)
	v_mov_b32_e32 v18, s11
	v_mov_b32_e32 v6, v4
	;; [unrolled: 1-line block ×6, first 2 shown]
.LBB64_21:                              ; =>This Inner Loop Header: Depth=1
	v_ashrrev_i32_e32 v2, 31, v1
	v_lshlrev_b64 v[19:20], 2, v[1:2]
	v_add_co_u32_e64 v16, s[2:3], 1, v16
	v_add_co_u32_e32 v23, vcc, s12, v19
	v_addc_co_u32_e32 v24, vcc, v17, v20, vcc
	global_load_dword v2, v[23:24], off
	global_load_dwordx4 v[19:22], v[6:7], off
	v_add_u32_e32 v1, 64, v1
	s_or_b64 s[8:9], s[2:3], s[8:9]
	s_waitcnt vmcnt(1)
	v_subrev_u32_e32 v2, s16, v2
	v_lshlrev_b32_e32 v2, 2, v2
	v_ashrrev_i32_e32 v24, 31, v2
	v_add_co_u32_e32 v23, vcc, s10, v2
	v_addc_co_u32_e32 v24, vcc, v18, v24, vcc
	global_load_dword v2, v[23:24], off
	v_add_co_u32_e32 v6, vcc, 0x400, v6
	v_addc_co_u32_e32 v7, vcc, 0, v7, vcc
	s_waitcnt vmcnt(0)
	v_dot4_i32_i8 v10, v2, v22, v10
	v_dot4_i32_i8 v12, v2, v21, v12
	;; [unrolled: 1-line block ×4, first 2 shown]
	s_andn2_b64 exec, exec, s[8:9]
	s_cbranch_execnz .LBB64_21
; %bb.22:
	s_or_b64 exec, exec, s[8:9]
.LBB64_23:
	s_or_b64 exec, exec, s[6:7]
	s_movk_i32 s2, 0xbf
	v_cmp_lt_u32_e32 vcc, s2, v15
	s_and_saveexec_b64 s[18:19], vcc
	s_cbranch_execz .LBB64_27
; %bb.24:
	s_mov_b64 s[20:21], 0
	v_mov_b32_e32 v15, s13
	s_waitcnt lgkmcnt(0)
	v_mov_b32_e32 v16, s11
.LBB64_25:                              ; =>This Inner Loop Header: Depth=1
	v_ashrrev_i32_e32 v2, 31, v1
	v_lshlrev_b64 v[17:18], 2, v[1:2]
	v_add_u32_e32 v1, 0x100, v1
	v_add_co_u32_e32 v33, vcc, s12, v17
	v_addc_co_u32_e32 v34, vcc, v15, v18, vcc
	global_load_dword v2, v[33:34], off
	global_load_dword v35, v[33:34], off offset:256
	global_load_dword v36, v[33:34], off offset:512
	;; [unrolled: 1-line block ×3, first 2 shown]
	global_load_dwordx4 v[17:20], v[6:7], off
	global_load_dwordx4 v[21:24], v[6:7], off offset:1024
	global_load_dwordx4 v[25:28], v[6:7], off offset:2048
	;; [unrolled: 1-line block ×3, first 2 shown]
	s_waitcnt vmcnt(7)
	v_subrev_u32_e32 v2, s16, v2
	s_waitcnt vmcnt(6)
	v_subrev_u32_e32 v33, s16, v35
	;; [unrolled: 2-line block ×4, first 2 shown]
	v_lshlrev_b32_e32 v2, 2, v2
	v_lshlrev_b32_e32 v33, 2, v33
	;; [unrolled: 1-line block ×4, first 2 shown]
	v_ashrrev_i32_e32 v38, 31, v2
	v_add_co_u32_e64 v39, s[8:9], s10, v2
	v_ashrrev_i32_e32 v41, 31, v33
	v_add_co_u32_e32 v33, vcc, s10, v33
	v_ashrrev_i32_e32 v42, 31, v34
	v_add_co_u32_e64 v35, s[2:3], s10, v34
	v_ashrrev_i32_e32 v43, 31, v36
	v_add_co_u32_e64 v37, s[6:7], s10, v36
	v_addc_co_u32_e64 v40, s[8:9], v16, v38, s[8:9]
	v_addc_co_u32_e32 v34, vcc, v16, v41, vcc
	v_addc_co_u32_e64 v36, vcc, v16, v42, s[2:3]
	v_addc_co_u32_e64 v38, vcc, v16, v43, s[6:7]
	global_load_dword v2, v[39:40], off
	global_load_dword v41, v[33:34], off
	;; [unrolled: 1-line block ×4, first 2 shown]
	v_add_co_u32_e32 v6, vcc, 0x1000, v6
	v_addc_co_u32_e32 v7, vcc, 0, v7, vcc
	v_cmp_ge_i32_e32 vcc, v1, v9
	s_or_b64 s[20:21], vcc, s[20:21]
	s_waitcnt vmcnt(3)
	v_dot4_i32_i8 v11, v2, v17, v11
	v_dot4_i32_i8 v13, v2, v18, v13
	v_dot4_i32_i8 v12, v2, v19, v12
	v_dot4_i32_i8 v2, v2, v20, v10
	s_waitcnt vmcnt(2)
	v_dot4_i32_i8 v2, v41, v24, v2
	v_dot4_i32_i8 v10, v41, v23, v12
	v_dot4_i32_i8 v12, v41, v22, v13
	v_dot4_i32_i8 v11, v41, v21, v11
	;; [unrolled: 5-line block ×4, first 2 shown]
	s_andn2_b64 exec, exec, s[20:21]
	s_cbranch_execnz .LBB64_25
; %bb.26:
	s_or_b64 exec, exec, s[20:21]
.LBB64_27:
	s_or_b64 exec, exec, s[18:19]
.LBB64_28:
	s_or_b64 exec, exec, s[14:15]
	s_cbranch_execz .LBB64_30
	s_branch .LBB64_41
.LBB64_29:
                                        ; implicit-def: $vgpr10
                                        ; implicit-def: $vgpr11
                                        ; implicit-def: $vgpr13
                                        ; implicit-def: $vgpr12
.LBB64_30:
	v_mov_b32_e32 v10, 0
	v_mov_b32_e32 v12, 0
	;; [unrolled: 1-line block ×4, first 2 shown]
	s_and_saveexec_b64 s[8:9], s[0:1]
	s_cbranch_execz .LBB64_40
; %bb.31:
	v_add_u32_e32 v1, v14, v8
	v_subrev_u32_e32 v1, s16, v1
	v_add_u32_e32 v1, 64, v1
	v_max_i32_e32 v1, v1, v9
	v_not_b32_e32 v2, v14
	v_add3_u32 v1, s16, v1, v2
	v_sub_u32_e32 v2, v1, v8
	s_movk_i32 s0, 0xc0
	v_and_b32_e32 v1, 0xc0, v2
	v_mov_b32_e32 v11, 0
	v_cmp_ne_u32_e32 vcc, s0, v1
	v_mov_b32_e32 v13, v11
	v_mov_b32_e32 v12, v11
	;; [unrolled: 1-line block ×3, first 2 shown]
	s_and_saveexec_b64 s[2:3], vcc
	s_cbranch_execz .LBB64_35
; %bb.32:
	v_lshrrev_b32_e32 v1, 6, v2
	v_add_u32_e32 v1, 1, v1
	v_and_b32_e32 v1, 3, v1
	v_sub_u32_e32 v6, 0, v1
	s_mov_b64 s[6:7], 0
	v_mov_b32_e32 v7, s13
	s_waitcnt lgkmcnt(0)
	v_mov_b32_e32 v14, s11
	s_mov_b32 s14, 0xc0c0703
	s_mov_b32 s15, 0x7030c0c
	;; [unrolled: 1-line block ×8, first 2 shown]
	v_mov_b32_e32 v13, 0
	v_mov_b32_e32 v12, 0
	;; [unrolled: 1-line block ×3, first 2 shown]
.LBB64_33:                              ; =>This Inner Loop Header: Depth=1
	v_ashrrev_i32_e32 v1, 31, v0
	v_lshlrev_b64 v[15:16], 2, v[0:1]
	v_add_co_u32_e64 v6, s[0:1], 1, v6
	v_add_co_u32_e32 v19, vcc, s12, v15
	v_addc_co_u32_e32 v20, vcc, v7, v16, vcc
	global_load_dword v1, v[19:20], off
	global_load_dwordx4 v[15:18], v[4:5], off
	v_add_u32_e32 v0, 64, v0
	s_or_b64 s[6:7], s[0:1], s[6:7]
	s_waitcnt vmcnt(1)
	v_subrev_u32_e32 v1, s16, v1
	v_lshlrev_b32_e32 v1, 2, v1
	v_ashrrev_i32_e32 v20, 31, v1
	v_add_co_u32_e32 v19, vcc, s10, v1
	v_addc_co_u32_e32 v20, vcc, v14, v20, vcc
	global_load_dword v1, v[19:20], off
	s_waitcnt vmcnt(1)
	v_perm_b32 v19, v16, v15, s14
	v_perm_b32 v20, v18, v17, s15
	;; [unrolled: 1-line block ×8, first 2 shown]
	v_add_co_u32_e32 v4, vcc, 0x400, v4
	v_or_b32_e32 v17, v20, v19
	v_or_b32_e32 v18, v22, v21
	;; [unrolled: 1-line block ×4, first 2 shown]
	v_addc_co_u32_e32 v5, vcc, 0, v5, vcc
	s_waitcnt vmcnt(0)
	v_dot4_i32_i8 v10, v1, v17, v10
	v_dot4_i32_i8 v12, v1, v18, v12
	v_dot4_i32_i8 v13, v1, v19, v13
	v_dot4_i32_i8 v11, v1, v15, v11
	s_andn2_b64 exec, exec, s[6:7]
	s_cbranch_execnz .LBB64_33
; %bb.34:
	s_or_b64 exec, exec, s[6:7]
.LBB64_35:
	s_or_b64 exec, exec, s[2:3]
	s_movk_i32 s0, 0xbf
	v_cmp_lt_u32_e32 vcc, s0, v2
	s_and_saveexec_b64 s[14:15], vcc
	s_cbranch_execz .LBB64_39
; %bb.36:
	s_mov_b64 s[18:19], 0
	v_mov_b32_e32 v2, s13
	s_waitcnt lgkmcnt(0)
	v_mov_b32_e32 v6, s11
	s_mov_b32 s11, 0xc0c0400
	s_mov_b32 s13, 0x4000c0c
	;; [unrolled: 1-line block ×8, first 2 shown]
.LBB64_37:                              ; =>This Inner Loop Header: Depth=1
	v_ashrrev_i32_e32 v1, 31, v0
	v_lshlrev_b64 v[14:15], 2, v[0:1]
	v_add_u32_e32 v0, 0x100, v0
	v_add_co_u32_e32 v30, vcc, s12, v14
	v_addc_co_u32_e32 v31, vcc, v2, v15, vcc
	global_load_dword v1, v[30:31], off
	global_load_dword v7, v[30:31], off offset:256
	global_load_dword v32, v[30:31], off offset:512
	;; [unrolled: 1-line block ×3, first 2 shown]
	global_load_dwordx4 v[14:17], v[4:5], off
	global_load_dwordx4 v[18:21], v[4:5], off offset:1024
	global_load_dwordx4 v[22:25], v[4:5], off offset:2048
	;; [unrolled: 1-line block ×3, first 2 shown]
	s_waitcnt vmcnt(7)
	v_subrev_u32_e32 v1, s16, v1
	s_waitcnt vmcnt(6)
	v_subrev_u32_e32 v7, s16, v7
	;; [unrolled: 2-line block ×4, first 2 shown]
	v_lshlrev_b32_e32 v1, 2, v1
	v_lshlrev_b32_e32 v7, 2, v7
	;; [unrolled: 1-line block ×4, first 2 shown]
	v_ashrrev_i32_e32 v33, 31, v1
	v_add_co_u32_e64 v36, s[6:7], s10, v1
	v_ashrrev_i32_e32 v35, 31, v7
	v_add_co_u32_e32 v30, vcc, s10, v7
	v_ashrrev_i32_e32 v7, 31, v32
	v_add_co_u32_e64 v32, s[0:1], s10, v32
	v_ashrrev_i32_e32 v38, 31, v31
	v_add_co_u32_e64 v34, s[2:3], s10, v31
	v_addc_co_u32_e64 v37, s[6:7], v6, v33, s[6:7]
	v_addc_co_u32_e32 v31, vcc, v6, v35, vcc
	v_addc_co_u32_e64 v33, vcc, v6, v7, s[0:1]
	v_addc_co_u32_e64 v35, vcc, v6, v38, s[2:3]
	global_load_dword v1, v[36:37], off
	global_load_dword v7, v[30:31], off
	global_load_dword v38, v[32:33], off
	global_load_dword v39, v[34:35], off
	s_waitcnt vmcnt(7)
	v_perm_b32 v30, v15, v14, s11
	v_perm_b32 v31, v17, v16, s13
	v_perm_b32 v32, v15, v14, s20
	v_perm_b32 v33, v17, v16, s21
	v_perm_b32 v34, v15, v14, s23
	v_perm_b32 v35, v17, v16, s24
	v_perm_b32 v14, v15, v14, s25
	v_perm_b32 v15, v17, v16, s26
	s_waitcnt vmcnt(6)
	v_perm_b32 v16, v19, v18, s25
	v_perm_b32 v17, v21, v20, s26
	v_perm_b32 v36, v19, v18, s23
	v_perm_b32 v37, v21, v20, s24
	v_perm_b32 v40, v19, v18, s20
	v_perm_b32 v41, v21, v20, s21
	v_perm_b32 v18, v19, v18, s11
	v_perm_b32 v19, v21, v20, s13
	;; [unrolled: 9-line block ×4, first 2 shown]
	v_or_b32_e32 v28, v31, v30
	v_or_b32_e32 v29, v33, v32
	;; [unrolled: 1-line block ×4, first 2 shown]
	v_add_co_u32_e32 v4, vcc, 0x1000, v4
	v_or_b32_e32 v15, v17, v16
	v_or_b32_e32 v16, v37, v36
	;; [unrolled: 1-line block ×4, first 2 shown]
	v_addc_co_u32_e32 v5, vcc, 0, v5, vcc
	v_or_b32_e32 v19, v21, v20
	v_or_b32_e32 v20, v43, v42
	;; [unrolled: 1-line block ×4, first 2 shown]
	v_cmp_ge_i32_e32 vcc, v0, v9
	v_or_b32_e32 v23, v25, v24
	v_or_b32_e32 v24, v47, v46
	v_or_b32_e32 v25, v49, v48
	v_or_b32_e32 v26, v27, v26
	s_or_b64 s[18:19], vcc, s[18:19]
	s_waitcnt vmcnt(3)
	v_dot4_i32_i8 v11, v1, v28, v11
	v_dot4_i32_i8 v13, v1, v29, v13
	v_dot4_i32_i8 v12, v1, v30, v12
	v_dot4_i32_i8 v1, v1, v14, v10
	s_waitcnt vmcnt(2)
	v_dot4_i32_i8 v1, v7, v15, v1
	v_dot4_i32_i8 v10, v7, v16, v12
	v_dot4_i32_i8 v12, v7, v17, v13
	v_dot4_i32_i8 v7, v7, v18, v11
	s_waitcnt vmcnt(1)
	v_dot4_i32_i8 v7, v38, v19, v7
	v_dot4_i32_i8 v11, v38, v20, v12
	v_dot4_i32_i8 v12, v38, v21, v10
	v_dot4_i32_i8 v1, v38, v22, v1
	s_waitcnt vmcnt(0)
	v_dot4_i32_i8 v10, v39, v23, v1
	v_dot4_i32_i8 v12, v39, v24, v12
	v_dot4_i32_i8 v13, v39, v25, v11
	v_dot4_i32_i8 v11, v39, v26, v7
	s_andn2_b64 exec, exec, s[18:19]
	s_cbranch_execnz .LBB64_37
; %bb.38:
	s_or_b64 exec, exec, s[18:19]
.LBB64_39:
	s_or_b64 exec, exec, s[14:15]
.LBB64_40:
	s_or_b64 exec, exec, s[8:9]
.LBB64_41:
	v_mov_b32_dpp v0, v11 row_shr:1 row_mask:0xf bank_mask:0xf
	v_mov_b32_dpp v2, v13 row_shr:1 row_mask:0xf bank_mask:0xf
	v_mov_b32_dpp v5, v12 row_shr:1 row_mask:0xf bank_mask:0xf
	v_mov_b32_dpp v7, v10 row_shr:1 row_mask:0xf bank_mask:0xf
	v_add_u32_e32 v0, v0, v11
	v_add_u32_e32 v2, v2, v13
	v_add_u32_e32 v5, v5, v12
	v_add_u32_e32 v7, v7, v10
	v_mov_b32_dpp v1, v0 row_shr:2 row_mask:0xf bank_mask:0xf
	v_mov_b32_dpp v4, v2 row_shr:2 row_mask:0xf bank_mask:0xf
	v_mov_b32_dpp v6, v5 row_shr:2 row_mask:0xf bank_mask:0xf
	v_mov_b32_dpp v9, v7 row_shr:2 row_mask:0xf bank_mask:0xf
	v_add_u32_e32 v0, v0, v1
	v_add_u32_e32 v2, v2, v4
	v_add_u32_e32 v5, v5, v6
	v_add_u32_e32 v7, v7, v9
	;; [unrolled: 8-line block ×4, first 2 shown]
	v_mov_b32_dpp v1, v0 row_bcast:15 row_mask:0xa bank_mask:0xf
	v_mov_b32_dpp v4, v2 row_bcast:15 row_mask:0xa bank_mask:0xf
	;; [unrolled: 1-line block ×4, first 2 shown]
	v_add_u32_e32 v0, v0, v1
	v_add_u32_e32 v2, v2, v4
	;; [unrolled: 1-line block ×4, first 2 shown]
	v_mov_b32_dpp v1, v0 row_bcast:31 row_mask:0xc bank_mask:0xf
	v_mov_b32_dpp v4, v2 row_bcast:31 row_mask:0xc bank_mask:0xf
	;; [unrolled: 1-line block ×4, first 2 shown]
	v_cmp_eq_u32_e32 vcc, 63, v8
	s_and_b64 exec, exec, vcc
	s_cbranch_execz .LBB64_14
; %bb.42:
	s_load_dwordx2 s[0:1], s[4:5], 0x50
	v_add_u32_e32 v0, v0, v1
	v_add_u32_e32 v1, v2, v4
	;; [unrolled: 1-line block ×4, first 2 shown]
	v_mul_lo_u32 v0, v0, s17
	v_mul_lo_u32 v1, v1, s17
	;; [unrolled: 1-line block ×4, first 2 shown]
	s_cmp_eq_u32 s22, 0
	v_lshlrev_b32_e32 v5, 2, v3
	s_cbranch_scc1 .LBB64_44
; %bb.43:
	v_ashrrev_i32_e32 v6, 31, v5
	v_lshlrev_b64 v[6:7], 2, v[5:6]
	s_waitcnt lgkmcnt(0)
	v_mov_b32_e32 v3, s1
	v_add_co_u32_e32 v14, vcc, s0, v6
	v_addc_co_u32_e32 v15, vcc, v3, v7, vcc
	global_load_dwordx4 v[6:9], v[14:15], off
	s_waitcnt vmcnt(0)
	v_mad_u64_u32 v[10:11], s[2:3], v6, s22, v[0:1]
	v_mad_u64_u32 v[16:17], s[2:3], v9, s22, v[4:5]
	;; [unrolled: 1-line block ×4, first 2 shown]
	v_mov_b32_e32 v13, v16
	global_store_dwordx4 v[14:15], v[10:13], off
	s_cbranch_execnz .LBB64_14
	s_branch .LBB64_45
.LBB64_44:
.LBB64_45:
	v_ashrrev_i32_e32 v6, 31, v5
	v_lshlrev_b64 v[5:6], 2, v[5:6]
	s_waitcnt lgkmcnt(0)
	v_mov_b32_e32 v3, s1
	v_add_co_u32_e32 v5, vcc, s0, v5
	v_addc_co_u32_e32 v6, vcc, v3, v6, vcc
	v_mov_b32_e32 v3, v4
	global_store_dwordx4 v[5:6], v[0:3], off
	s_endpgm
	.section	.rodata,"a",@progbits
	.p2align	6, 0x0
	.amdhsa_kernel _ZN9rocsparseL18bsrxmvn_4x4_kernelILj128ELj64EiiiaaiEEvT3_20rocsparse_direction_NS_24const_host_device_scalarIT1_EES1_PKS1_PKT2_SA_S7_PKT4_PKT5_S5_PT6_21rocsparse_index_base_b
		.amdhsa_group_segment_fixed_size 0
		.amdhsa_private_segment_fixed_size 0
		.amdhsa_kernarg_size 96
		.amdhsa_user_sgpr_count 6
		.amdhsa_user_sgpr_private_segment_buffer 1
		.amdhsa_user_sgpr_dispatch_ptr 0
		.amdhsa_user_sgpr_queue_ptr 0
		.amdhsa_user_sgpr_kernarg_segment_ptr 1
		.amdhsa_user_sgpr_dispatch_id 0
		.amdhsa_user_sgpr_flat_scratch_init 0
		.amdhsa_user_sgpr_private_segment_size 0
		.amdhsa_uses_dynamic_stack 0
		.amdhsa_system_sgpr_private_segment_wavefront_offset 0
		.amdhsa_system_sgpr_workgroup_id_x 1
		.amdhsa_system_sgpr_workgroup_id_y 0
		.amdhsa_system_sgpr_workgroup_id_z 0
		.amdhsa_system_sgpr_workgroup_info 0
		.amdhsa_system_vgpr_workitem_id 0
		.amdhsa_next_free_vgpr 50
		.amdhsa_next_free_sgpr 27
		.amdhsa_reserve_vcc 1
		.amdhsa_reserve_flat_scratch 0
		.amdhsa_float_round_mode_32 0
		.amdhsa_float_round_mode_16_64 0
		.amdhsa_float_denorm_mode_32 3
		.amdhsa_float_denorm_mode_16_64 3
		.amdhsa_dx10_clamp 1
		.amdhsa_ieee_mode 1
		.amdhsa_fp16_overflow 0
		.amdhsa_exception_fp_ieee_invalid_op 0
		.amdhsa_exception_fp_denorm_src 0
		.amdhsa_exception_fp_ieee_div_zero 0
		.amdhsa_exception_fp_ieee_overflow 0
		.amdhsa_exception_fp_ieee_underflow 0
		.amdhsa_exception_fp_ieee_inexact 0
		.amdhsa_exception_int_div_zero 0
	.end_amdhsa_kernel
	.section	.text._ZN9rocsparseL18bsrxmvn_4x4_kernelILj128ELj64EiiiaaiEEvT3_20rocsparse_direction_NS_24const_host_device_scalarIT1_EES1_PKS1_PKT2_SA_S7_PKT4_PKT5_S5_PT6_21rocsparse_index_base_b,"axG",@progbits,_ZN9rocsparseL18bsrxmvn_4x4_kernelILj128ELj64EiiiaaiEEvT3_20rocsparse_direction_NS_24const_host_device_scalarIT1_EES1_PKS1_PKT2_SA_S7_PKT4_PKT5_S5_PT6_21rocsparse_index_base_b,comdat
.Lfunc_end64:
	.size	_ZN9rocsparseL18bsrxmvn_4x4_kernelILj128ELj64EiiiaaiEEvT3_20rocsparse_direction_NS_24const_host_device_scalarIT1_EES1_PKS1_PKT2_SA_S7_PKT4_PKT5_S5_PT6_21rocsparse_index_base_b, .Lfunc_end64-_ZN9rocsparseL18bsrxmvn_4x4_kernelILj128ELj64EiiiaaiEEvT3_20rocsparse_direction_NS_24const_host_device_scalarIT1_EES1_PKS1_PKT2_SA_S7_PKT4_PKT5_S5_PT6_21rocsparse_index_base_b
                                        ; -- End function
	.set _ZN9rocsparseL18bsrxmvn_4x4_kernelILj128ELj64EiiiaaiEEvT3_20rocsparse_direction_NS_24const_host_device_scalarIT1_EES1_PKS1_PKT2_SA_S7_PKT4_PKT5_S5_PT6_21rocsparse_index_base_b.num_vgpr, 50
	.set _ZN9rocsparseL18bsrxmvn_4x4_kernelILj128ELj64EiiiaaiEEvT3_20rocsparse_direction_NS_24const_host_device_scalarIT1_EES1_PKS1_PKT2_SA_S7_PKT4_PKT5_S5_PT6_21rocsparse_index_base_b.num_agpr, 0
	.set _ZN9rocsparseL18bsrxmvn_4x4_kernelILj128ELj64EiiiaaiEEvT3_20rocsparse_direction_NS_24const_host_device_scalarIT1_EES1_PKS1_PKT2_SA_S7_PKT4_PKT5_S5_PT6_21rocsparse_index_base_b.numbered_sgpr, 27
	.set _ZN9rocsparseL18bsrxmvn_4x4_kernelILj128ELj64EiiiaaiEEvT3_20rocsparse_direction_NS_24const_host_device_scalarIT1_EES1_PKS1_PKT2_SA_S7_PKT4_PKT5_S5_PT6_21rocsparse_index_base_b.num_named_barrier, 0
	.set _ZN9rocsparseL18bsrxmvn_4x4_kernelILj128ELj64EiiiaaiEEvT3_20rocsparse_direction_NS_24const_host_device_scalarIT1_EES1_PKS1_PKT2_SA_S7_PKT4_PKT5_S5_PT6_21rocsparse_index_base_b.private_seg_size, 0
	.set _ZN9rocsparseL18bsrxmvn_4x4_kernelILj128ELj64EiiiaaiEEvT3_20rocsparse_direction_NS_24const_host_device_scalarIT1_EES1_PKS1_PKT2_SA_S7_PKT4_PKT5_S5_PT6_21rocsparse_index_base_b.uses_vcc, 1
	.set _ZN9rocsparseL18bsrxmvn_4x4_kernelILj128ELj64EiiiaaiEEvT3_20rocsparse_direction_NS_24const_host_device_scalarIT1_EES1_PKS1_PKT2_SA_S7_PKT4_PKT5_S5_PT6_21rocsparse_index_base_b.uses_flat_scratch, 0
	.set _ZN9rocsparseL18bsrxmvn_4x4_kernelILj128ELj64EiiiaaiEEvT3_20rocsparse_direction_NS_24const_host_device_scalarIT1_EES1_PKS1_PKT2_SA_S7_PKT4_PKT5_S5_PT6_21rocsparse_index_base_b.has_dyn_sized_stack, 0
	.set _ZN9rocsparseL18bsrxmvn_4x4_kernelILj128ELj64EiiiaaiEEvT3_20rocsparse_direction_NS_24const_host_device_scalarIT1_EES1_PKS1_PKT2_SA_S7_PKT4_PKT5_S5_PT6_21rocsparse_index_base_b.has_recursion, 0
	.set _ZN9rocsparseL18bsrxmvn_4x4_kernelILj128ELj64EiiiaaiEEvT3_20rocsparse_direction_NS_24const_host_device_scalarIT1_EES1_PKS1_PKT2_SA_S7_PKT4_PKT5_S5_PT6_21rocsparse_index_base_b.has_indirect_call, 0
	.section	.AMDGPU.csdata,"",@progbits
; Kernel info:
; codeLenInByte = 3056
; TotalNumSgprs: 31
; NumVgprs: 50
; ScratchSize: 0
; MemoryBound: 0
; FloatMode: 240
; IeeeMode: 1
; LDSByteSize: 0 bytes/workgroup (compile time only)
; SGPRBlocks: 3
; VGPRBlocks: 12
; NumSGPRsForWavesPerEU: 31
; NumVGPRsForWavesPerEU: 50
; Occupancy: 4
; WaveLimiterHint : 1
; COMPUTE_PGM_RSRC2:SCRATCH_EN: 0
; COMPUTE_PGM_RSRC2:USER_SGPR: 6
; COMPUTE_PGM_RSRC2:TRAP_HANDLER: 0
; COMPUTE_PGM_RSRC2:TGID_X_EN: 1
; COMPUTE_PGM_RSRC2:TGID_Y_EN: 0
; COMPUTE_PGM_RSRC2:TGID_Z_EN: 0
; COMPUTE_PGM_RSRC2:TIDIG_COMP_CNT: 0
	.section	.text._ZN9rocsparseL18bsrxmvn_4x4_kernelILj128ELj4EiliaaiEEvT3_20rocsparse_direction_NS_24const_host_device_scalarIT1_EES1_PKS1_PKT2_SA_S7_PKT4_PKT5_S5_PT6_21rocsparse_index_base_b,"axG",@progbits,_ZN9rocsparseL18bsrxmvn_4x4_kernelILj128ELj4EiliaaiEEvT3_20rocsparse_direction_NS_24const_host_device_scalarIT1_EES1_PKS1_PKT2_SA_S7_PKT4_PKT5_S5_PT6_21rocsparse_index_base_b,comdat
	.globl	_ZN9rocsparseL18bsrxmvn_4x4_kernelILj128ELj4EiliaaiEEvT3_20rocsparse_direction_NS_24const_host_device_scalarIT1_EES1_PKS1_PKT2_SA_S7_PKT4_PKT5_S5_PT6_21rocsparse_index_base_b ; -- Begin function _ZN9rocsparseL18bsrxmvn_4x4_kernelILj128ELj4EiliaaiEEvT3_20rocsparse_direction_NS_24const_host_device_scalarIT1_EES1_PKS1_PKT2_SA_S7_PKT4_PKT5_S5_PT6_21rocsparse_index_base_b
	.p2align	8
	.type	_ZN9rocsparseL18bsrxmvn_4x4_kernelILj128ELj4EiliaaiEEvT3_20rocsparse_direction_NS_24const_host_device_scalarIT1_EES1_PKS1_PKT2_SA_S7_PKT4_PKT5_S5_PT6_21rocsparse_index_base_b,@function
_ZN9rocsparseL18bsrxmvn_4x4_kernelILj128ELj4EiliaaiEEvT3_20rocsparse_direction_NS_24const_host_device_scalarIT1_EES1_PKS1_PKT2_SA_S7_PKT4_PKT5_S5_PT6_21rocsparse_index_base_b: ; @_ZN9rocsparseL18bsrxmvn_4x4_kernelILj128ELj4EiliaaiEEvT3_20rocsparse_direction_NS_24const_host_device_scalarIT1_EES1_PKS1_PKT2_SA_S7_PKT4_PKT5_S5_PT6_21rocsparse_index_base_b
; %bb.0:
	s_load_dwordx2 s[16:17], s[4:5], 0x58
	s_load_dwordx2 s[8:9], s[4:5], 0x8
	s_mov_b64 s[10:11], -1
	s_waitcnt lgkmcnt(0)
	s_bitcmp1_b32 s17, 0
	s_cselect_b64 s[0:1], -1, 0
	s_xor_b64 s[2:3], s[0:1], -1
	s_and_b64 vcc, exec, s[2:3]
                                        ; implicit-def: $sgpr17
	s_cbranch_vccnz .LBB65_4
; %bb.1:
	s_load_dwordx2 s[0:1], s[4:5], 0x48
	s_andn2_b64 vcc, exec, s[10:11]
	s_cbranch_vccz .LBB65_5
.LBB65_2:
	s_and_b64 vcc, exec, s[2:3]
	s_cbranch_vccz .LBB65_6
.LBB65_3:
	s_waitcnt lgkmcnt(0)
	s_load_dword s22, s[0:1], 0x0
	s_cbranch_execz .LBB65_7
	s_branch .LBB65_8
.LBB65_4:
	s_load_dword s17, s[8:9], 0x0
	s_load_dwordx2 s[0:1], s[4:5], 0x48
	s_cbranch_execnz .LBB65_2
.LBB65_5:
	s_waitcnt lgkmcnt(0)
	s_mov_b32 s17, s8
	s_and_b64 vcc, exec, s[2:3]
	s_cbranch_vccnz .LBB65_3
.LBB65_6:
                                        ; implicit-def: $sgpr22
.LBB65_7:
	s_waitcnt lgkmcnt(0)
	s_mov_b32 s22, s0
.LBB65_8:
	s_waitcnt lgkmcnt(0)
	s_cmp_lg_u32 s17, 0
	s_cselect_b64 s[0:1], -1, 0
	s_cmp_lg_u32 s22, 1
	s_cselect_b64 s[2:3], -1, 0
	s_or_b64 s[0:1], s[0:1], s[2:3]
	s_andn2_b64 vcc, exec, s[0:1]
	s_cbranch_vccnz .LBB65_14
; %bb.9:
	s_load_dwordx2 s[8:9], s[4:5], 0x18
	s_load_dwordx2 s[0:1], s[4:5], 0x0
	v_lshrrev_b32_e32 v1, 2, v0
	v_lshl_or_b32 v8, s6, 5, v1
	s_mov_b64 s[2:3], 0
	s_waitcnt lgkmcnt(0)
	s_cmp_lg_u64 s[8:9], 0
	s_cbranch_scc0 .LBB65_15
; %bb.10:
	s_load_dword s6, s[4:5], 0x10
                                        ; implicit-def: $vgpr1
	s_waitcnt lgkmcnt(0)
	v_cmp_gt_i32_e32 vcc, s6, v8
	s_and_saveexec_b64 s[6:7], vcc
	s_xor_b64 s[6:7], exec, s[6:7]
	s_cbranch_execz .LBB65_12
; %bb.11:
	v_ashrrev_i32_e32 v9, 31, v8
	v_lshlrev_b64 v[1:2], 2, v[8:9]
	v_mov_b32_e32 v3, s9
	v_add_co_u32_e32 v1, vcc, s8, v1
	v_addc_co_u32_e32 v2, vcc, v3, v2, vcc
	global_load_dword v1, v[1:2], off
	s_mov_b64 s[2:3], exec
	s_waitcnt vmcnt(0)
	v_subrev_u32_e32 v1, s16, v1
.LBB65_12:
	s_or_b64 exec, exec, s[6:7]
	s_branch .LBB65_16
.LBB65_13:
	v_cmp_gt_i32_e32 vcc, s0, v8
	s_andn2_b64 s[2:3], s[2:3], exec
	s_and_b64 s[6:7], vcc, exec
	s_or_b64 s[2:3], s[2:3], s[6:7]
	s_and_saveexec_b64 s[6:7], s[2:3]
	s_cbranch_execnz .LBB65_17
.LBB65_14:
	s_endpgm
.LBB65_15:
                                        ; implicit-def: $vgpr1
	s_cbranch_execnz .LBB65_13
.LBB65_16:
	v_mov_b32_e32 v8, v1
	s_and_saveexec_b64 s[6:7], s[2:3]
	s_cbranch_execz .LBB65_14
.LBB65_17:
	s_load_dwordx8 s[8:15], s[4:5], 0x20
	v_ashrrev_i32_e32 v9, 31, v8
	v_lshlrev_b64 v[1:2], 3, v[8:9]
	v_and_b32_e32 v23, 3, v0
	s_waitcnt lgkmcnt(0)
	v_mov_b32_e32 v4, s9
	v_add_co_u32_e32 v3, vcc, s8, v1
	v_addc_co_u32_e32 v4, vcc, v4, v2, vcc
	global_load_dwordx2 v[13:14], v[3:4], off
	v_add_co_u32_e32 v3, vcc, 8, v3
	v_addc_co_u32_e32 v4, vcc, 0, v4, vcc
	v_mov_b32_e32 v5, s11
	v_add_co_u32_e32 v1, vcc, s10, v1
	s_cmp_eq_u64 s[10:11], 0
	v_addc_co_u32_e32 v2, vcc, v5, v2, vcc
	s_cselect_b64 vcc, -1, 0
	v_cndmask_b32_e32 v2, v2, v4, vcc
	v_cndmask_b32_e32 v1, v1, v3, vcc
	global_load_dwordx2 v[1:2], v[1:2], off
	s_load_dwordx2 s[10:11], s[4:5], 0x40
	v_mov_b32_e32 v3, s15
	s_cmp_eq_u32 s1, 1
	v_mov_b32_e32 v4, 0
	s_waitcnt vmcnt(1)
	v_subrev_co_u32_e32 v0, vcc, s16, v13
	v_subbrev_co_u32_e32 v5, vcc, 0, v14, vcc
	v_add_co_u32_e32 v11, vcc, v0, v23
	v_addc_co_u32_e32 v12, vcc, 0, v5, vcc
	s_waitcnt vmcnt(0)
	v_subrev_co_u32_e32 v15, vcc, s16, v1
	v_lshlrev_b64 v[0:1], 4, v[11:12]
	v_subbrev_co_u32_e32 v16, vcc, 0, v2, vcc
	v_cmp_lt_i64_e64 s[0:1], v[11:12], v[15:16]
	v_add_co_u32_e32 v9, vcc, s14, v0
	v_addc_co_u32_e32 v10, vcc, v3, v1, vcc
	s_cbranch_scc1 .LBB65_29
; %bb.18:
	v_mov_b32_e32 v2, 0
	v_mov_b32_e32 v1, 0
	;; [unrolled: 1-line block ×3, first 2 shown]
	s_and_saveexec_b64 s[14:15], s[0:1]
	s_cbranch_execz .LBB65_28
; %bb.19:
	v_or_b32_e32 v0, 4, v23
	v_subrev_co_u32_e32 v0, vcc, s16, v0
	v_subb_co_u32_e64 v1, s[2:3], 0, 0, vcc
	v_add_co_u32_e32 v0, vcc, v0, v13
	v_addc_co_u32_e32 v1, vcc, v1, v14, vcc
	v_cmp_gt_i64_e32 vcc, v[0:1], v[15:16]
	v_not_b32_e32 v3, v13
	v_cndmask_b32_e32 v1, v16, v1, vcc
	v_cndmask_b32_e32 v0, v15, v0, vcc
	v_sub_co_u32_e32 v4, vcc, s16, v23
	v_not_b32_e32 v2, v14
	v_subb_co_u32_e64 v5, s[2:3], 0, 0, vcc
	v_add_co_u32_e32 v3, vcc, v4, v3
	v_addc_co_u32_e32 v2, vcc, v5, v2, vcc
	v_add_co_u32_e32 v0, vcc, v3, v0
	v_addc_co_u32_e32 v1, vcc, v2, v1, vcc
	v_lshrrev_b64 v[2:3], 2, v[0:1]
	v_mov_b32_e32 v4, 0
	v_add_co_u32_e32 v24, vcc, 1, v2
	v_addc_co_u32_e32 v22, vcc, 0, v3, vcc
	v_cmp_lt_u64_e32 vcc, 11, v[0:1]
	v_mov_b32_e32 v5, v4
	v_mov_b32_e32 v6, v4
	;; [unrolled: 1-line block ×11, first 2 shown]
	s_and_saveexec_b64 s[18:19], vcc
	s_cbranch_execz .LBB65_23
; %bb.20:
	v_lshlrev_b64 v[0:1], 2, v[11:12]
	v_mov_b32_e32 v2, s13
	v_add_co_u32_e32 v0, vcc, s12, v0
	v_addc_co_u32_e32 v1, vcc, v2, v1, vcc
	v_add_co_u32_e32 v5, vcc, 32, v0
	v_mov_b32_e32 v18, v10
	v_mov_b32_e32 v20, v12
	v_and_b32_e32 v21, -4, v24
	v_addc_co_u32_e32 v6, vcc, 0, v1, vcc
	s_mov_b64 s[20:21], 0
	s_movk_i32 s23, 0x100
	v_mov_b32_e32 v17, v9
	v_mov_b32_e32 v19, v11
	;; [unrolled: 1-line block ×5, first 2 shown]
.LBB65_21:                              ; =>This Inner Loop Header: Depth=1
	global_load_dword v3, v[5:6], off offset:-32
	global_load_dword v7, v[5:6], off offset:-16
	global_load_dword v41, v[5:6], off
	global_load_dword v42, v[5:6], off offset:16
	s_waitcnt lgkmcnt(0)
	v_mov_b32_e32 v46, s11
	global_load_dwordx4 v[25:28], v[17:18], off
	global_load_dwordx4 v[29:32], v[17:18], off offset:64
	global_load_dwordx4 v[33:36], v[17:18], off offset:128
	;; [unrolled: 1-line block ×3, first 2 shown]
	s_waitcnt vmcnt(7)
	v_subrev_u32_e32 v3, s16, v3
	s_waitcnt vmcnt(6)
	v_subrev_u32_e32 v7, s16, v7
	;; [unrolled: 2-line block ×4, first 2 shown]
	v_lshlrev_b32_e32 v3, 2, v3
	v_lshlrev_b32_e32 v7, 2, v7
	;; [unrolled: 1-line block ×4, first 2 shown]
	v_ashrrev_i32_e32 v44, 31, v3
	v_add_co_u32_e64 v47, s[8:9], s10, v3
	v_ashrrev_i32_e32 v49, 31, v7
	v_add_co_u32_e32 v41, vcc, s10, v7
	v_ashrrev_i32_e32 v7, 31, v43
	v_add_co_u32_e64 v43, s[2:3], s10, v43
	v_ashrrev_i32_e32 v50, 31, v42
	v_add_co_u32_e64 v45, s[6:7], s10, v42
	v_addc_co_u32_e64 v48, s[8:9], v46, v44, s[8:9]
	v_addc_co_u32_e32 v42, vcc, v46, v49, vcc
	v_addc_co_u32_e64 v44, vcc, v46, v7, s[2:3]
	v_addc_co_u32_e64 v46, vcc, v46, v50, s[6:7]
	global_load_dword v3, v[47:48], off
	global_load_dword v7, v[41:42], off
	global_load_dword v49, v[43:44], off
	global_load_dword v50, v[45:46], off
	v_add_co_u32_e64 v19, s[2:3], 16, v19
	v_addc_co_u32_e64 v20, s[2:3], 0, v20, s[2:3]
	v_add_co_u32_e64 v21, s[2:3], -4, v21
	s_waitcnt vmcnt(7)
	v_lshrrev_b16_e32 v41, 8, v28
	v_ashrrev_i32_e32 v42, 24, v28
	v_bfe_i32 v43, v28, 0, 8
	v_bfe_i32 v28, v28, 16, 8
	s_waitcnt vmcnt(6)
	v_lshrrev_b16_e32 v44, 8, v32
	v_addc_co_u32_e64 v22, s[2:3], -1, v22, s[2:3]
	v_add_co_u32_e64 v5, s[2:3], 64, v5
	s_waitcnt vmcnt(5)
	v_bfe_i32 v45, v36, 8, 8
	v_addc_co_u32_e64 v6, s[2:3], 0, v6, s[2:3]
	v_cmp_eq_u64_e64 s[2:3], 0, v[21:22]
	v_add_co_u32_e32 v17, vcc, s23, v17
	v_addc_co_u32_e32 v18, vcc, 0, v18, vcc
	s_or_b64 s[20:21], s[2:3], s[20:21]
	s_waitcnt vmcnt(3)
	v_lshrrev_b16_e32 v46, 8, v3
	v_ashrrev_i32_e32 v47, 24, v3
	v_bfe_i32 v48, v3, 0, 8
	v_bfe_i32 v51, v3, 16, 8
	v_dot4_i32_i8 v0, v3, v25, v0
	v_dot4_i32_i8 v1, v3, v26, v1
	v_dot4_i32_i8 v2, v3, v27, v2
	s_waitcnt vmcnt(2)
	v_lshrrev_b16_e32 v3, 8, v7
	v_mul_i32_i24_sdwa v26, sext(v32), sext(v7) dst_sel:DWORD dst_unused:UNUSED_PAD src0_sel:BYTE_2 src1_sel:BYTE_2
	v_mul_i32_i24_sdwa v27, sext(v32), sext(v7) dst_sel:DWORD dst_unused:UNUSED_PAD src0_sel:BYTE_3 src1_sel:BYTE_3
	v_mul_i32_i24_sdwa v25, sext(v32), sext(v7) dst_sel:DWORD dst_unused:UNUSED_PAD src0_sel:BYTE_0 src1_sel:BYTE_0
	v_mul_i32_i24_sdwa v41, sext(v41), sext(v46) dst_sel:DWORD dst_unused:UNUSED_PAD src0_sel:BYTE_0 src1_sel:BYTE_0
	v_dot4_i32_i8 v0, v7, v29, v0
	v_dot4_i32_i8 v1, v7, v30, v1
	;; [unrolled: 1-line block ×3, first 2 shown]
	v_mul_i32_i24_sdwa v3, sext(v44), sext(v3) dst_sel:DWORD dst_unused:UNUSED_PAD src0_sel:BYTE_0 src1_sel:BYTE_0
	v_mad_i32_i24 v7, v28, v51, v26
	v_mad_i32_i24 v26, v42, v47, v27
	s_waitcnt vmcnt(1)
	v_bfe_i32 v32, v49, 8, 8
	v_mul_i32_i24_sdwa v53, sext(v36), sext(v49) dst_sel:DWORD dst_unused:UNUSED_PAD src0_sel:BYTE_2 src1_sel:BYTE_2
	v_mad_i32_i24 v25, v43, v48, v25
	v_add3_u32 v3, v41, v3, v26
	v_mul_i32_i24_sdwa v52, sext(v49), sext(v36) dst_sel:DWORD dst_unused:UNUSED_PAD src0_sel:BYTE_0 src1_sel:BYTE_0
	v_mad_i32_i24 v27, v32, v45, v53
	v_add3_u32 v3, v25, v7, v3
	v_mul_i32_i24_sdwa v36, sext(v36), sext(v49) dst_sel:DWORD dst_unused:UNUSED_PAD src0_sel:BYTE_3 src1_sel:BYTE_3
	v_add3_u32 v3, v3, v52, v27
	v_dot4_i32_i8 v0, v49, v33, v0
	v_dot4_i32_i8 v1, v34, v49, v1
	;; [unrolled: 1-line block ×3, first 2 shown]
	v_add3_u32 v3, v3, v4, v36
	s_waitcnt vmcnt(0)
	v_dot4_i32_i8 v2, v50, v39, v2
	v_dot4_i32_i8 v1, v50, v38, v1
	;; [unrolled: 1-line block ×4, first 2 shown]
	s_andn2_b64 exec, exec, s[20:21]
	s_cbranch_execnz .LBB65_21
; %bb.22:
	s_or_b64 exec, exec, s[20:21]
	v_mov_b32_e32 v3, v4
.LBB65_23:
	s_or_b64 exec, exec, s[18:19]
	v_and_b32_e32 v5, 3, v24
	v_mov_b32_e32 v6, 0
	v_cmp_ne_u64_e32 vcc, 0, v[5:6]
	s_mov_b64 s[6:7], 0
	s_and_saveexec_b64 s[2:3], vcc
	s_cbranch_execz .LBB65_27
; %bb.24:
	v_lshlrev_b64 v[19:20], 2, v[19:20]
	v_mov_b32_e32 v4, s13
	v_add_co_u32_e32 v19, vcc, s12, v19
	v_addc_co_u32_e32 v20, vcc, v4, v20, vcc
	v_lshlrev_b32_e32 v5, 2, v5
	s_waitcnt lgkmcnt(0)
	v_mov_b32_e32 v4, s11
.LBB65_25:                              ; =>This Inner Loop Header: Depth=1
	global_load_dword v7, v[19:20], off
	global_load_dwordx4 v[24:27], v[17:18], off
	s_waitcnt vmcnt(1)
	v_subrev_u32_e32 v7, s16, v7
	v_lshlrev_b32_e32 v7, 2, v7
	v_ashrrev_i32_e32 v22, 31, v7
	v_add_co_u32_e32 v21, vcc, s10, v7
	v_addc_co_u32_e32 v22, vcc, v4, v22, vcc
	global_load_dword v7, v[21:22], off
	v_add_co_u32_e32 v17, vcc, 64, v17
	v_addc_co_u32_e32 v18, vcc, 0, v18, vcc
	v_add_co_u32_e32 v19, vcc, 16, v19
	v_addc_co_u32_e32 v20, vcc, 0, v20, vcc
	v_add_co_u32_e32 v5, vcc, -4, v5
	v_addc_co_u32_e32 v6, vcc, -1, v6, vcc
	v_cmp_eq_u64_e32 vcc, 0, v[5:6]
	s_or_b64 s[6:7], vcc, s[6:7]
	s_waitcnt vmcnt(0)
	v_dot4_i32_i8 v3, v7, v27, v3
	v_dot4_i32_i8 v2, v7, v26, v2
	;; [unrolled: 1-line block ×4, first 2 shown]
	s_andn2_b64 exec, exec, s[6:7]
	s_cbranch_execnz .LBB65_25
; %bb.26:
	s_or_b64 exec, exec, s[6:7]
	v_mov_b32_e32 v4, v3
.LBB65_27:
	s_or_b64 exec, exec, s[2:3]
.LBB65_28:
	s_or_b64 exec, exec, s[14:15]
	s_cbranch_execz .LBB65_30
	s_branch .LBB65_41
.LBB65_29:
                                        ; implicit-def: $vgpr4
                                        ; implicit-def: $vgpr2
.LBB65_30:
	v_mov_b32_e32 v4, 0
	v_mov_b32_e32 v2, 0
	;; [unrolled: 1-line block ×4, first 2 shown]
	s_and_saveexec_b64 s[8:9], s[0:1]
	s_cbranch_execz .LBB65_40
; %bb.31:
	v_or_b32_e32 v0, 4, v23
	v_subrev_co_u32_e32 v0, vcc, s16, v0
	v_subb_co_u32_e64 v1, s[0:1], 0, 0, vcc
	v_add_co_u32_e32 v0, vcc, v0, v13
	v_addc_co_u32_e32 v1, vcc, v1, v14, vcc
	v_cmp_gt_i64_e32 vcc, v[0:1], v[15:16]
	v_not_b32_e32 v3, v13
	v_cndmask_b32_e32 v1, v16, v1, vcc
	v_cndmask_b32_e32 v0, v15, v0, vcc
	v_sub_co_u32_e32 v4, vcc, s16, v23
	v_not_b32_e32 v2, v14
	v_subb_co_u32_e64 v5, s[0:1], 0, 0, vcc
	v_add_co_u32_e32 v3, vcc, v4, v3
	v_addc_co_u32_e32 v2, vcc, v5, v2, vcc
	v_add_co_u32_e32 v0, vcc, v3, v0
	v_addc_co_u32_e32 v1, vcc, v2, v1, vcc
	v_lshrrev_b64 v[2:3], 2, v[0:1]
	v_mov_b32_e32 v4, 0
	v_add_co_u32_e32 v15, vcc, 1, v2
	v_addc_co_u32_e32 v14, vcc, 0, v3, vcc
	v_cmp_lt_u64_e32 vcc, 11, v[0:1]
	v_mov_b32_e32 v5, v4
	v_mov_b32_e32 v6, v4
	;; [unrolled: 1-line block ×7, first 2 shown]
	s_and_saveexec_b64 s[14:15], vcc
	s_cbranch_execz .LBB65_35
; %bb.32:
	v_lshlrev_b64 v[0:1], 2, v[11:12]
	v_mov_b32_e32 v2, s13
	v_add_co_u32_e32 v0, vcc, s12, v0
	v_addc_co_u32_e32 v1, vcc, v2, v1, vcc
	v_add_co_u32_e32 v5, vcc, 32, v0
	v_and_b32_e32 v13, -4, v15
	v_addc_co_u32_e32 v6, vcc, 0, v1, vcc
	s_mov_b64 s[18:19], 0
	s_mov_b32 s20, 0xc04000c
	s_mov_b32 s21, 0xc0c0c00
	;; [unrolled: 1-line block ×19, first 2 shown]
	s_movk_i32 s41, 0x100
	v_mov_b32_e32 v2, 0
	v_mov_b32_e32 v1, 0
	;; [unrolled: 1-line block ×3, first 2 shown]
.LBB65_33:                              ; =>This Inner Loop Header: Depth=1
	global_load_dword v3, v[5:6], off offset:-32
	global_load_dword v7, v[5:6], off offset:-16
	global_load_dword v20, v[5:6], off
	global_load_dword v21, v[5:6], off offset:16
	global_load_dwordx4 v[16:19], v[9:10], off
	global_load_dwordx4 v[24:27], v[9:10], off offset:64
	v_add_co_u32_e64 v11, s[0:1], 16, v11
	v_addc_co_u32_e64 v12, s[0:1], 0, v12, s[0:1]
	v_add_co_u32_e64 v13, s[0:1], -4, v13
	v_addc_co_u32_e64 v14, s[0:1], -1, v14, s[0:1]
	v_add_co_u32_e64 v5, s[0:1], 64, v5
	global_load_dwordx4 v[28:31], v[9:10], off offset:128
	global_load_dwordx4 v[32:35], v[9:10], off offset:192
	v_addc_co_u32_e64 v6, s[0:1], 0, v6, s[0:1]
	v_add_co_u32_e32 v9, vcc, s41, v9
	v_cmp_eq_u64_e64 s[0:1], 0, v[13:14]
	s_waitcnt lgkmcnt(0)
	v_mov_b32_e32 v22, s11
	v_addc_co_u32_e32 v10, vcc, 0, v10, vcc
	s_or_b64 s[18:19], s[0:1], s[18:19]
	s_waitcnt vmcnt(7)
	v_subrev_u32_e32 v3, s16, v3
	s_waitcnt vmcnt(6)
	v_subrev_u32_e32 v7, s16, v7
	;; [unrolled: 2-line block ×4, first 2 shown]
	v_lshlrev_b32_e32 v3, 2, v3
	v_lshlrev_b32_e32 v7, 2, v7
	;; [unrolled: 1-line block ×4, first 2 shown]
	v_ashrrev_i32_e32 v37, 31, v3
	v_add_co_u32_e64 v40, s[6:7], s10, v3
	v_ashrrev_i32_e32 v39, 31, v7
	v_add_co_u32_e32 v20, vcc, s10, v7
	v_ashrrev_i32_e32 v7, 31, v36
	v_add_co_u32_e64 v36, s[0:1], s10, v36
	v_ashrrev_i32_e32 v44, 31, v21
	v_add_co_u32_e64 v38, s[2:3], s10, v21
	v_addc_co_u32_e64 v41, s[6:7], v22, v37, s[6:7]
	v_addc_co_u32_e32 v21, vcc, v22, v39, vcc
	v_addc_co_u32_e64 v37, vcc, v22, v7, s[0:1]
	v_addc_co_u32_e64 v39, vcc, v22, v44, s[2:3]
	global_load_dword v3, v[40:41], off
	global_load_dword v7, v[20:21], off
	;; [unrolled: 1-line block ×4, first 2 shown]
	s_waitcnt vmcnt(7)
	v_perm_b32 v42, v18, v17, s20
	v_perm_b32 v20, v18, v17, s24
	;; [unrolled: 1-line block ×4, first 2 shown]
	s_waitcnt vmcnt(6)
	v_perm_b32 v18, v24, v19, s30
	v_perm_b32 v38, v24, v19, s34
	;; [unrolled: 1-line block ×8, first 2 shown]
	s_waitcnt vmcnt(5)
	v_perm_b32 v26, v28, v27, s30
	v_perm_b32 v45, v28, v27, s34
	;; [unrolled: 1-line block ×4, first 2 shown]
	v_lshrrev_b32_e32 v28, 16, v31
	s_waitcnt vmcnt(4)
	v_perm_b32 v50, v33, v32, s38
	v_perm_b32 v52, v33, v32, s36
	;; [unrolled: 1-line block ×9, first 2 shown]
	v_or_b32_e32 v32, v33, v32
	v_ashrrev_i16_e32 v33, 8, v28
	v_bfe_i32 v28, v28, 0, 8
	v_perm_b32 v51, v35, v34, s39
	v_perm_b32 v53, v35, v34, s37
	;; [unrolled: 1-line block ×3, first 2 shown]
	v_or_b32_e32 v34, v42, v43
	v_or_b32_e32 v20, v20, v21
	;; [unrolled: 1-line block ×4, first 2 shown]
	v_perm_b32 v28, v33, v28, s40
	v_perm_b32 v47, v30, v29, s31
	;; [unrolled: 1-line block ×5, first 2 shown]
	v_ashrrev_i16_e32 v30, 8, v31
	v_bfe_i32 v31, v31, 0, 8
	v_or_b32_e32 v17, v24, v18
	v_or_b32_e32 v18, v40, v38
	;; [unrolled: 1-line block ×8, first 2 shown]
	v_perm_b32 v29, v30, v31, s40
	v_or_b32_e32 v30, v51, v50
	v_or_b32_e32 v31, v53, v52
	;; [unrolled: 1-line block ×3, first 2 shown]
	s_waitcnt vmcnt(3)
	v_perm_b32 v33, v3, v3, s23
	s_waitcnt vmcnt(2)
	v_perm_b32 v3, v7, v3, s33
	;; [unrolled: 2-line block ×3, first 2 shown]
	v_lshrrev_b32_e32 v22, 24, v22
	v_dot4_i32_i8 v0, v33, v34, v0
	v_dot4_i32_i8 v1, v20, v33, v1
	;; [unrolled: 1-line block ×4, first 2 shown]
	v_bfe_i32 v16, v22, 0, 8
	v_dot4_i32_i8 v0, v3, v17, v0
	v_dot4_i32_i8 v1, v18, v3, v1
	v_dot4_i32_i8 v2, v24, v3, v2
	v_dot4_i32_i8 v3, v19, v3, v4
	v_pk_mul_lo_u16 v4, v16, v28 op_sel_hi:[0,1]
	v_pk_mul_lo_u16 v16, v16, v29 op_sel_hi:[0,1]
	v_dot4_i32_i8 v0, v7, v25, v0
	v_dot4_i32_i8 v1, v26, v7, v1
	;; [unrolled: 1-line block ×4, first 2 shown]
	v_add_u32_sdwa v0, v0, sext(v16) dst_sel:DWORD dst_unused:UNUSED_PAD src0_sel:DWORD src1_sel:WORD_0
	v_add_u32_sdwa v1, v1, sext(v16) dst_sel:DWORD dst_unused:UNUSED_PAD src0_sel:DWORD src1_sel:WORD_1
	v_add_u32_sdwa v2, v2, sext(v4) dst_sel:DWORD dst_unused:UNUSED_PAD src0_sel:DWORD src1_sel:WORD_0
	v_add_u32_sdwa v3, v3, sext(v4) dst_sel:DWORD dst_unused:UNUSED_PAD src0_sel:DWORD src1_sel:WORD_1
	s_waitcnt vmcnt(0)
	v_dot4_i32_i8 v2, v44, v31, v2
	v_dot4_i32_i8 v1, v44, v36, v1
	;; [unrolled: 1-line block ×4, first 2 shown]
	s_andn2_b64 exec, exec, s[18:19]
	s_cbranch_execnz .LBB65_33
; %bb.34:
	s_or_b64 exec, exec, s[18:19]
	v_mov_b32_e32 v3, v4
.LBB65_35:
	s_or_b64 exec, exec, s[14:15]
	v_and_b32_e32 v5, 3, v15
	v_mov_b32_e32 v6, 0
	v_cmp_ne_u64_e32 vcc, 0, v[5:6]
	s_mov_b64 s[2:3], 0
	s_and_saveexec_b64 s[0:1], vcc
	s_cbranch_execz .LBB65_39
; %bb.36:
	v_lshlrev_b64 v[11:12], 2, v[11:12]
	v_mov_b32_e32 v4, s13
	v_add_co_u32_e32 v11, vcc, s12, v11
	v_addc_co_u32_e32 v12, vcc, v4, v12, vcc
	v_lshlrev_b32_e32 v5, 2, v5
	s_waitcnt lgkmcnt(0)
	v_mov_b32_e32 v4, s11
	s_mov_b32 s6, 0xc0c0703
	s_mov_b32 s7, 0x7030c0c
	;; [unrolled: 1-line block ×8, first 2 shown]
.LBB65_37:                              ; =>This Inner Loop Header: Depth=1
	global_load_dword v7, v[11:12], off
	global_load_dwordx4 v[13:16], v[9:10], off
	s_waitcnt vmcnt(1)
	v_subrev_u32_e32 v7, s16, v7
	v_lshlrev_b32_e32 v7, 2, v7
	v_ashrrev_i32_e32 v18, 31, v7
	v_add_co_u32_e32 v17, vcc, s10, v7
	v_addc_co_u32_e32 v18, vcc, v4, v18, vcc
	global_load_dword v7, v[17:18], off
	v_add_co_u32_e32 v9, vcc, 64, v9
	v_addc_co_u32_e32 v10, vcc, 0, v10, vcc
	v_add_co_u32_e32 v11, vcc, 16, v11
	v_addc_co_u32_e32 v12, vcc, 0, v12, vcc
	v_add_co_u32_e32 v5, vcc, -4, v5
	v_addc_co_u32_e32 v6, vcc, -1, v6, vcc
	v_cmp_eq_u64_e32 vcc, 0, v[5:6]
	s_waitcnt vmcnt(1)
	v_perm_b32 v17, v14, v13, s6
	v_perm_b32 v18, v16, v15, s7
	;; [unrolled: 1-line block ×8, first 2 shown]
	v_or_b32_e32 v15, v18, v17
	v_or_b32_e32 v16, v20, v19
	;; [unrolled: 1-line block ×4, first 2 shown]
	s_or_b64 s[2:3], vcc, s[2:3]
	s_waitcnt vmcnt(0)
	v_dot4_i32_i8 v3, v7, v15, v3
	v_dot4_i32_i8 v2, v7, v16, v2
	;; [unrolled: 1-line block ×4, first 2 shown]
	s_andn2_b64 exec, exec, s[2:3]
	s_cbranch_execnz .LBB65_37
; %bb.38:
	s_or_b64 exec, exec, s[2:3]
	v_mov_b32_e32 v4, v3
.LBB65_39:
	s_or_b64 exec, exec, s[0:1]
.LBB65_40:
	s_or_b64 exec, exec, s[8:9]
.LBB65_41:
	v_mov_b32_dpp v3, v0 row_shr:1 row_mask:0xf bank_mask:0xf
	v_mov_b32_dpp v5, v1 row_shr:1 row_mask:0xf bank_mask:0xf
	;; [unrolled: 1-line block ×4, first 2 shown]
	v_add_u32_e32 v0, v3, v0
	v_add_u32_e32 v1, v5, v1
	;; [unrolled: 1-line block ×4, first 2 shown]
	v_mov_b32_dpp v3, v0 row_shr:2 row_mask:0xf bank_mask:0xf
	v_mov_b32_dpp v5, v1 row_shr:2 row_mask:0xf bank_mask:0xf
	;; [unrolled: 1-line block ×4, first 2 shown]
	v_cmp_eq_u32_e32 vcc, 3, v23
	s_and_b64 exec, exec, vcc
	s_cbranch_execz .LBB65_14
; %bb.42:
	s_load_dwordx2 s[0:1], s[4:5], 0x50
	v_add_u32_e32 v0, v0, v3
	v_add_u32_e32 v1, v1, v5
	;; [unrolled: 1-line block ×4, first 2 shown]
	v_mul_lo_u32 v0, v0, s17
	v_mul_lo_u32 v1, v1, s17
	;; [unrolled: 1-line block ×4, first 2 shown]
	s_cmp_eq_u32 s22, 0
	v_lshlrev_b32_e32 v4, 2, v8
	s_cbranch_scc1 .LBB65_44
; %bb.43:
	v_ashrrev_i32_e32 v5, 31, v4
	v_lshlrev_b64 v[5:6], 2, v[4:5]
	s_waitcnt lgkmcnt(0)
	v_mov_b32_e32 v7, s1
	v_add_co_u32_e32 v13, vcc, s0, v5
	v_addc_co_u32_e32 v14, vcc, v7, v6, vcc
	global_load_dwordx4 v[5:8], v[13:14], off
	s_waitcnt vmcnt(0)
	v_mad_u64_u32 v[9:10], s[2:3], v5, s22, v[0:1]
	v_mad_u64_u32 v[15:16], s[2:3], v8, s22, v[3:4]
	;; [unrolled: 1-line block ×4, first 2 shown]
	v_mov_b32_e32 v12, v15
	global_store_dwordx4 v[13:14], v[9:12], off
	s_cbranch_execnz .LBB65_14
	s_branch .LBB65_45
.LBB65_44:
.LBB65_45:
	v_ashrrev_i32_e32 v5, 31, v4
	v_lshlrev_b64 v[4:5], 2, v[4:5]
	s_waitcnt lgkmcnt(0)
	v_mov_b32_e32 v6, s1
	v_add_co_u32_e32 v4, vcc, s0, v4
	v_addc_co_u32_e32 v5, vcc, v6, v5, vcc
	global_store_dwordx4 v[4:5], v[0:3], off
	s_endpgm
	.section	.rodata,"a",@progbits
	.p2align	6, 0x0
	.amdhsa_kernel _ZN9rocsparseL18bsrxmvn_4x4_kernelILj128ELj4EiliaaiEEvT3_20rocsparse_direction_NS_24const_host_device_scalarIT1_EES1_PKS1_PKT2_SA_S7_PKT4_PKT5_S5_PT6_21rocsparse_index_base_b
		.amdhsa_group_segment_fixed_size 0
		.amdhsa_private_segment_fixed_size 0
		.amdhsa_kernarg_size 96
		.amdhsa_user_sgpr_count 6
		.amdhsa_user_sgpr_private_segment_buffer 1
		.amdhsa_user_sgpr_dispatch_ptr 0
		.amdhsa_user_sgpr_queue_ptr 0
		.amdhsa_user_sgpr_kernarg_segment_ptr 1
		.amdhsa_user_sgpr_dispatch_id 0
		.amdhsa_user_sgpr_flat_scratch_init 0
		.amdhsa_user_sgpr_private_segment_size 0
		.amdhsa_uses_dynamic_stack 0
		.amdhsa_system_sgpr_private_segment_wavefront_offset 0
		.amdhsa_system_sgpr_workgroup_id_x 1
		.amdhsa_system_sgpr_workgroup_id_y 0
		.amdhsa_system_sgpr_workgroup_id_z 0
		.amdhsa_system_sgpr_workgroup_info 0
		.amdhsa_system_vgpr_workitem_id 0
		.amdhsa_next_free_vgpr 56
		.amdhsa_next_free_sgpr 42
		.amdhsa_reserve_vcc 1
		.amdhsa_reserve_flat_scratch 0
		.amdhsa_float_round_mode_32 0
		.amdhsa_float_round_mode_16_64 0
		.amdhsa_float_denorm_mode_32 3
		.amdhsa_float_denorm_mode_16_64 3
		.amdhsa_dx10_clamp 1
		.amdhsa_ieee_mode 1
		.amdhsa_fp16_overflow 0
		.amdhsa_exception_fp_ieee_invalid_op 0
		.amdhsa_exception_fp_denorm_src 0
		.amdhsa_exception_fp_ieee_div_zero 0
		.amdhsa_exception_fp_ieee_overflow 0
		.amdhsa_exception_fp_ieee_underflow 0
		.amdhsa_exception_fp_ieee_inexact 0
		.amdhsa_exception_int_div_zero 0
	.end_amdhsa_kernel
	.section	.text._ZN9rocsparseL18bsrxmvn_4x4_kernelILj128ELj4EiliaaiEEvT3_20rocsparse_direction_NS_24const_host_device_scalarIT1_EES1_PKS1_PKT2_SA_S7_PKT4_PKT5_S5_PT6_21rocsparse_index_base_b,"axG",@progbits,_ZN9rocsparseL18bsrxmvn_4x4_kernelILj128ELj4EiliaaiEEvT3_20rocsparse_direction_NS_24const_host_device_scalarIT1_EES1_PKS1_PKT2_SA_S7_PKT4_PKT5_S5_PT6_21rocsparse_index_base_b,comdat
.Lfunc_end65:
	.size	_ZN9rocsparseL18bsrxmvn_4x4_kernelILj128ELj4EiliaaiEEvT3_20rocsparse_direction_NS_24const_host_device_scalarIT1_EES1_PKS1_PKT2_SA_S7_PKT4_PKT5_S5_PT6_21rocsparse_index_base_b, .Lfunc_end65-_ZN9rocsparseL18bsrxmvn_4x4_kernelILj128ELj4EiliaaiEEvT3_20rocsparse_direction_NS_24const_host_device_scalarIT1_EES1_PKS1_PKT2_SA_S7_PKT4_PKT5_S5_PT6_21rocsparse_index_base_b
                                        ; -- End function
	.set _ZN9rocsparseL18bsrxmvn_4x4_kernelILj128ELj4EiliaaiEEvT3_20rocsparse_direction_NS_24const_host_device_scalarIT1_EES1_PKS1_PKT2_SA_S7_PKT4_PKT5_S5_PT6_21rocsparse_index_base_b.num_vgpr, 56
	.set _ZN9rocsparseL18bsrxmvn_4x4_kernelILj128ELj4EiliaaiEEvT3_20rocsparse_direction_NS_24const_host_device_scalarIT1_EES1_PKS1_PKT2_SA_S7_PKT4_PKT5_S5_PT6_21rocsparse_index_base_b.num_agpr, 0
	.set _ZN9rocsparseL18bsrxmvn_4x4_kernelILj128ELj4EiliaaiEEvT3_20rocsparse_direction_NS_24const_host_device_scalarIT1_EES1_PKS1_PKT2_SA_S7_PKT4_PKT5_S5_PT6_21rocsparse_index_base_b.numbered_sgpr, 42
	.set _ZN9rocsparseL18bsrxmvn_4x4_kernelILj128ELj4EiliaaiEEvT3_20rocsparse_direction_NS_24const_host_device_scalarIT1_EES1_PKS1_PKT2_SA_S7_PKT4_PKT5_S5_PT6_21rocsparse_index_base_b.num_named_barrier, 0
	.set _ZN9rocsparseL18bsrxmvn_4x4_kernelILj128ELj4EiliaaiEEvT3_20rocsparse_direction_NS_24const_host_device_scalarIT1_EES1_PKS1_PKT2_SA_S7_PKT4_PKT5_S5_PT6_21rocsparse_index_base_b.private_seg_size, 0
	.set _ZN9rocsparseL18bsrxmvn_4x4_kernelILj128ELj4EiliaaiEEvT3_20rocsparse_direction_NS_24const_host_device_scalarIT1_EES1_PKS1_PKT2_SA_S7_PKT4_PKT5_S5_PT6_21rocsparse_index_base_b.uses_vcc, 1
	.set _ZN9rocsparseL18bsrxmvn_4x4_kernelILj128ELj4EiliaaiEEvT3_20rocsparse_direction_NS_24const_host_device_scalarIT1_EES1_PKS1_PKT2_SA_S7_PKT4_PKT5_S5_PT6_21rocsparse_index_base_b.uses_flat_scratch, 0
	.set _ZN9rocsparseL18bsrxmvn_4x4_kernelILj128ELj4EiliaaiEEvT3_20rocsparse_direction_NS_24const_host_device_scalarIT1_EES1_PKS1_PKT2_SA_S7_PKT4_PKT5_S5_PT6_21rocsparse_index_base_b.has_dyn_sized_stack, 0
	.set _ZN9rocsparseL18bsrxmvn_4x4_kernelILj128ELj4EiliaaiEEvT3_20rocsparse_direction_NS_24const_host_device_scalarIT1_EES1_PKS1_PKT2_SA_S7_PKT4_PKT5_S5_PT6_21rocsparse_index_base_b.has_recursion, 0
	.set _ZN9rocsparseL18bsrxmvn_4x4_kernelILj128ELj4EiliaaiEEvT3_20rocsparse_direction_NS_24const_host_device_scalarIT1_EES1_PKS1_PKT2_SA_S7_PKT4_PKT5_S5_PT6_21rocsparse_index_base_b.has_indirect_call, 0
	.section	.AMDGPU.csdata,"",@progbits
; Kernel info:
; codeLenInByte = 3504
; TotalNumSgprs: 46
; NumVgprs: 56
; ScratchSize: 0
; MemoryBound: 0
; FloatMode: 240
; IeeeMode: 1
; LDSByteSize: 0 bytes/workgroup (compile time only)
; SGPRBlocks: 5
; VGPRBlocks: 13
; NumSGPRsForWavesPerEU: 46
; NumVGPRsForWavesPerEU: 56
; Occupancy: 4
; WaveLimiterHint : 1
; COMPUTE_PGM_RSRC2:SCRATCH_EN: 0
; COMPUTE_PGM_RSRC2:USER_SGPR: 6
; COMPUTE_PGM_RSRC2:TRAP_HANDLER: 0
; COMPUTE_PGM_RSRC2:TGID_X_EN: 1
; COMPUTE_PGM_RSRC2:TGID_Y_EN: 0
; COMPUTE_PGM_RSRC2:TGID_Z_EN: 0
; COMPUTE_PGM_RSRC2:TIDIG_COMP_CNT: 0
	.section	.text._ZN9rocsparseL18bsrxmvn_4x4_kernelILj128ELj8EiliaaiEEvT3_20rocsparse_direction_NS_24const_host_device_scalarIT1_EES1_PKS1_PKT2_SA_S7_PKT4_PKT5_S5_PT6_21rocsparse_index_base_b,"axG",@progbits,_ZN9rocsparseL18bsrxmvn_4x4_kernelILj128ELj8EiliaaiEEvT3_20rocsparse_direction_NS_24const_host_device_scalarIT1_EES1_PKS1_PKT2_SA_S7_PKT4_PKT5_S5_PT6_21rocsparse_index_base_b,comdat
	.globl	_ZN9rocsparseL18bsrxmvn_4x4_kernelILj128ELj8EiliaaiEEvT3_20rocsparse_direction_NS_24const_host_device_scalarIT1_EES1_PKS1_PKT2_SA_S7_PKT4_PKT5_S5_PT6_21rocsparse_index_base_b ; -- Begin function _ZN9rocsparseL18bsrxmvn_4x4_kernelILj128ELj8EiliaaiEEvT3_20rocsparse_direction_NS_24const_host_device_scalarIT1_EES1_PKS1_PKT2_SA_S7_PKT4_PKT5_S5_PT6_21rocsparse_index_base_b
	.p2align	8
	.type	_ZN9rocsparseL18bsrxmvn_4x4_kernelILj128ELj8EiliaaiEEvT3_20rocsparse_direction_NS_24const_host_device_scalarIT1_EES1_PKS1_PKT2_SA_S7_PKT4_PKT5_S5_PT6_21rocsparse_index_base_b,@function
_ZN9rocsparseL18bsrxmvn_4x4_kernelILj128ELj8EiliaaiEEvT3_20rocsparse_direction_NS_24const_host_device_scalarIT1_EES1_PKS1_PKT2_SA_S7_PKT4_PKT5_S5_PT6_21rocsparse_index_base_b: ; @_ZN9rocsparseL18bsrxmvn_4x4_kernelILj128ELj8EiliaaiEEvT3_20rocsparse_direction_NS_24const_host_device_scalarIT1_EES1_PKS1_PKT2_SA_S7_PKT4_PKT5_S5_PT6_21rocsparse_index_base_b
; %bb.0:
	s_load_dwordx2 s[16:17], s[4:5], 0x58
	s_load_dwordx2 s[8:9], s[4:5], 0x8
	s_mov_b64 s[10:11], -1
	s_waitcnt lgkmcnt(0)
	s_bitcmp1_b32 s17, 0
	s_cselect_b64 s[0:1], -1, 0
	s_xor_b64 s[2:3], s[0:1], -1
	s_and_b64 vcc, exec, s[2:3]
                                        ; implicit-def: $sgpr17
	s_cbranch_vccnz .LBB66_4
; %bb.1:
	s_load_dwordx2 s[0:1], s[4:5], 0x48
	s_andn2_b64 vcc, exec, s[10:11]
	s_cbranch_vccz .LBB66_5
.LBB66_2:
	s_and_b64 vcc, exec, s[2:3]
	s_cbranch_vccz .LBB66_6
.LBB66_3:
	s_waitcnt lgkmcnt(0)
	s_load_dword s22, s[0:1], 0x0
	s_cbranch_execz .LBB66_7
	s_branch .LBB66_8
.LBB66_4:
	s_load_dword s17, s[8:9], 0x0
	s_load_dwordx2 s[0:1], s[4:5], 0x48
	s_cbranch_execnz .LBB66_2
.LBB66_5:
	s_waitcnt lgkmcnt(0)
	s_mov_b32 s17, s8
	s_and_b64 vcc, exec, s[2:3]
	s_cbranch_vccnz .LBB66_3
.LBB66_6:
                                        ; implicit-def: $sgpr22
.LBB66_7:
	s_waitcnt lgkmcnt(0)
	s_mov_b32 s22, s0
.LBB66_8:
	s_waitcnt lgkmcnt(0)
	s_cmp_lg_u32 s17, 0
	s_cselect_b64 s[0:1], -1, 0
	s_cmp_lg_u32 s22, 1
	s_cselect_b64 s[2:3], -1, 0
	s_or_b64 s[0:1], s[0:1], s[2:3]
	s_andn2_b64 vcc, exec, s[0:1]
	s_cbranch_vccnz .LBB66_14
; %bb.9:
	s_load_dwordx2 s[8:9], s[4:5], 0x18
	s_load_dwordx2 s[0:1], s[4:5], 0x0
	v_lshrrev_b32_e32 v1, 3, v0
	v_lshl_or_b32 v8, s6, 4, v1
	s_mov_b64 s[2:3], 0
	s_waitcnt lgkmcnt(0)
	s_cmp_lg_u64 s[8:9], 0
	s_cbranch_scc0 .LBB66_15
; %bb.10:
	s_load_dword s6, s[4:5], 0x10
                                        ; implicit-def: $vgpr1
	s_waitcnt lgkmcnt(0)
	v_cmp_gt_i32_e32 vcc, s6, v8
	s_and_saveexec_b64 s[6:7], vcc
	s_xor_b64 s[6:7], exec, s[6:7]
	s_cbranch_execz .LBB66_12
; %bb.11:
	v_ashrrev_i32_e32 v9, 31, v8
	v_lshlrev_b64 v[1:2], 2, v[8:9]
	v_mov_b32_e32 v3, s9
	v_add_co_u32_e32 v1, vcc, s8, v1
	v_addc_co_u32_e32 v2, vcc, v3, v2, vcc
	global_load_dword v1, v[1:2], off
	s_mov_b64 s[2:3], exec
	s_waitcnt vmcnt(0)
	v_subrev_u32_e32 v1, s16, v1
.LBB66_12:
	s_or_b64 exec, exec, s[6:7]
	s_branch .LBB66_16
.LBB66_13:
	v_cmp_gt_i32_e32 vcc, s0, v8
	s_andn2_b64 s[2:3], s[2:3], exec
	s_and_b64 s[6:7], vcc, exec
	s_or_b64 s[2:3], s[2:3], s[6:7]
	s_and_saveexec_b64 s[6:7], s[2:3]
	s_cbranch_execnz .LBB66_17
.LBB66_14:
	s_endpgm
.LBB66_15:
                                        ; implicit-def: $vgpr1
	s_cbranch_execnz .LBB66_13
.LBB66_16:
	v_mov_b32_e32 v8, v1
	s_and_saveexec_b64 s[6:7], s[2:3]
	s_cbranch_execz .LBB66_14
.LBB66_17:
	s_load_dwordx8 s[8:15], s[4:5], 0x20
	v_ashrrev_i32_e32 v9, 31, v8
	v_lshlrev_b64 v[1:2], 3, v[8:9]
	v_and_b32_e32 v23, 7, v0
	s_waitcnt lgkmcnt(0)
	v_mov_b32_e32 v4, s9
	v_add_co_u32_e32 v3, vcc, s8, v1
	v_addc_co_u32_e32 v4, vcc, v4, v2, vcc
	global_load_dwordx2 v[13:14], v[3:4], off
	v_add_co_u32_e32 v3, vcc, 8, v3
	v_addc_co_u32_e32 v4, vcc, 0, v4, vcc
	v_mov_b32_e32 v5, s11
	v_add_co_u32_e32 v1, vcc, s10, v1
	s_cmp_eq_u64 s[10:11], 0
	v_addc_co_u32_e32 v2, vcc, v5, v2, vcc
	s_cselect_b64 vcc, -1, 0
	v_cndmask_b32_e32 v2, v2, v4, vcc
	v_cndmask_b32_e32 v1, v1, v3, vcc
	global_load_dwordx2 v[1:2], v[1:2], off
	s_load_dwordx2 s[10:11], s[4:5], 0x40
	v_mov_b32_e32 v3, s15
	s_cmp_eq_u32 s1, 1
	v_mov_b32_e32 v4, 0
	s_waitcnt vmcnt(1)
	v_subrev_co_u32_e32 v0, vcc, s16, v13
	v_subbrev_co_u32_e32 v5, vcc, 0, v14, vcc
	v_add_co_u32_e32 v11, vcc, v0, v23
	v_addc_co_u32_e32 v12, vcc, 0, v5, vcc
	s_waitcnt vmcnt(0)
	v_subrev_co_u32_e32 v15, vcc, s16, v1
	v_lshlrev_b64 v[0:1], 4, v[11:12]
	v_subbrev_co_u32_e32 v16, vcc, 0, v2, vcc
	v_cmp_lt_i64_e64 s[0:1], v[11:12], v[15:16]
	v_add_co_u32_e32 v9, vcc, s14, v0
	v_addc_co_u32_e32 v10, vcc, v3, v1, vcc
	s_cbranch_scc1 .LBB66_29
; %bb.18:
	v_mov_b32_e32 v2, 0
	v_mov_b32_e32 v1, 0
	;; [unrolled: 1-line block ×3, first 2 shown]
	s_and_saveexec_b64 s[14:15], s[0:1]
	s_cbranch_execz .LBB66_28
; %bb.19:
	v_or_b32_e32 v0, 8, v23
	v_subrev_co_u32_e32 v0, vcc, s16, v0
	v_subb_co_u32_e64 v1, s[2:3], 0, 0, vcc
	v_add_co_u32_e32 v0, vcc, v0, v13
	v_addc_co_u32_e32 v1, vcc, v1, v14, vcc
	v_cmp_gt_i64_e32 vcc, v[0:1], v[15:16]
	v_not_b32_e32 v3, v13
	v_cndmask_b32_e32 v1, v16, v1, vcc
	v_cndmask_b32_e32 v0, v15, v0, vcc
	v_sub_co_u32_e32 v4, vcc, s16, v23
	v_not_b32_e32 v2, v14
	v_subb_co_u32_e64 v5, s[2:3], 0, 0, vcc
	v_add_co_u32_e32 v3, vcc, v4, v3
	v_addc_co_u32_e32 v2, vcc, v5, v2, vcc
	v_add_co_u32_e32 v0, vcc, v3, v0
	v_addc_co_u32_e32 v1, vcc, v2, v1, vcc
	v_lshrrev_b64 v[2:3], 3, v[0:1]
	v_mov_b32_e32 v4, 0
	v_add_co_u32_e32 v24, vcc, 1, v2
	v_addc_co_u32_e32 v22, vcc, 0, v3, vcc
	v_cmp_lt_u64_e32 vcc, 23, v[0:1]
	v_mov_b32_e32 v5, v4
	v_mov_b32_e32 v6, v4
	;; [unrolled: 1-line block ×11, first 2 shown]
	s_and_saveexec_b64 s[18:19], vcc
	s_cbranch_execz .LBB66_23
; %bb.20:
	v_lshlrev_b64 v[0:1], 2, v[11:12]
	v_mov_b32_e32 v2, s13
	v_add_co_u32_e32 v0, vcc, s12, v0
	v_addc_co_u32_e32 v1, vcc, v2, v1, vcc
	v_add_co_u32_e32 v5, vcc, 64, v0
	v_mov_b32_e32 v18, v10
	v_mov_b32_e32 v20, v12
	v_and_b32_e32 v21, -4, v24
	v_addc_co_u32_e32 v6, vcc, 0, v1, vcc
	s_mov_b64 s[20:21], 0
	s_movk_i32 s23, 0x200
	v_mov_b32_e32 v17, v9
	v_mov_b32_e32 v19, v11
	;; [unrolled: 1-line block ×5, first 2 shown]
.LBB66_21:                              ; =>This Inner Loop Header: Depth=1
	global_load_dword v3, v[5:6], off offset:-64
	global_load_dword v7, v[5:6], off offset:-32
	global_load_dword v41, v[5:6], off
	global_load_dword v42, v[5:6], off offset:32
	s_waitcnt lgkmcnt(0)
	v_mov_b32_e32 v46, s11
	global_load_dwordx4 v[25:28], v[17:18], off
	global_load_dwordx4 v[29:32], v[17:18], off offset:128
	global_load_dwordx4 v[33:36], v[17:18], off offset:256
	;; [unrolled: 1-line block ×3, first 2 shown]
	s_waitcnt vmcnt(7)
	v_subrev_u32_e32 v3, s16, v3
	s_waitcnt vmcnt(6)
	v_subrev_u32_e32 v7, s16, v7
	;; [unrolled: 2-line block ×4, first 2 shown]
	v_lshlrev_b32_e32 v3, 2, v3
	v_lshlrev_b32_e32 v7, 2, v7
	;; [unrolled: 1-line block ×4, first 2 shown]
	v_ashrrev_i32_e32 v44, 31, v3
	v_add_co_u32_e64 v47, s[8:9], s10, v3
	v_ashrrev_i32_e32 v49, 31, v7
	v_add_co_u32_e32 v41, vcc, s10, v7
	v_ashrrev_i32_e32 v7, 31, v43
	v_add_co_u32_e64 v43, s[2:3], s10, v43
	v_ashrrev_i32_e32 v50, 31, v42
	v_add_co_u32_e64 v45, s[6:7], s10, v42
	v_addc_co_u32_e64 v48, s[8:9], v46, v44, s[8:9]
	v_addc_co_u32_e32 v42, vcc, v46, v49, vcc
	v_addc_co_u32_e64 v44, vcc, v46, v7, s[2:3]
	v_addc_co_u32_e64 v46, vcc, v46, v50, s[6:7]
	global_load_dword v3, v[47:48], off
	global_load_dword v7, v[41:42], off
	;; [unrolled: 1-line block ×4, first 2 shown]
	v_add_co_u32_e64 v19, s[2:3], 32, v19
	s_waitcnt vmcnt(7)
	v_lshrrev_b16_e32 v41, 8, v28
	v_ashrrev_i32_e32 v42, 24, v28
	v_bfe_i32 v43, v28, 0, 8
	v_bfe_i32 v28, v28, 16, 8
	s_waitcnt vmcnt(6)
	v_lshrrev_b16_e32 v44, 8, v32
	v_addc_co_u32_e64 v20, s[2:3], 0, v20, s[2:3]
	v_add_co_u32_e64 v21, s[2:3], -4, v21
	s_waitcnt vmcnt(5)
	v_bfe_i32 v45, v36, 8, 8
	v_add_co_u32_e32 v17, vcc, s23, v17
	v_addc_co_u32_e64 v22, s[2:3], -1, v22, s[2:3]
	v_addc_co_u32_e32 v18, vcc, 0, v18, vcc
	v_cmp_eq_u64_e64 s[2:3], 0, v[21:22]
	v_add_co_u32_e32 v5, vcc, 0x80, v5
	v_addc_co_u32_e32 v6, vcc, 0, v6, vcc
	s_or_b64 s[20:21], s[2:3], s[20:21]
	s_waitcnt vmcnt(3)
	v_lshrrev_b16_e32 v46, 8, v3
	v_ashrrev_i32_e32 v47, 24, v3
	v_bfe_i32 v48, v3, 0, 8
	v_bfe_i32 v51, v3, 16, 8
	v_dot4_i32_i8 v0, v3, v25, v0
	v_dot4_i32_i8 v1, v3, v26, v1
	;; [unrolled: 1-line block ×3, first 2 shown]
	s_waitcnt vmcnt(2)
	v_lshrrev_b16_e32 v3, 8, v7
	v_mul_i32_i24_sdwa v26, sext(v32), sext(v7) dst_sel:DWORD dst_unused:UNUSED_PAD src0_sel:BYTE_2 src1_sel:BYTE_2
	v_mul_i32_i24_sdwa v27, sext(v32), sext(v7) dst_sel:DWORD dst_unused:UNUSED_PAD src0_sel:BYTE_3 src1_sel:BYTE_3
	v_mul_i32_i24_sdwa v25, sext(v32), sext(v7) dst_sel:DWORD dst_unused:UNUSED_PAD src0_sel:BYTE_0 src1_sel:BYTE_0
	v_mul_i32_i24_sdwa v41, sext(v41), sext(v46) dst_sel:DWORD dst_unused:UNUSED_PAD src0_sel:BYTE_0 src1_sel:BYTE_0
	v_dot4_i32_i8 v0, v7, v29, v0
	v_dot4_i32_i8 v1, v7, v30, v1
	;; [unrolled: 1-line block ×3, first 2 shown]
	v_mul_i32_i24_sdwa v3, sext(v44), sext(v3) dst_sel:DWORD dst_unused:UNUSED_PAD src0_sel:BYTE_0 src1_sel:BYTE_0
	v_mad_i32_i24 v7, v28, v51, v26
	v_mad_i32_i24 v26, v42, v47, v27
	s_waitcnt vmcnt(1)
	v_bfe_i32 v32, v49, 8, 8
	v_mul_i32_i24_sdwa v53, sext(v36), sext(v49) dst_sel:DWORD dst_unused:UNUSED_PAD src0_sel:BYTE_2 src1_sel:BYTE_2
	v_mad_i32_i24 v25, v43, v48, v25
	v_add3_u32 v3, v41, v3, v26
	v_mul_i32_i24_sdwa v52, sext(v49), sext(v36) dst_sel:DWORD dst_unused:UNUSED_PAD src0_sel:BYTE_0 src1_sel:BYTE_0
	v_mad_i32_i24 v27, v32, v45, v53
	v_add3_u32 v3, v25, v7, v3
	v_mul_i32_i24_sdwa v36, sext(v36), sext(v49) dst_sel:DWORD dst_unused:UNUSED_PAD src0_sel:BYTE_3 src1_sel:BYTE_3
	v_add3_u32 v3, v3, v52, v27
	v_dot4_i32_i8 v0, v49, v33, v0
	v_dot4_i32_i8 v1, v34, v49, v1
	;; [unrolled: 1-line block ×3, first 2 shown]
	v_add3_u32 v3, v3, v4, v36
	s_waitcnt vmcnt(0)
	v_dot4_i32_i8 v2, v50, v39, v2
	v_dot4_i32_i8 v1, v50, v38, v1
	v_dot4_i32_i8 v0, v50, v37, v0
	v_dot4_i32_i8 v4, v50, v40, v3
	s_andn2_b64 exec, exec, s[20:21]
	s_cbranch_execnz .LBB66_21
; %bb.22:
	s_or_b64 exec, exec, s[20:21]
	v_mov_b32_e32 v3, v4
.LBB66_23:
	s_or_b64 exec, exec, s[18:19]
	v_and_b32_e32 v5, 3, v24
	v_mov_b32_e32 v6, 0
	v_cmp_ne_u64_e32 vcc, 0, v[5:6]
	s_mov_b64 s[8:9], 0
	s_and_saveexec_b64 s[6:7], vcc
	s_cbranch_execz .LBB66_27
; %bb.24:
	v_lshlrev_b64 v[19:20], 2, v[19:20]
	v_mov_b32_e32 v4, s13
	v_add_co_u32_e32 v19, vcc, s12, v19
	v_addc_co_u32_e32 v20, vcc, v4, v20, vcc
	v_lshlrev_b32_e32 v5, 2, v5
	s_waitcnt lgkmcnt(0)
	v_mov_b32_e32 v4, s11
	s_movk_i32 s18, 0x80
.LBB66_25:                              ; =>This Inner Loop Header: Depth=1
	global_load_dword v7, v[19:20], off
	global_load_dwordx4 v[24:27], v[17:18], off
	v_add_co_u32_e64 v19, s[2:3], 32, v19
	v_addc_co_u32_e64 v20, s[2:3], 0, v20, s[2:3]
	v_add_co_u32_e64 v5, s[2:3], -4, v5
	v_addc_co_u32_e64 v6, s[2:3], -1, v6, s[2:3]
	v_cmp_eq_u64_e64 s[2:3], 0, v[5:6]
	s_or_b64 s[8:9], s[2:3], s[8:9]
	s_waitcnt vmcnt(1)
	v_subrev_u32_e32 v7, s16, v7
	v_lshlrev_b32_e32 v7, 2, v7
	v_ashrrev_i32_e32 v22, 31, v7
	v_add_co_u32_e32 v21, vcc, s10, v7
	v_addc_co_u32_e32 v22, vcc, v4, v22, vcc
	global_load_dword v7, v[21:22], off
	v_add_co_u32_e32 v17, vcc, s18, v17
	v_addc_co_u32_e32 v18, vcc, 0, v18, vcc
	s_waitcnt vmcnt(0)
	v_dot4_i32_i8 v3, v7, v27, v3
	v_dot4_i32_i8 v2, v7, v26, v2
	v_dot4_i32_i8 v1, v7, v25, v1
	v_dot4_i32_i8 v0, v7, v24, v0
	s_andn2_b64 exec, exec, s[8:9]
	s_cbranch_execnz .LBB66_25
; %bb.26:
	s_or_b64 exec, exec, s[8:9]
	v_mov_b32_e32 v4, v3
.LBB66_27:
	s_or_b64 exec, exec, s[6:7]
.LBB66_28:
	s_or_b64 exec, exec, s[14:15]
	s_cbranch_execz .LBB66_30
	s_branch .LBB66_41
.LBB66_29:
                                        ; implicit-def: $vgpr4
                                        ; implicit-def: $vgpr2
.LBB66_30:
	v_mov_b32_e32 v4, 0
	v_mov_b32_e32 v2, 0
	;; [unrolled: 1-line block ×4, first 2 shown]
	s_and_saveexec_b64 s[8:9], s[0:1]
	s_cbranch_execz .LBB66_40
; %bb.31:
	v_or_b32_e32 v0, 8, v23
	v_subrev_co_u32_e32 v0, vcc, s16, v0
	v_subb_co_u32_e64 v1, s[0:1], 0, 0, vcc
	v_add_co_u32_e32 v0, vcc, v0, v13
	v_addc_co_u32_e32 v1, vcc, v1, v14, vcc
	v_cmp_gt_i64_e32 vcc, v[0:1], v[15:16]
	v_not_b32_e32 v3, v13
	v_cndmask_b32_e32 v1, v16, v1, vcc
	v_cndmask_b32_e32 v0, v15, v0, vcc
	v_sub_co_u32_e32 v4, vcc, s16, v23
	v_not_b32_e32 v2, v14
	v_subb_co_u32_e64 v5, s[0:1], 0, 0, vcc
	v_add_co_u32_e32 v3, vcc, v4, v3
	v_addc_co_u32_e32 v2, vcc, v5, v2, vcc
	v_add_co_u32_e32 v0, vcc, v3, v0
	v_addc_co_u32_e32 v1, vcc, v2, v1, vcc
	v_lshrrev_b64 v[2:3], 3, v[0:1]
	v_mov_b32_e32 v4, 0
	v_add_co_u32_e32 v15, vcc, 1, v2
	v_addc_co_u32_e32 v14, vcc, 0, v3, vcc
	v_cmp_lt_u64_e32 vcc, 23, v[0:1]
	v_mov_b32_e32 v5, v4
	v_mov_b32_e32 v6, v4
	;; [unrolled: 1-line block ×7, first 2 shown]
	s_and_saveexec_b64 s[14:15], vcc
	s_cbranch_execz .LBB66_35
; %bb.32:
	v_lshlrev_b64 v[0:1], 2, v[11:12]
	v_mov_b32_e32 v2, s13
	v_add_co_u32_e32 v0, vcc, s12, v0
	v_addc_co_u32_e32 v1, vcc, v2, v1, vcc
	v_add_co_u32_e32 v5, vcc, 64, v0
	v_and_b32_e32 v13, -4, v15
	v_addc_co_u32_e32 v6, vcc, 0, v1, vcc
	s_mov_b64 s[18:19], 0
	s_mov_b32 s20, 0xc04000c
	s_mov_b32 s21, 0xc0c0c00
	;; [unrolled: 1-line block ×19, first 2 shown]
	s_movk_i32 s41, 0x200
	v_mov_b32_e32 v2, 0
	v_mov_b32_e32 v1, 0
	;; [unrolled: 1-line block ×3, first 2 shown]
.LBB66_33:                              ; =>This Inner Loop Header: Depth=1
	global_load_dword v3, v[5:6], off offset:-64
	global_load_dword v7, v[5:6], off offset:-32
	global_load_dword v20, v[5:6], off
	global_load_dword v21, v[5:6], off offset:32
	global_load_dwordx4 v[16:19], v[9:10], off
	global_load_dwordx4 v[24:27], v[9:10], off offset:128
	global_load_dwordx4 v[28:31], v[9:10], off offset:256
	;; [unrolled: 1-line block ×3, first 2 shown]
	v_add_co_u32_e32 v9, vcc, s41, v9
	s_mov_b64 s[0:1], vcc
	v_add_co_u32_e32 v11, vcc, 32, v11
	v_addc_co_u32_e32 v12, vcc, 0, v12, vcc
	v_add_co_u32_e32 v13, vcc, -4, v13
	v_addc_co_u32_e32 v14, vcc, -1, v14, vcc
	v_addc_co_u32_e64 v10, s[0:1], 0, v10, s[0:1]
	v_add_co_u32_e32 v5, vcc, 0x80, v5
	v_cmp_eq_u64_e64 s[0:1], 0, v[13:14]
	s_waitcnt lgkmcnt(0)
	v_mov_b32_e32 v22, s11
	v_addc_co_u32_e32 v6, vcc, 0, v6, vcc
	s_or_b64 s[18:19], s[0:1], s[18:19]
	s_waitcnt vmcnt(7)
	v_subrev_u32_e32 v3, s16, v3
	s_waitcnt vmcnt(6)
	v_subrev_u32_e32 v7, s16, v7
	;; [unrolled: 2-line block ×4, first 2 shown]
	v_lshlrev_b32_e32 v3, 2, v3
	v_lshlrev_b32_e32 v7, 2, v7
	;; [unrolled: 1-line block ×4, first 2 shown]
	v_ashrrev_i32_e32 v37, 31, v3
	v_add_co_u32_e64 v40, s[6:7], s10, v3
	v_ashrrev_i32_e32 v39, 31, v7
	v_add_co_u32_e32 v20, vcc, s10, v7
	v_ashrrev_i32_e32 v7, 31, v36
	v_add_co_u32_e64 v36, s[0:1], s10, v36
	v_ashrrev_i32_e32 v44, 31, v21
	v_add_co_u32_e64 v38, s[2:3], s10, v21
	v_addc_co_u32_e64 v41, s[6:7], v22, v37, s[6:7]
	v_addc_co_u32_e32 v21, vcc, v22, v39, vcc
	v_addc_co_u32_e64 v37, vcc, v22, v7, s[0:1]
	v_addc_co_u32_e64 v39, vcc, v22, v44, s[2:3]
	global_load_dword v3, v[40:41], off
	global_load_dword v7, v[20:21], off
	;; [unrolled: 1-line block ×4, first 2 shown]
	s_waitcnt vmcnt(7)
	v_perm_b32 v42, v18, v17, s20
	v_perm_b32 v20, v18, v17, s24
	;; [unrolled: 1-line block ×4, first 2 shown]
	s_waitcnt vmcnt(6)
	v_perm_b32 v18, v24, v19, s30
	v_perm_b32 v38, v24, v19, s34
	v_perm_b32 v39, v24, v19, s36
	v_perm_b32 v19, v24, v19, s38
	v_perm_b32 v24, v26, v25, s31
	v_perm_b32 v40, v26, v25, s35
	v_perm_b32 v41, v26, v25, s37
	v_perm_b32 v25, v26, v25, s39
	s_waitcnt vmcnt(5)
	v_perm_b32 v26, v28, v27, s30
	v_perm_b32 v45, v28, v27, s34
	;; [unrolled: 1-line block ×4, first 2 shown]
	v_lshrrev_b32_e32 v28, 16, v31
	s_waitcnt vmcnt(4)
	v_perm_b32 v50, v33, v32, s38
	v_perm_b32 v52, v33, v32, s36
	;; [unrolled: 1-line block ×9, first 2 shown]
	v_or_b32_e32 v32, v33, v32
	v_ashrrev_i16_e32 v33, 8, v28
	v_bfe_i32 v28, v28, 0, 8
	v_perm_b32 v51, v35, v34, s39
	v_perm_b32 v53, v35, v34, s37
	;; [unrolled: 1-line block ×3, first 2 shown]
	v_or_b32_e32 v34, v42, v43
	v_or_b32_e32 v20, v20, v21
	;; [unrolled: 1-line block ×4, first 2 shown]
	v_perm_b32 v28, v33, v28, s40
	v_perm_b32 v47, v30, v29, s31
	;; [unrolled: 1-line block ×5, first 2 shown]
	v_ashrrev_i16_e32 v30, 8, v31
	v_bfe_i32 v31, v31, 0, 8
	v_or_b32_e32 v17, v24, v18
	v_or_b32_e32 v18, v40, v38
	;; [unrolled: 1-line block ×8, first 2 shown]
	v_perm_b32 v29, v30, v31, s40
	v_or_b32_e32 v30, v51, v50
	v_or_b32_e32 v31, v53, v52
	;; [unrolled: 1-line block ×3, first 2 shown]
	s_waitcnt vmcnt(3)
	v_perm_b32 v33, v3, v3, s23
	s_waitcnt vmcnt(2)
	v_perm_b32 v3, v7, v3, s33
	;; [unrolled: 2-line block ×3, first 2 shown]
	v_lshrrev_b32_e32 v22, 24, v22
	v_dot4_i32_i8 v0, v33, v34, v0
	v_dot4_i32_i8 v1, v20, v33, v1
	;; [unrolled: 1-line block ×4, first 2 shown]
	v_bfe_i32 v16, v22, 0, 8
	v_dot4_i32_i8 v0, v3, v17, v0
	v_dot4_i32_i8 v1, v18, v3, v1
	;; [unrolled: 1-line block ×4, first 2 shown]
	v_pk_mul_lo_u16 v4, v16, v28 op_sel_hi:[0,1]
	v_pk_mul_lo_u16 v16, v16, v29 op_sel_hi:[0,1]
	v_dot4_i32_i8 v0, v7, v25, v0
	v_dot4_i32_i8 v1, v26, v7, v1
	;; [unrolled: 1-line block ×4, first 2 shown]
	v_add_u32_sdwa v0, v0, sext(v16) dst_sel:DWORD dst_unused:UNUSED_PAD src0_sel:DWORD src1_sel:WORD_0
	v_add_u32_sdwa v1, v1, sext(v16) dst_sel:DWORD dst_unused:UNUSED_PAD src0_sel:DWORD src1_sel:WORD_1
	v_add_u32_sdwa v2, v2, sext(v4) dst_sel:DWORD dst_unused:UNUSED_PAD src0_sel:DWORD src1_sel:WORD_0
	v_add_u32_sdwa v3, v3, sext(v4) dst_sel:DWORD dst_unused:UNUSED_PAD src0_sel:DWORD src1_sel:WORD_1
	s_waitcnt vmcnt(0)
	v_dot4_i32_i8 v2, v44, v31, v2
	v_dot4_i32_i8 v1, v44, v36, v1
	;; [unrolled: 1-line block ×4, first 2 shown]
	s_andn2_b64 exec, exec, s[18:19]
	s_cbranch_execnz .LBB66_33
; %bb.34:
	s_or_b64 exec, exec, s[18:19]
	v_mov_b32_e32 v3, v4
.LBB66_35:
	s_or_b64 exec, exec, s[14:15]
	v_and_b32_e32 v5, 3, v15
	v_mov_b32_e32 v6, 0
	v_cmp_ne_u64_e32 vcc, 0, v[5:6]
	s_mov_b64 s[6:7], 0
	s_and_saveexec_b64 s[2:3], vcc
	s_cbranch_execz .LBB66_39
; %bb.36:
	v_lshlrev_b64 v[11:12], 2, v[11:12]
	v_mov_b32_e32 v4, s13
	v_add_co_u32_e32 v11, vcc, s12, v11
	v_addc_co_u32_e32 v12, vcc, v4, v12, vcc
	v_lshlrev_b32_e32 v5, 2, v5
	s_waitcnt lgkmcnt(0)
	v_mov_b32_e32 v4, s11
	s_mov_b32 s11, 0xc0c0703
	s_mov_b32 s12, 0x7030c0c
	;; [unrolled: 1-line block ×8, first 2 shown]
	s_movk_i32 s21, 0x80
.LBB66_37:                              ; =>This Inner Loop Header: Depth=1
	global_load_dword v7, v[11:12], off
	global_load_dwordx4 v[13:16], v[9:10], off
	v_add_co_u32_e64 v11, s[0:1], 32, v11
	v_addc_co_u32_e64 v12, s[0:1], 0, v12, s[0:1]
	v_add_co_u32_e64 v5, s[0:1], -4, v5
	v_addc_co_u32_e64 v6, s[0:1], -1, v6, s[0:1]
	v_cmp_eq_u64_e64 s[0:1], 0, v[5:6]
	s_or_b64 s[6:7], s[0:1], s[6:7]
	s_waitcnt vmcnt(1)
	v_subrev_u32_e32 v7, s16, v7
	v_lshlrev_b32_e32 v7, 2, v7
	v_ashrrev_i32_e32 v18, 31, v7
	v_add_co_u32_e32 v17, vcc, s10, v7
	v_addc_co_u32_e32 v18, vcc, v4, v18, vcc
	global_load_dword v7, v[17:18], off
	s_waitcnt vmcnt(1)
	v_perm_b32 v17, v14, v13, s11
	v_perm_b32 v18, v16, v15, s12
	;; [unrolled: 1-line block ×8, first 2 shown]
	v_add_co_u32_e32 v9, vcc, s21, v9
	v_or_b32_e32 v15, v18, v17
	v_or_b32_e32 v16, v20, v19
	;; [unrolled: 1-line block ×4, first 2 shown]
	v_addc_co_u32_e32 v10, vcc, 0, v10, vcc
	s_waitcnt vmcnt(0)
	v_dot4_i32_i8 v3, v7, v15, v3
	v_dot4_i32_i8 v2, v7, v16, v2
	;; [unrolled: 1-line block ×4, first 2 shown]
	s_andn2_b64 exec, exec, s[6:7]
	s_cbranch_execnz .LBB66_37
; %bb.38:
	s_or_b64 exec, exec, s[6:7]
	v_mov_b32_e32 v4, v3
.LBB66_39:
	s_or_b64 exec, exec, s[2:3]
.LBB66_40:
	s_or_b64 exec, exec, s[8:9]
.LBB66_41:
	v_mov_b32_dpp v3, v0 row_shr:1 row_mask:0xf bank_mask:0xf
	v_mov_b32_dpp v5, v1 row_shr:1 row_mask:0xf bank_mask:0xf
	;; [unrolled: 1-line block ×4, first 2 shown]
	v_add_u32_e32 v0, v3, v0
	v_add_u32_e32 v1, v5, v1
	;; [unrolled: 1-line block ×4, first 2 shown]
	v_mov_b32_dpp v3, v0 row_shr:2 row_mask:0xf bank_mask:0xf
	v_mov_b32_dpp v5, v1 row_shr:2 row_mask:0xf bank_mask:0xf
	v_mov_b32_dpp v6, v2 row_shr:2 row_mask:0xf bank_mask:0xf
	v_mov_b32_dpp v7, v4 row_shr:2 row_mask:0xf bank_mask:0xf
	v_add_u32_e32 v0, v0, v3
	v_add_u32_e32 v1, v1, v5
	v_add_u32_e32 v2, v2, v6
	v_add_u32_e32 v4, v4, v7
	v_mov_b32_dpp v3, v0 row_shr:4 row_mask:0xf bank_mask:0xe
	v_mov_b32_dpp v5, v1 row_shr:4 row_mask:0xf bank_mask:0xe
	;; [unrolled: 1-line block ×4, first 2 shown]
	v_cmp_eq_u32_e32 vcc, 7, v23
	s_and_b64 exec, exec, vcc
	s_cbranch_execz .LBB66_14
; %bb.42:
	s_load_dwordx2 s[0:1], s[4:5], 0x50
	v_add_u32_e32 v0, v0, v3
	v_add_u32_e32 v1, v1, v5
	;; [unrolled: 1-line block ×4, first 2 shown]
	v_mul_lo_u32 v0, v0, s17
	v_mul_lo_u32 v1, v1, s17
	;; [unrolled: 1-line block ×4, first 2 shown]
	s_cmp_eq_u32 s22, 0
	v_lshlrev_b32_e32 v4, 2, v8
	s_cbranch_scc1 .LBB66_44
; %bb.43:
	v_ashrrev_i32_e32 v5, 31, v4
	v_lshlrev_b64 v[5:6], 2, v[4:5]
	s_waitcnt lgkmcnt(0)
	v_mov_b32_e32 v7, s1
	v_add_co_u32_e32 v13, vcc, s0, v5
	v_addc_co_u32_e32 v14, vcc, v7, v6, vcc
	global_load_dwordx4 v[5:8], v[13:14], off
	s_waitcnt vmcnt(0)
	v_mad_u64_u32 v[9:10], s[2:3], v5, s22, v[0:1]
	v_mad_u64_u32 v[15:16], s[2:3], v8, s22, v[3:4]
	;; [unrolled: 1-line block ×4, first 2 shown]
	v_mov_b32_e32 v12, v15
	global_store_dwordx4 v[13:14], v[9:12], off
	s_cbranch_execnz .LBB66_14
	s_branch .LBB66_45
.LBB66_44:
.LBB66_45:
	v_ashrrev_i32_e32 v5, 31, v4
	v_lshlrev_b64 v[4:5], 2, v[4:5]
	s_waitcnt lgkmcnt(0)
	v_mov_b32_e32 v6, s1
	v_add_co_u32_e32 v4, vcc, s0, v4
	v_addc_co_u32_e32 v5, vcc, v6, v5, vcc
	global_store_dwordx4 v[4:5], v[0:3], off
	s_endpgm
	.section	.rodata,"a",@progbits
	.p2align	6, 0x0
	.amdhsa_kernel _ZN9rocsparseL18bsrxmvn_4x4_kernelILj128ELj8EiliaaiEEvT3_20rocsparse_direction_NS_24const_host_device_scalarIT1_EES1_PKS1_PKT2_SA_S7_PKT4_PKT5_S5_PT6_21rocsparse_index_base_b
		.amdhsa_group_segment_fixed_size 0
		.amdhsa_private_segment_fixed_size 0
		.amdhsa_kernarg_size 96
		.amdhsa_user_sgpr_count 6
		.amdhsa_user_sgpr_private_segment_buffer 1
		.amdhsa_user_sgpr_dispatch_ptr 0
		.amdhsa_user_sgpr_queue_ptr 0
		.amdhsa_user_sgpr_kernarg_segment_ptr 1
		.amdhsa_user_sgpr_dispatch_id 0
		.amdhsa_user_sgpr_flat_scratch_init 0
		.amdhsa_user_sgpr_private_segment_size 0
		.amdhsa_uses_dynamic_stack 0
		.amdhsa_system_sgpr_private_segment_wavefront_offset 0
		.amdhsa_system_sgpr_workgroup_id_x 1
		.amdhsa_system_sgpr_workgroup_id_y 0
		.amdhsa_system_sgpr_workgroup_id_z 0
		.amdhsa_system_sgpr_workgroup_info 0
		.amdhsa_system_vgpr_workitem_id 0
		.amdhsa_next_free_vgpr 56
		.amdhsa_next_free_sgpr 42
		.amdhsa_reserve_vcc 1
		.amdhsa_reserve_flat_scratch 0
		.amdhsa_float_round_mode_32 0
		.amdhsa_float_round_mode_16_64 0
		.amdhsa_float_denorm_mode_32 3
		.amdhsa_float_denorm_mode_16_64 3
		.amdhsa_dx10_clamp 1
		.amdhsa_ieee_mode 1
		.amdhsa_fp16_overflow 0
		.amdhsa_exception_fp_ieee_invalid_op 0
		.amdhsa_exception_fp_denorm_src 0
		.amdhsa_exception_fp_ieee_div_zero 0
		.amdhsa_exception_fp_ieee_overflow 0
		.amdhsa_exception_fp_ieee_underflow 0
		.amdhsa_exception_fp_ieee_inexact 0
		.amdhsa_exception_int_div_zero 0
	.end_amdhsa_kernel
	.section	.text._ZN9rocsparseL18bsrxmvn_4x4_kernelILj128ELj8EiliaaiEEvT3_20rocsparse_direction_NS_24const_host_device_scalarIT1_EES1_PKS1_PKT2_SA_S7_PKT4_PKT5_S5_PT6_21rocsparse_index_base_b,"axG",@progbits,_ZN9rocsparseL18bsrxmvn_4x4_kernelILj128ELj8EiliaaiEEvT3_20rocsparse_direction_NS_24const_host_device_scalarIT1_EES1_PKS1_PKT2_SA_S7_PKT4_PKT5_S5_PT6_21rocsparse_index_base_b,comdat
.Lfunc_end66:
	.size	_ZN9rocsparseL18bsrxmvn_4x4_kernelILj128ELj8EiliaaiEEvT3_20rocsparse_direction_NS_24const_host_device_scalarIT1_EES1_PKS1_PKT2_SA_S7_PKT4_PKT5_S5_PT6_21rocsparse_index_base_b, .Lfunc_end66-_ZN9rocsparseL18bsrxmvn_4x4_kernelILj128ELj8EiliaaiEEvT3_20rocsparse_direction_NS_24const_host_device_scalarIT1_EES1_PKS1_PKT2_SA_S7_PKT4_PKT5_S5_PT6_21rocsparse_index_base_b
                                        ; -- End function
	.set _ZN9rocsparseL18bsrxmvn_4x4_kernelILj128ELj8EiliaaiEEvT3_20rocsparse_direction_NS_24const_host_device_scalarIT1_EES1_PKS1_PKT2_SA_S7_PKT4_PKT5_S5_PT6_21rocsparse_index_base_b.num_vgpr, 56
	.set _ZN9rocsparseL18bsrxmvn_4x4_kernelILj128ELj8EiliaaiEEvT3_20rocsparse_direction_NS_24const_host_device_scalarIT1_EES1_PKS1_PKT2_SA_S7_PKT4_PKT5_S5_PT6_21rocsparse_index_base_b.num_agpr, 0
	.set _ZN9rocsparseL18bsrxmvn_4x4_kernelILj128ELj8EiliaaiEEvT3_20rocsparse_direction_NS_24const_host_device_scalarIT1_EES1_PKS1_PKT2_SA_S7_PKT4_PKT5_S5_PT6_21rocsparse_index_base_b.numbered_sgpr, 42
	.set _ZN9rocsparseL18bsrxmvn_4x4_kernelILj128ELj8EiliaaiEEvT3_20rocsparse_direction_NS_24const_host_device_scalarIT1_EES1_PKS1_PKT2_SA_S7_PKT4_PKT5_S5_PT6_21rocsparse_index_base_b.num_named_barrier, 0
	.set _ZN9rocsparseL18bsrxmvn_4x4_kernelILj128ELj8EiliaaiEEvT3_20rocsparse_direction_NS_24const_host_device_scalarIT1_EES1_PKS1_PKT2_SA_S7_PKT4_PKT5_S5_PT6_21rocsparse_index_base_b.private_seg_size, 0
	.set _ZN9rocsparseL18bsrxmvn_4x4_kernelILj128ELj8EiliaaiEEvT3_20rocsparse_direction_NS_24const_host_device_scalarIT1_EES1_PKS1_PKT2_SA_S7_PKT4_PKT5_S5_PT6_21rocsparse_index_base_b.uses_vcc, 1
	.set _ZN9rocsparseL18bsrxmvn_4x4_kernelILj128ELj8EiliaaiEEvT3_20rocsparse_direction_NS_24const_host_device_scalarIT1_EES1_PKS1_PKT2_SA_S7_PKT4_PKT5_S5_PT6_21rocsparse_index_base_b.uses_flat_scratch, 0
	.set _ZN9rocsparseL18bsrxmvn_4x4_kernelILj128ELj8EiliaaiEEvT3_20rocsparse_direction_NS_24const_host_device_scalarIT1_EES1_PKS1_PKT2_SA_S7_PKT4_PKT5_S5_PT6_21rocsparse_index_base_b.has_dyn_sized_stack, 0
	.set _ZN9rocsparseL18bsrxmvn_4x4_kernelILj128ELj8EiliaaiEEvT3_20rocsparse_direction_NS_24const_host_device_scalarIT1_EES1_PKS1_PKT2_SA_S7_PKT4_PKT5_S5_PT6_21rocsparse_index_base_b.has_recursion, 0
	.set _ZN9rocsparseL18bsrxmvn_4x4_kernelILj128ELj8EiliaaiEEvT3_20rocsparse_direction_NS_24const_host_device_scalarIT1_EES1_PKS1_PKT2_SA_S7_PKT4_PKT5_S5_PT6_21rocsparse_index_base_b.has_indirect_call, 0
	.section	.AMDGPU.csdata,"",@progbits
; Kernel info:
; codeLenInByte = 3584
; TotalNumSgprs: 46
; NumVgprs: 56
; ScratchSize: 0
; MemoryBound: 0
; FloatMode: 240
; IeeeMode: 1
; LDSByteSize: 0 bytes/workgroup (compile time only)
; SGPRBlocks: 5
; VGPRBlocks: 13
; NumSGPRsForWavesPerEU: 46
; NumVGPRsForWavesPerEU: 56
; Occupancy: 4
; WaveLimiterHint : 1
; COMPUTE_PGM_RSRC2:SCRATCH_EN: 0
; COMPUTE_PGM_RSRC2:USER_SGPR: 6
; COMPUTE_PGM_RSRC2:TRAP_HANDLER: 0
; COMPUTE_PGM_RSRC2:TGID_X_EN: 1
; COMPUTE_PGM_RSRC2:TGID_Y_EN: 0
; COMPUTE_PGM_RSRC2:TGID_Z_EN: 0
; COMPUTE_PGM_RSRC2:TIDIG_COMP_CNT: 0
	.section	.text._ZN9rocsparseL18bsrxmvn_4x4_kernelILj128ELj16EiliaaiEEvT3_20rocsparse_direction_NS_24const_host_device_scalarIT1_EES1_PKS1_PKT2_SA_S7_PKT4_PKT5_S5_PT6_21rocsparse_index_base_b,"axG",@progbits,_ZN9rocsparseL18bsrxmvn_4x4_kernelILj128ELj16EiliaaiEEvT3_20rocsparse_direction_NS_24const_host_device_scalarIT1_EES1_PKS1_PKT2_SA_S7_PKT4_PKT5_S5_PT6_21rocsparse_index_base_b,comdat
	.globl	_ZN9rocsparseL18bsrxmvn_4x4_kernelILj128ELj16EiliaaiEEvT3_20rocsparse_direction_NS_24const_host_device_scalarIT1_EES1_PKS1_PKT2_SA_S7_PKT4_PKT5_S5_PT6_21rocsparse_index_base_b ; -- Begin function _ZN9rocsparseL18bsrxmvn_4x4_kernelILj128ELj16EiliaaiEEvT3_20rocsparse_direction_NS_24const_host_device_scalarIT1_EES1_PKS1_PKT2_SA_S7_PKT4_PKT5_S5_PT6_21rocsparse_index_base_b
	.p2align	8
	.type	_ZN9rocsparseL18bsrxmvn_4x4_kernelILj128ELj16EiliaaiEEvT3_20rocsparse_direction_NS_24const_host_device_scalarIT1_EES1_PKS1_PKT2_SA_S7_PKT4_PKT5_S5_PT6_21rocsparse_index_base_b,@function
_ZN9rocsparseL18bsrxmvn_4x4_kernelILj128ELj16EiliaaiEEvT3_20rocsparse_direction_NS_24const_host_device_scalarIT1_EES1_PKS1_PKT2_SA_S7_PKT4_PKT5_S5_PT6_21rocsparse_index_base_b: ; @_ZN9rocsparseL18bsrxmvn_4x4_kernelILj128ELj16EiliaaiEEvT3_20rocsparse_direction_NS_24const_host_device_scalarIT1_EES1_PKS1_PKT2_SA_S7_PKT4_PKT5_S5_PT6_21rocsparse_index_base_b
; %bb.0:
	s_load_dwordx2 s[16:17], s[4:5], 0x58
	s_load_dwordx2 s[8:9], s[4:5], 0x8
	s_mov_b64 s[10:11], -1
	s_waitcnt lgkmcnt(0)
	s_bitcmp1_b32 s17, 0
	s_cselect_b64 s[0:1], -1, 0
	s_xor_b64 s[2:3], s[0:1], -1
	s_and_b64 vcc, exec, s[2:3]
                                        ; implicit-def: $sgpr17
	s_cbranch_vccnz .LBB67_4
; %bb.1:
	s_load_dwordx2 s[0:1], s[4:5], 0x48
	s_andn2_b64 vcc, exec, s[10:11]
	s_cbranch_vccz .LBB67_5
.LBB67_2:
	s_and_b64 vcc, exec, s[2:3]
	s_cbranch_vccz .LBB67_6
.LBB67_3:
	s_waitcnt lgkmcnt(0)
	s_load_dword s22, s[0:1], 0x0
	s_cbranch_execz .LBB67_7
	s_branch .LBB67_8
.LBB67_4:
	s_load_dword s17, s[8:9], 0x0
	s_load_dwordx2 s[0:1], s[4:5], 0x48
	s_cbranch_execnz .LBB67_2
.LBB67_5:
	s_waitcnt lgkmcnt(0)
	s_mov_b32 s17, s8
	s_and_b64 vcc, exec, s[2:3]
	s_cbranch_vccnz .LBB67_3
.LBB67_6:
                                        ; implicit-def: $sgpr22
.LBB67_7:
	s_waitcnt lgkmcnt(0)
	s_mov_b32 s22, s0
.LBB67_8:
	s_waitcnt lgkmcnt(0)
	s_cmp_lg_u32 s17, 0
	s_cselect_b64 s[0:1], -1, 0
	s_cmp_lg_u32 s22, 1
	s_cselect_b64 s[2:3], -1, 0
	s_or_b64 s[0:1], s[0:1], s[2:3]
	s_andn2_b64 vcc, exec, s[0:1]
	s_cbranch_vccnz .LBB67_14
; %bb.9:
	s_load_dwordx2 s[8:9], s[4:5], 0x18
	s_load_dwordx2 s[0:1], s[4:5], 0x0
	v_lshrrev_b32_e32 v1, 4, v0
	v_lshl_or_b32 v8, s6, 3, v1
	s_mov_b64 s[2:3], 0
	s_waitcnt lgkmcnt(0)
	s_cmp_lg_u64 s[8:9], 0
	s_cbranch_scc0 .LBB67_15
; %bb.10:
	s_load_dword s6, s[4:5], 0x10
                                        ; implicit-def: $vgpr1
	s_waitcnt lgkmcnt(0)
	v_cmp_gt_i32_e32 vcc, s6, v8
	s_and_saveexec_b64 s[6:7], vcc
	s_xor_b64 s[6:7], exec, s[6:7]
	s_cbranch_execz .LBB67_12
; %bb.11:
	v_ashrrev_i32_e32 v9, 31, v8
	v_lshlrev_b64 v[1:2], 2, v[8:9]
	v_mov_b32_e32 v3, s9
	v_add_co_u32_e32 v1, vcc, s8, v1
	v_addc_co_u32_e32 v2, vcc, v3, v2, vcc
	global_load_dword v1, v[1:2], off
	s_mov_b64 s[2:3], exec
	s_waitcnt vmcnt(0)
	v_subrev_u32_e32 v1, s16, v1
.LBB67_12:
	s_or_b64 exec, exec, s[6:7]
	s_branch .LBB67_16
.LBB67_13:
	v_cmp_gt_i32_e32 vcc, s0, v8
	s_andn2_b64 s[2:3], s[2:3], exec
	s_and_b64 s[6:7], vcc, exec
	s_or_b64 s[2:3], s[2:3], s[6:7]
	s_and_saveexec_b64 s[6:7], s[2:3]
	s_cbranch_execnz .LBB67_17
.LBB67_14:
	s_endpgm
.LBB67_15:
                                        ; implicit-def: $vgpr1
	s_cbranch_execnz .LBB67_13
.LBB67_16:
	v_mov_b32_e32 v8, v1
	s_and_saveexec_b64 s[6:7], s[2:3]
	s_cbranch_execz .LBB67_14
.LBB67_17:
	s_load_dwordx8 s[8:15], s[4:5], 0x20
	v_ashrrev_i32_e32 v9, 31, v8
	v_lshlrev_b64 v[1:2], 3, v[8:9]
	v_and_b32_e32 v23, 15, v0
	s_waitcnt lgkmcnt(0)
	v_mov_b32_e32 v4, s9
	v_add_co_u32_e32 v3, vcc, s8, v1
	v_addc_co_u32_e32 v4, vcc, v4, v2, vcc
	global_load_dwordx2 v[13:14], v[3:4], off
	v_add_co_u32_e32 v3, vcc, 8, v3
	v_addc_co_u32_e32 v4, vcc, 0, v4, vcc
	v_mov_b32_e32 v5, s11
	v_add_co_u32_e32 v1, vcc, s10, v1
	s_cmp_eq_u64 s[10:11], 0
	v_addc_co_u32_e32 v2, vcc, v5, v2, vcc
	s_cselect_b64 vcc, -1, 0
	v_cndmask_b32_e32 v2, v2, v4, vcc
	v_cndmask_b32_e32 v1, v1, v3, vcc
	global_load_dwordx2 v[1:2], v[1:2], off
	s_load_dwordx2 s[10:11], s[4:5], 0x40
	v_mov_b32_e32 v3, s15
	s_cmp_eq_u32 s1, 1
	v_mov_b32_e32 v4, 0
	s_waitcnt vmcnt(1)
	v_subrev_co_u32_e32 v0, vcc, s16, v13
	v_subbrev_co_u32_e32 v5, vcc, 0, v14, vcc
	v_add_co_u32_e32 v11, vcc, v0, v23
	v_addc_co_u32_e32 v12, vcc, 0, v5, vcc
	s_waitcnt vmcnt(0)
	v_subrev_co_u32_e32 v15, vcc, s16, v1
	v_lshlrev_b64 v[0:1], 4, v[11:12]
	v_subbrev_co_u32_e32 v16, vcc, 0, v2, vcc
	v_cmp_lt_i64_e64 s[0:1], v[11:12], v[15:16]
	v_add_co_u32_e32 v9, vcc, s14, v0
	v_addc_co_u32_e32 v10, vcc, v3, v1, vcc
	s_cbranch_scc1 .LBB67_29
; %bb.18:
	v_mov_b32_e32 v2, 0
	v_mov_b32_e32 v1, 0
	;; [unrolled: 1-line block ×3, first 2 shown]
	s_and_saveexec_b64 s[14:15], s[0:1]
	s_cbranch_execz .LBB67_28
; %bb.19:
	v_or_b32_e32 v0, 16, v23
	v_subrev_co_u32_e32 v0, vcc, s16, v0
	v_subb_co_u32_e64 v1, s[2:3], 0, 0, vcc
	v_add_co_u32_e32 v0, vcc, v0, v13
	v_addc_co_u32_e32 v1, vcc, v1, v14, vcc
	v_cmp_gt_i64_e32 vcc, v[0:1], v[15:16]
	v_not_b32_e32 v3, v13
	v_cndmask_b32_e32 v1, v16, v1, vcc
	v_cndmask_b32_e32 v0, v15, v0, vcc
	v_sub_co_u32_e32 v4, vcc, s16, v23
	v_not_b32_e32 v2, v14
	v_subb_co_u32_e64 v5, s[2:3], 0, 0, vcc
	v_add_co_u32_e32 v3, vcc, v4, v3
	v_addc_co_u32_e32 v2, vcc, v5, v2, vcc
	v_add_co_u32_e32 v0, vcc, v3, v0
	v_addc_co_u32_e32 v1, vcc, v2, v1, vcc
	v_lshrrev_b64 v[2:3], 4, v[0:1]
	v_mov_b32_e32 v4, 0
	v_add_co_u32_e32 v24, vcc, 1, v2
	v_addc_co_u32_e32 v22, vcc, 0, v3, vcc
	v_cmp_lt_u64_e32 vcc, 47, v[0:1]
	v_mov_b32_e32 v5, v4
	v_mov_b32_e32 v6, v4
	;; [unrolled: 1-line block ×11, first 2 shown]
	s_and_saveexec_b64 s[18:19], vcc
	s_cbranch_execz .LBB67_23
; %bb.20:
	v_lshlrev_b64 v[0:1], 2, v[11:12]
	v_mov_b32_e32 v2, s13
	v_add_co_u32_e32 v0, vcc, s12, v0
	v_addc_co_u32_e32 v1, vcc, v2, v1, vcc
	v_add_co_u32_e32 v5, vcc, 0x80, v0
	v_mov_b32_e32 v18, v10
	v_mov_b32_e32 v20, v12
	v_and_b32_e32 v21, -4, v24
	v_addc_co_u32_e32 v6, vcc, 0, v1, vcc
	s_mov_b64 s[20:21], 0
	s_movk_i32 s23, 0x400
	v_mov_b32_e32 v17, v9
	v_mov_b32_e32 v19, v11
	;; [unrolled: 1-line block ×5, first 2 shown]
.LBB67_21:                              ; =>This Inner Loop Header: Depth=1
	global_load_dword v3, v[5:6], off offset:-128
	global_load_dword v7, v[5:6], off offset:-64
	global_load_dword v41, v[5:6], off
	global_load_dword v42, v[5:6], off offset:64
	s_waitcnt lgkmcnt(0)
	v_mov_b32_e32 v46, s11
	global_load_dwordx4 v[25:28], v[17:18], off
	global_load_dwordx4 v[29:32], v[17:18], off offset:256
	global_load_dwordx4 v[33:36], v[17:18], off offset:512
	;; [unrolled: 1-line block ×3, first 2 shown]
	s_waitcnt vmcnt(7)
	v_subrev_u32_e32 v3, s16, v3
	s_waitcnt vmcnt(6)
	v_subrev_u32_e32 v7, s16, v7
	;; [unrolled: 2-line block ×4, first 2 shown]
	v_lshlrev_b32_e32 v3, 2, v3
	v_lshlrev_b32_e32 v7, 2, v7
	;; [unrolled: 1-line block ×4, first 2 shown]
	v_ashrrev_i32_e32 v44, 31, v3
	v_add_co_u32_e64 v47, s[8:9], s10, v3
	v_ashrrev_i32_e32 v49, 31, v7
	v_add_co_u32_e32 v41, vcc, s10, v7
	v_ashrrev_i32_e32 v7, 31, v43
	v_add_co_u32_e64 v43, s[2:3], s10, v43
	v_ashrrev_i32_e32 v50, 31, v42
	v_add_co_u32_e64 v45, s[6:7], s10, v42
	v_addc_co_u32_e64 v48, s[8:9], v46, v44, s[8:9]
	v_addc_co_u32_e32 v42, vcc, v46, v49, vcc
	v_addc_co_u32_e64 v44, vcc, v46, v7, s[2:3]
	v_addc_co_u32_e64 v46, vcc, v46, v50, s[6:7]
	global_load_dword v3, v[47:48], off
	global_load_dword v7, v[41:42], off
	;; [unrolled: 1-line block ×4, first 2 shown]
	v_add_co_u32_e64 v19, s[2:3], 64, v19
	s_waitcnt vmcnt(7)
	v_lshrrev_b16_e32 v41, 8, v28
	v_ashrrev_i32_e32 v42, 24, v28
	v_bfe_i32 v43, v28, 0, 8
	v_bfe_i32 v28, v28, 16, 8
	s_waitcnt vmcnt(6)
	v_lshrrev_b16_e32 v44, 8, v32
	v_addc_co_u32_e64 v20, s[2:3], 0, v20, s[2:3]
	v_add_co_u32_e64 v21, s[2:3], -4, v21
	s_waitcnt vmcnt(5)
	v_bfe_i32 v45, v36, 8, 8
	v_add_co_u32_e32 v17, vcc, s23, v17
	v_addc_co_u32_e64 v22, s[2:3], -1, v22, s[2:3]
	v_addc_co_u32_e32 v18, vcc, 0, v18, vcc
	v_cmp_eq_u64_e64 s[2:3], 0, v[21:22]
	v_add_co_u32_e32 v5, vcc, 0x100, v5
	v_addc_co_u32_e32 v6, vcc, 0, v6, vcc
	s_or_b64 s[20:21], s[2:3], s[20:21]
	s_waitcnt vmcnt(3)
	v_lshrrev_b16_e32 v46, 8, v3
	v_ashrrev_i32_e32 v47, 24, v3
	v_bfe_i32 v48, v3, 0, 8
	v_bfe_i32 v51, v3, 16, 8
	v_dot4_i32_i8 v0, v3, v25, v0
	v_dot4_i32_i8 v1, v3, v26, v1
	;; [unrolled: 1-line block ×3, first 2 shown]
	s_waitcnt vmcnt(2)
	v_lshrrev_b16_e32 v3, 8, v7
	v_mul_i32_i24_sdwa v26, sext(v32), sext(v7) dst_sel:DWORD dst_unused:UNUSED_PAD src0_sel:BYTE_2 src1_sel:BYTE_2
	v_mul_i32_i24_sdwa v27, sext(v32), sext(v7) dst_sel:DWORD dst_unused:UNUSED_PAD src0_sel:BYTE_3 src1_sel:BYTE_3
	v_mul_i32_i24_sdwa v25, sext(v32), sext(v7) dst_sel:DWORD dst_unused:UNUSED_PAD src0_sel:BYTE_0 src1_sel:BYTE_0
	v_mul_i32_i24_sdwa v41, sext(v41), sext(v46) dst_sel:DWORD dst_unused:UNUSED_PAD src0_sel:BYTE_0 src1_sel:BYTE_0
	v_dot4_i32_i8 v0, v7, v29, v0
	v_dot4_i32_i8 v1, v7, v30, v1
	;; [unrolled: 1-line block ×3, first 2 shown]
	v_mul_i32_i24_sdwa v3, sext(v44), sext(v3) dst_sel:DWORD dst_unused:UNUSED_PAD src0_sel:BYTE_0 src1_sel:BYTE_0
	v_mad_i32_i24 v7, v28, v51, v26
	v_mad_i32_i24 v26, v42, v47, v27
	s_waitcnt vmcnt(1)
	v_bfe_i32 v32, v49, 8, 8
	v_mul_i32_i24_sdwa v53, sext(v36), sext(v49) dst_sel:DWORD dst_unused:UNUSED_PAD src0_sel:BYTE_2 src1_sel:BYTE_2
	v_mad_i32_i24 v25, v43, v48, v25
	v_add3_u32 v3, v41, v3, v26
	v_mul_i32_i24_sdwa v52, sext(v49), sext(v36) dst_sel:DWORD dst_unused:UNUSED_PAD src0_sel:BYTE_0 src1_sel:BYTE_0
	v_mad_i32_i24 v27, v32, v45, v53
	v_add3_u32 v3, v25, v7, v3
	v_mul_i32_i24_sdwa v36, sext(v36), sext(v49) dst_sel:DWORD dst_unused:UNUSED_PAD src0_sel:BYTE_3 src1_sel:BYTE_3
	v_add3_u32 v3, v3, v52, v27
	v_dot4_i32_i8 v0, v49, v33, v0
	v_dot4_i32_i8 v1, v34, v49, v1
	v_dot4_i32_i8 v2, v35, v49, v2
	v_add3_u32 v3, v3, v4, v36
	s_waitcnt vmcnt(0)
	v_dot4_i32_i8 v2, v50, v39, v2
	v_dot4_i32_i8 v1, v50, v38, v1
	;; [unrolled: 1-line block ×4, first 2 shown]
	s_andn2_b64 exec, exec, s[20:21]
	s_cbranch_execnz .LBB67_21
; %bb.22:
	s_or_b64 exec, exec, s[20:21]
	v_mov_b32_e32 v3, v4
.LBB67_23:
	s_or_b64 exec, exec, s[18:19]
	v_and_b32_e32 v5, 3, v24
	v_mov_b32_e32 v6, 0
	v_cmp_ne_u64_e32 vcc, 0, v[5:6]
	s_mov_b64 s[8:9], 0
	s_and_saveexec_b64 s[6:7], vcc
	s_cbranch_execz .LBB67_27
; %bb.24:
	v_lshlrev_b64 v[19:20], 2, v[19:20]
	v_mov_b32_e32 v4, s13
	v_add_co_u32_e32 v19, vcc, s12, v19
	v_addc_co_u32_e32 v20, vcc, v4, v20, vcc
	v_lshlrev_b32_e32 v5, 2, v5
	s_waitcnt lgkmcnt(0)
	v_mov_b32_e32 v4, s11
	s_movk_i32 s18, 0x100
.LBB67_25:                              ; =>This Inner Loop Header: Depth=1
	global_load_dword v7, v[19:20], off
	global_load_dwordx4 v[24:27], v[17:18], off
	v_add_co_u32_e64 v19, s[2:3], 64, v19
	v_addc_co_u32_e64 v20, s[2:3], 0, v20, s[2:3]
	v_add_co_u32_e64 v5, s[2:3], -4, v5
	v_addc_co_u32_e64 v6, s[2:3], -1, v6, s[2:3]
	v_cmp_eq_u64_e64 s[2:3], 0, v[5:6]
	s_or_b64 s[8:9], s[2:3], s[8:9]
	s_waitcnt vmcnt(1)
	v_subrev_u32_e32 v7, s16, v7
	v_lshlrev_b32_e32 v7, 2, v7
	v_ashrrev_i32_e32 v22, 31, v7
	v_add_co_u32_e32 v21, vcc, s10, v7
	v_addc_co_u32_e32 v22, vcc, v4, v22, vcc
	global_load_dword v7, v[21:22], off
	v_add_co_u32_e32 v17, vcc, s18, v17
	v_addc_co_u32_e32 v18, vcc, 0, v18, vcc
	s_waitcnt vmcnt(0)
	v_dot4_i32_i8 v3, v7, v27, v3
	v_dot4_i32_i8 v2, v7, v26, v2
	;; [unrolled: 1-line block ×4, first 2 shown]
	s_andn2_b64 exec, exec, s[8:9]
	s_cbranch_execnz .LBB67_25
; %bb.26:
	s_or_b64 exec, exec, s[8:9]
	v_mov_b32_e32 v4, v3
.LBB67_27:
	s_or_b64 exec, exec, s[6:7]
.LBB67_28:
	s_or_b64 exec, exec, s[14:15]
	s_cbranch_execz .LBB67_30
	s_branch .LBB67_41
.LBB67_29:
                                        ; implicit-def: $vgpr4
                                        ; implicit-def: $vgpr2
.LBB67_30:
	v_mov_b32_e32 v4, 0
	v_mov_b32_e32 v2, 0
	;; [unrolled: 1-line block ×4, first 2 shown]
	s_and_saveexec_b64 s[8:9], s[0:1]
	s_cbranch_execz .LBB67_40
; %bb.31:
	v_or_b32_e32 v0, 16, v23
	v_subrev_co_u32_e32 v0, vcc, s16, v0
	v_subb_co_u32_e64 v1, s[0:1], 0, 0, vcc
	v_add_co_u32_e32 v0, vcc, v0, v13
	v_addc_co_u32_e32 v1, vcc, v1, v14, vcc
	v_cmp_gt_i64_e32 vcc, v[0:1], v[15:16]
	v_not_b32_e32 v3, v13
	v_cndmask_b32_e32 v1, v16, v1, vcc
	v_cndmask_b32_e32 v0, v15, v0, vcc
	v_sub_co_u32_e32 v4, vcc, s16, v23
	v_not_b32_e32 v2, v14
	v_subb_co_u32_e64 v5, s[0:1], 0, 0, vcc
	v_add_co_u32_e32 v3, vcc, v4, v3
	v_addc_co_u32_e32 v2, vcc, v5, v2, vcc
	v_add_co_u32_e32 v0, vcc, v3, v0
	v_addc_co_u32_e32 v1, vcc, v2, v1, vcc
	v_lshrrev_b64 v[2:3], 4, v[0:1]
	v_mov_b32_e32 v4, 0
	v_add_co_u32_e32 v15, vcc, 1, v2
	v_addc_co_u32_e32 v14, vcc, 0, v3, vcc
	v_cmp_lt_u64_e32 vcc, 47, v[0:1]
	v_mov_b32_e32 v5, v4
	v_mov_b32_e32 v6, v4
	;; [unrolled: 1-line block ×7, first 2 shown]
	s_and_saveexec_b64 s[14:15], vcc
	s_cbranch_execz .LBB67_35
; %bb.32:
	v_lshlrev_b64 v[0:1], 2, v[11:12]
	v_mov_b32_e32 v2, s13
	v_add_co_u32_e32 v0, vcc, s12, v0
	v_addc_co_u32_e32 v1, vcc, v2, v1, vcc
	v_add_co_u32_e32 v5, vcc, 0x80, v0
	v_and_b32_e32 v13, -4, v15
	v_addc_co_u32_e32 v6, vcc, 0, v1, vcc
	s_mov_b64 s[18:19], 0
	s_mov_b32 s20, 0xc04000c
	s_mov_b32 s21, 0xc0c0c00
	;; [unrolled: 1-line block ×19, first 2 shown]
	s_movk_i32 s41, 0x400
	v_mov_b32_e32 v2, 0
	v_mov_b32_e32 v1, 0
	;; [unrolled: 1-line block ×3, first 2 shown]
.LBB67_33:                              ; =>This Inner Loop Header: Depth=1
	global_load_dword v3, v[5:6], off offset:-128
	global_load_dword v7, v[5:6], off offset:-64
	global_load_dword v20, v[5:6], off
	global_load_dword v21, v[5:6], off offset:64
	global_load_dwordx4 v[16:19], v[9:10], off
	global_load_dwordx4 v[24:27], v[9:10], off offset:256
	global_load_dwordx4 v[28:31], v[9:10], off offset:512
	;; [unrolled: 1-line block ×3, first 2 shown]
	v_add_co_u32_e32 v9, vcc, s41, v9
	s_mov_b64 s[0:1], vcc
	v_add_co_u32_e32 v11, vcc, 64, v11
	v_addc_co_u32_e32 v12, vcc, 0, v12, vcc
	v_add_co_u32_e32 v13, vcc, -4, v13
	v_addc_co_u32_e32 v14, vcc, -1, v14, vcc
	v_addc_co_u32_e64 v10, s[0:1], 0, v10, s[0:1]
	v_add_co_u32_e32 v5, vcc, 0x100, v5
	v_cmp_eq_u64_e64 s[0:1], 0, v[13:14]
	s_waitcnt lgkmcnt(0)
	v_mov_b32_e32 v22, s11
	v_addc_co_u32_e32 v6, vcc, 0, v6, vcc
	s_or_b64 s[18:19], s[0:1], s[18:19]
	s_waitcnt vmcnt(7)
	v_subrev_u32_e32 v3, s16, v3
	s_waitcnt vmcnt(6)
	v_subrev_u32_e32 v7, s16, v7
	;; [unrolled: 2-line block ×4, first 2 shown]
	v_lshlrev_b32_e32 v3, 2, v3
	v_lshlrev_b32_e32 v7, 2, v7
	;; [unrolled: 1-line block ×4, first 2 shown]
	v_ashrrev_i32_e32 v37, 31, v3
	v_add_co_u32_e64 v40, s[6:7], s10, v3
	v_ashrrev_i32_e32 v39, 31, v7
	v_add_co_u32_e32 v20, vcc, s10, v7
	v_ashrrev_i32_e32 v7, 31, v36
	v_add_co_u32_e64 v36, s[0:1], s10, v36
	v_ashrrev_i32_e32 v44, 31, v21
	v_add_co_u32_e64 v38, s[2:3], s10, v21
	v_addc_co_u32_e64 v41, s[6:7], v22, v37, s[6:7]
	v_addc_co_u32_e32 v21, vcc, v22, v39, vcc
	v_addc_co_u32_e64 v37, vcc, v22, v7, s[0:1]
	v_addc_co_u32_e64 v39, vcc, v22, v44, s[2:3]
	global_load_dword v3, v[40:41], off
	global_load_dword v7, v[20:21], off
	;; [unrolled: 1-line block ×4, first 2 shown]
	s_waitcnt vmcnt(7)
	v_perm_b32 v42, v18, v17, s20
	v_perm_b32 v20, v18, v17, s24
	;; [unrolled: 1-line block ×4, first 2 shown]
	s_waitcnt vmcnt(6)
	v_perm_b32 v18, v24, v19, s30
	v_perm_b32 v38, v24, v19, s34
	;; [unrolled: 1-line block ×8, first 2 shown]
	s_waitcnt vmcnt(5)
	v_perm_b32 v26, v28, v27, s30
	v_perm_b32 v45, v28, v27, s34
	;; [unrolled: 1-line block ×4, first 2 shown]
	v_lshrrev_b32_e32 v28, 16, v31
	s_waitcnt vmcnt(4)
	v_perm_b32 v50, v33, v32, s38
	v_perm_b32 v52, v33, v32, s36
	;; [unrolled: 1-line block ×9, first 2 shown]
	v_or_b32_e32 v32, v33, v32
	v_ashrrev_i16_e32 v33, 8, v28
	v_bfe_i32 v28, v28, 0, 8
	v_perm_b32 v51, v35, v34, s39
	v_perm_b32 v53, v35, v34, s37
	;; [unrolled: 1-line block ×3, first 2 shown]
	v_or_b32_e32 v34, v42, v43
	v_or_b32_e32 v20, v20, v21
	;; [unrolled: 1-line block ×4, first 2 shown]
	v_perm_b32 v28, v33, v28, s40
	v_perm_b32 v47, v30, v29, s31
	;; [unrolled: 1-line block ×5, first 2 shown]
	v_ashrrev_i16_e32 v30, 8, v31
	v_bfe_i32 v31, v31, 0, 8
	v_or_b32_e32 v17, v24, v18
	v_or_b32_e32 v18, v40, v38
	;; [unrolled: 1-line block ×8, first 2 shown]
	v_perm_b32 v29, v30, v31, s40
	v_or_b32_e32 v30, v51, v50
	v_or_b32_e32 v31, v53, v52
	;; [unrolled: 1-line block ×3, first 2 shown]
	s_waitcnt vmcnt(3)
	v_perm_b32 v33, v3, v3, s23
	s_waitcnt vmcnt(2)
	v_perm_b32 v3, v7, v3, s33
	;; [unrolled: 2-line block ×3, first 2 shown]
	v_lshrrev_b32_e32 v22, 24, v22
	v_dot4_i32_i8 v0, v33, v34, v0
	v_dot4_i32_i8 v1, v20, v33, v1
	;; [unrolled: 1-line block ×4, first 2 shown]
	v_bfe_i32 v16, v22, 0, 8
	v_dot4_i32_i8 v0, v3, v17, v0
	v_dot4_i32_i8 v1, v18, v3, v1
	;; [unrolled: 1-line block ×4, first 2 shown]
	v_pk_mul_lo_u16 v4, v16, v28 op_sel_hi:[0,1]
	v_pk_mul_lo_u16 v16, v16, v29 op_sel_hi:[0,1]
	v_dot4_i32_i8 v0, v7, v25, v0
	v_dot4_i32_i8 v1, v26, v7, v1
	;; [unrolled: 1-line block ×4, first 2 shown]
	v_add_u32_sdwa v0, v0, sext(v16) dst_sel:DWORD dst_unused:UNUSED_PAD src0_sel:DWORD src1_sel:WORD_0
	v_add_u32_sdwa v1, v1, sext(v16) dst_sel:DWORD dst_unused:UNUSED_PAD src0_sel:DWORD src1_sel:WORD_1
	v_add_u32_sdwa v2, v2, sext(v4) dst_sel:DWORD dst_unused:UNUSED_PAD src0_sel:DWORD src1_sel:WORD_0
	v_add_u32_sdwa v3, v3, sext(v4) dst_sel:DWORD dst_unused:UNUSED_PAD src0_sel:DWORD src1_sel:WORD_1
	s_waitcnt vmcnt(0)
	v_dot4_i32_i8 v2, v44, v31, v2
	v_dot4_i32_i8 v1, v44, v36, v1
	;; [unrolled: 1-line block ×4, first 2 shown]
	s_andn2_b64 exec, exec, s[18:19]
	s_cbranch_execnz .LBB67_33
; %bb.34:
	s_or_b64 exec, exec, s[18:19]
	v_mov_b32_e32 v3, v4
.LBB67_35:
	s_or_b64 exec, exec, s[14:15]
	v_and_b32_e32 v5, 3, v15
	v_mov_b32_e32 v6, 0
	v_cmp_ne_u64_e32 vcc, 0, v[5:6]
	s_mov_b64 s[6:7], 0
	s_and_saveexec_b64 s[2:3], vcc
	s_cbranch_execz .LBB67_39
; %bb.36:
	v_lshlrev_b64 v[11:12], 2, v[11:12]
	v_mov_b32_e32 v4, s13
	v_add_co_u32_e32 v11, vcc, s12, v11
	v_addc_co_u32_e32 v12, vcc, v4, v12, vcc
	v_lshlrev_b32_e32 v5, 2, v5
	s_waitcnt lgkmcnt(0)
	v_mov_b32_e32 v4, s11
	s_mov_b32 s11, 0xc0c0703
	s_mov_b32 s12, 0x7030c0c
	s_mov_b32 s13, 0xc0c0602
	s_mov_b32 s14, 0x6020c0c
	s_mov_b32 s15, 0xc0c0501
	s_mov_b32 s18, 0x5010c0c
	s_mov_b32 s19, 0xc0c0400
	s_mov_b32 s20, 0x4000c0c
	s_movk_i32 s21, 0x100
.LBB67_37:                              ; =>This Inner Loop Header: Depth=1
	global_load_dword v7, v[11:12], off
	global_load_dwordx4 v[13:16], v[9:10], off
	v_add_co_u32_e64 v11, s[0:1], 64, v11
	v_addc_co_u32_e64 v12, s[0:1], 0, v12, s[0:1]
	v_add_co_u32_e64 v5, s[0:1], -4, v5
	v_addc_co_u32_e64 v6, s[0:1], -1, v6, s[0:1]
	v_cmp_eq_u64_e64 s[0:1], 0, v[5:6]
	s_or_b64 s[6:7], s[0:1], s[6:7]
	s_waitcnt vmcnt(1)
	v_subrev_u32_e32 v7, s16, v7
	v_lshlrev_b32_e32 v7, 2, v7
	v_ashrrev_i32_e32 v18, 31, v7
	v_add_co_u32_e32 v17, vcc, s10, v7
	v_addc_co_u32_e32 v18, vcc, v4, v18, vcc
	global_load_dword v7, v[17:18], off
	s_waitcnt vmcnt(1)
	v_perm_b32 v17, v14, v13, s11
	v_perm_b32 v18, v16, v15, s12
	v_perm_b32 v19, v14, v13, s13
	v_perm_b32 v20, v16, v15, s14
	v_perm_b32 v21, v14, v13, s15
	v_perm_b32 v22, v16, v15, s18
	v_perm_b32 v13, v14, v13, s19
	v_perm_b32 v14, v16, v15, s20
	v_add_co_u32_e32 v9, vcc, s21, v9
	v_or_b32_e32 v15, v18, v17
	v_or_b32_e32 v16, v20, v19
	;; [unrolled: 1-line block ×4, first 2 shown]
	v_addc_co_u32_e32 v10, vcc, 0, v10, vcc
	s_waitcnt vmcnt(0)
	v_dot4_i32_i8 v3, v7, v15, v3
	v_dot4_i32_i8 v2, v7, v16, v2
	;; [unrolled: 1-line block ×4, first 2 shown]
	s_andn2_b64 exec, exec, s[6:7]
	s_cbranch_execnz .LBB67_37
; %bb.38:
	s_or_b64 exec, exec, s[6:7]
	v_mov_b32_e32 v4, v3
.LBB67_39:
	s_or_b64 exec, exec, s[2:3]
.LBB67_40:
	s_or_b64 exec, exec, s[8:9]
.LBB67_41:
	v_mov_b32_dpp v3, v0 row_shr:1 row_mask:0xf bank_mask:0xf
	v_mov_b32_dpp v5, v1 row_shr:1 row_mask:0xf bank_mask:0xf
	v_mov_b32_dpp v6, v2 row_shr:1 row_mask:0xf bank_mask:0xf
	v_mov_b32_dpp v7, v4 row_shr:1 row_mask:0xf bank_mask:0xf
	v_add_u32_e32 v0, v3, v0
	v_add_u32_e32 v1, v5, v1
	v_add_u32_e32 v2, v6, v2
	v_add_u32_e32 v4, v7, v4
	v_mov_b32_dpp v3, v0 row_shr:2 row_mask:0xf bank_mask:0xf
	v_mov_b32_dpp v5, v1 row_shr:2 row_mask:0xf bank_mask:0xf
	v_mov_b32_dpp v6, v2 row_shr:2 row_mask:0xf bank_mask:0xf
	v_mov_b32_dpp v7, v4 row_shr:2 row_mask:0xf bank_mask:0xf
	v_add_u32_e32 v0, v0, v3
	v_add_u32_e32 v1, v1, v5
	v_add_u32_e32 v2, v2, v6
	v_add_u32_e32 v4, v4, v7
	;; [unrolled: 8-line block ×3, first 2 shown]
	v_mov_b32_dpp v3, v0 row_shr:8 row_mask:0xf bank_mask:0xc
	v_mov_b32_dpp v5, v1 row_shr:8 row_mask:0xf bank_mask:0xc
	;; [unrolled: 1-line block ×4, first 2 shown]
	v_cmp_eq_u32_e32 vcc, 15, v23
	s_and_b64 exec, exec, vcc
	s_cbranch_execz .LBB67_14
; %bb.42:
	s_load_dwordx2 s[0:1], s[4:5], 0x50
	v_add_u32_e32 v0, v0, v3
	v_add_u32_e32 v1, v1, v5
	;; [unrolled: 1-line block ×4, first 2 shown]
	v_mul_lo_u32 v0, v0, s17
	v_mul_lo_u32 v1, v1, s17
	;; [unrolled: 1-line block ×4, first 2 shown]
	s_cmp_eq_u32 s22, 0
	v_lshlrev_b32_e32 v4, 2, v8
	s_cbranch_scc1 .LBB67_44
; %bb.43:
	v_ashrrev_i32_e32 v5, 31, v4
	v_lshlrev_b64 v[5:6], 2, v[4:5]
	s_waitcnt lgkmcnt(0)
	v_mov_b32_e32 v7, s1
	v_add_co_u32_e32 v13, vcc, s0, v5
	v_addc_co_u32_e32 v14, vcc, v7, v6, vcc
	global_load_dwordx4 v[5:8], v[13:14], off
	s_waitcnt vmcnt(0)
	v_mad_u64_u32 v[9:10], s[2:3], v5, s22, v[0:1]
	v_mad_u64_u32 v[15:16], s[2:3], v8, s22, v[3:4]
	v_mad_u64_u32 v[10:11], s[2:3], v6, s22, v[1:2]
	v_mad_u64_u32 v[11:12], s[2:3], v7, s22, v[2:3]
	v_mov_b32_e32 v12, v15
	global_store_dwordx4 v[13:14], v[9:12], off
	s_cbranch_execnz .LBB67_14
	s_branch .LBB67_45
.LBB67_44:
.LBB67_45:
	v_ashrrev_i32_e32 v5, 31, v4
	v_lshlrev_b64 v[4:5], 2, v[4:5]
	s_waitcnt lgkmcnt(0)
	v_mov_b32_e32 v6, s1
	v_add_co_u32_e32 v4, vcc, s0, v4
	v_addc_co_u32_e32 v5, vcc, v6, v5, vcc
	global_store_dwordx4 v[4:5], v[0:3], off
	s_endpgm
	.section	.rodata,"a",@progbits
	.p2align	6, 0x0
	.amdhsa_kernel _ZN9rocsparseL18bsrxmvn_4x4_kernelILj128ELj16EiliaaiEEvT3_20rocsparse_direction_NS_24const_host_device_scalarIT1_EES1_PKS1_PKT2_SA_S7_PKT4_PKT5_S5_PT6_21rocsparse_index_base_b
		.amdhsa_group_segment_fixed_size 0
		.amdhsa_private_segment_fixed_size 0
		.amdhsa_kernarg_size 96
		.amdhsa_user_sgpr_count 6
		.amdhsa_user_sgpr_private_segment_buffer 1
		.amdhsa_user_sgpr_dispatch_ptr 0
		.amdhsa_user_sgpr_queue_ptr 0
		.amdhsa_user_sgpr_kernarg_segment_ptr 1
		.amdhsa_user_sgpr_dispatch_id 0
		.amdhsa_user_sgpr_flat_scratch_init 0
		.amdhsa_user_sgpr_private_segment_size 0
		.amdhsa_uses_dynamic_stack 0
		.amdhsa_system_sgpr_private_segment_wavefront_offset 0
		.amdhsa_system_sgpr_workgroup_id_x 1
		.amdhsa_system_sgpr_workgroup_id_y 0
		.amdhsa_system_sgpr_workgroup_id_z 0
		.amdhsa_system_sgpr_workgroup_info 0
		.amdhsa_system_vgpr_workitem_id 0
		.amdhsa_next_free_vgpr 56
		.amdhsa_next_free_sgpr 42
		.amdhsa_reserve_vcc 1
		.amdhsa_reserve_flat_scratch 0
		.amdhsa_float_round_mode_32 0
		.amdhsa_float_round_mode_16_64 0
		.amdhsa_float_denorm_mode_32 3
		.amdhsa_float_denorm_mode_16_64 3
		.amdhsa_dx10_clamp 1
		.amdhsa_ieee_mode 1
		.amdhsa_fp16_overflow 0
		.amdhsa_exception_fp_ieee_invalid_op 0
		.amdhsa_exception_fp_denorm_src 0
		.amdhsa_exception_fp_ieee_div_zero 0
		.amdhsa_exception_fp_ieee_overflow 0
		.amdhsa_exception_fp_ieee_underflow 0
		.amdhsa_exception_fp_ieee_inexact 0
		.amdhsa_exception_int_div_zero 0
	.end_amdhsa_kernel
	.section	.text._ZN9rocsparseL18bsrxmvn_4x4_kernelILj128ELj16EiliaaiEEvT3_20rocsparse_direction_NS_24const_host_device_scalarIT1_EES1_PKS1_PKT2_SA_S7_PKT4_PKT5_S5_PT6_21rocsparse_index_base_b,"axG",@progbits,_ZN9rocsparseL18bsrxmvn_4x4_kernelILj128ELj16EiliaaiEEvT3_20rocsparse_direction_NS_24const_host_device_scalarIT1_EES1_PKS1_PKT2_SA_S7_PKT4_PKT5_S5_PT6_21rocsparse_index_base_b,comdat
.Lfunc_end67:
	.size	_ZN9rocsparseL18bsrxmvn_4x4_kernelILj128ELj16EiliaaiEEvT3_20rocsparse_direction_NS_24const_host_device_scalarIT1_EES1_PKS1_PKT2_SA_S7_PKT4_PKT5_S5_PT6_21rocsparse_index_base_b, .Lfunc_end67-_ZN9rocsparseL18bsrxmvn_4x4_kernelILj128ELj16EiliaaiEEvT3_20rocsparse_direction_NS_24const_host_device_scalarIT1_EES1_PKS1_PKT2_SA_S7_PKT4_PKT5_S5_PT6_21rocsparse_index_base_b
                                        ; -- End function
	.set _ZN9rocsparseL18bsrxmvn_4x4_kernelILj128ELj16EiliaaiEEvT3_20rocsparse_direction_NS_24const_host_device_scalarIT1_EES1_PKS1_PKT2_SA_S7_PKT4_PKT5_S5_PT6_21rocsparse_index_base_b.num_vgpr, 56
	.set _ZN9rocsparseL18bsrxmvn_4x4_kernelILj128ELj16EiliaaiEEvT3_20rocsparse_direction_NS_24const_host_device_scalarIT1_EES1_PKS1_PKT2_SA_S7_PKT4_PKT5_S5_PT6_21rocsparse_index_base_b.num_agpr, 0
	.set _ZN9rocsparseL18bsrxmvn_4x4_kernelILj128ELj16EiliaaiEEvT3_20rocsparse_direction_NS_24const_host_device_scalarIT1_EES1_PKS1_PKT2_SA_S7_PKT4_PKT5_S5_PT6_21rocsparse_index_base_b.numbered_sgpr, 42
	.set _ZN9rocsparseL18bsrxmvn_4x4_kernelILj128ELj16EiliaaiEEvT3_20rocsparse_direction_NS_24const_host_device_scalarIT1_EES1_PKS1_PKT2_SA_S7_PKT4_PKT5_S5_PT6_21rocsparse_index_base_b.num_named_barrier, 0
	.set _ZN9rocsparseL18bsrxmvn_4x4_kernelILj128ELj16EiliaaiEEvT3_20rocsparse_direction_NS_24const_host_device_scalarIT1_EES1_PKS1_PKT2_SA_S7_PKT4_PKT5_S5_PT6_21rocsparse_index_base_b.private_seg_size, 0
	.set _ZN9rocsparseL18bsrxmvn_4x4_kernelILj128ELj16EiliaaiEEvT3_20rocsparse_direction_NS_24const_host_device_scalarIT1_EES1_PKS1_PKT2_SA_S7_PKT4_PKT5_S5_PT6_21rocsparse_index_base_b.uses_vcc, 1
	.set _ZN9rocsparseL18bsrxmvn_4x4_kernelILj128ELj16EiliaaiEEvT3_20rocsparse_direction_NS_24const_host_device_scalarIT1_EES1_PKS1_PKT2_SA_S7_PKT4_PKT5_S5_PT6_21rocsparse_index_base_b.uses_flat_scratch, 0
	.set _ZN9rocsparseL18bsrxmvn_4x4_kernelILj128ELj16EiliaaiEEvT3_20rocsparse_direction_NS_24const_host_device_scalarIT1_EES1_PKS1_PKT2_SA_S7_PKT4_PKT5_S5_PT6_21rocsparse_index_base_b.has_dyn_sized_stack, 0
	.set _ZN9rocsparseL18bsrxmvn_4x4_kernelILj128ELj16EiliaaiEEvT3_20rocsparse_direction_NS_24const_host_device_scalarIT1_EES1_PKS1_PKT2_SA_S7_PKT4_PKT5_S5_PT6_21rocsparse_index_base_b.has_recursion, 0
	.set _ZN9rocsparseL18bsrxmvn_4x4_kernelILj128ELj16EiliaaiEEvT3_20rocsparse_direction_NS_24const_host_device_scalarIT1_EES1_PKS1_PKT2_SA_S7_PKT4_PKT5_S5_PT6_21rocsparse_index_base_b.has_indirect_call, 0
	.section	.AMDGPU.csdata,"",@progbits
; Kernel info:
; codeLenInByte = 3640
; TotalNumSgprs: 46
; NumVgprs: 56
; ScratchSize: 0
; MemoryBound: 0
; FloatMode: 240
; IeeeMode: 1
; LDSByteSize: 0 bytes/workgroup (compile time only)
; SGPRBlocks: 5
; VGPRBlocks: 13
; NumSGPRsForWavesPerEU: 46
; NumVGPRsForWavesPerEU: 56
; Occupancy: 4
; WaveLimiterHint : 1
; COMPUTE_PGM_RSRC2:SCRATCH_EN: 0
; COMPUTE_PGM_RSRC2:USER_SGPR: 6
; COMPUTE_PGM_RSRC2:TRAP_HANDLER: 0
; COMPUTE_PGM_RSRC2:TGID_X_EN: 1
; COMPUTE_PGM_RSRC2:TGID_Y_EN: 0
; COMPUTE_PGM_RSRC2:TGID_Z_EN: 0
; COMPUTE_PGM_RSRC2:TIDIG_COMP_CNT: 0
	.section	.text._ZN9rocsparseL18bsrxmvn_4x4_kernelILj128ELj32EiliaaiEEvT3_20rocsparse_direction_NS_24const_host_device_scalarIT1_EES1_PKS1_PKT2_SA_S7_PKT4_PKT5_S5_PT6_21rocsparse_index_base_b,"axG",@progbits,_ZN9rocsparseL18bsrxmvn_4x4_kernelILj128ELj32EiliaaiEEvT3_20rocsparse_direction_NS_24const_host_device_scalarIT1_EES1_PKS1_PKT2_SA_S7_PKT4_PKT5_S5_PT6_21rocsparse_index_base_b,comdat
	.globl	_ZN9rocsparseL18bsrxmvn_4x4_kernelILj128ELj32EiliaaiEEvT3_20rocsparse_direction_NS_24const_host_device_scalarIT1_EES1_PKS1_PKT2_SA_S7_PKT4_PKT5_S5_PT6_21rocsparse_index_base_b ; -- Begin function _ZN9rocsparseL18bsrxmvn_4x4_kernelILj128ELj32EiliaaiEEvT3_20rocsparse_direction_NS_24const_host_device_scalarIT1_EES1_PKS1_PKT2_SA_S7_PKT4_PKT5_S5_PT6_21rocsparse_index_base_b
	.p2align	8
	.type	_ZN9rocsparseL18bsrxmvn_4x4_kernelILj128ELj32EiliaaiEEvT3_20rocsparse_direction_NS_24const_host_device_scalarIT1_EES1_PKS1_PKT2_SA_S7_PKT4_PKT5_S5_PT6_21rocsparse_index_base_b,@function
_ZN9rocsparseL18bsrxmvn_4x4_kernelILj128ELj32EiliaaiEEvT3_20rocsparse_direction_NS_24const_host_device_scalarIT1_EES1_PKS1_PKT2_SA_S7_PKT4_PKT5_S5_PT6_21rocsparse_index_base_b: ; @_ZN9rocsparseL18bsrxmvn_4x4_kernelILj128ELj32EiliaaiEEvT3_20rocsparse_direction_NS_24const_host_device_scalarIT1_EES1_PKS1_PKT2_SA_S7_PKT4_PKT5_S5_PT6_21rocsparse_index_base_b
; %bb.0:
	s_load_dwordx2 s[16:17], s[4:5], 0x58
	s_load_dwordx2 s[8:9], s[4:5], 0x8
	s_mov_b64 s[10:11], -1
	s_waitcnt lgkmcnt(0)
	s_bitcmp1_b32 s17, 0
	s_cselect_b64 s[0:1], -1, 0
	s_xor_b64 s[2:3], s[0:1], -1
	s_and_b64 vcc, exec, s[2:3]
                                        ; implicit-def: $sgpr17
	s_cbranch_vccnz .LBB68_4
; %bb.1:
	s_load_dwordx2 s[0:1], s[4:5], 0x48
	s_andn2_b64 vcc, exec, s[10:11]
	s_cbranch_vccz .LBB68_5
.LBB68_2:
	s_and_b64 vcc, exec, s[2:3]
	s_cbranch_vccz .LBB68_6
.LBB68_3:
	s_waitcnt lgkmcnt(0)
	s_load_dword s22, s[0:1], 0x0
	s_cbranch_execz .LBB68_7
	s_branch .LBB68_8
.LBB68_4:
	s_load_dword s17, s[8:9], 0x0
	s_load_dwordx2 s[0:1], s[4:5], 0x48
	s_cbranch_execnz .LBB68_2
.LBB68_5:
	s_waitcnt lgkmcnt(0)
	s_mov_b32 s17, s8
	s_and_b64 vcc, exec, s[2:3]
	s_cbranch_vccnz .LBB68_3
.LBB68_6:
                                        ; implicit-def: $sgpr22
.LBB68_7:
	s_waitcnt lgkmcnt(0)
	s_mov_b32 s22, s0
.LBB68_8:
	s_waitcnt lgkmcnt(0)
	s_cmp_lg_u32 s17, 0
	s_cselect_b64 s[0:1], -1, 0
	s_cmp_lg_u32 s22, 1
	s_cselect_b64 s[2:3], -1, 0
	s_or_b64 s[0:1], s[0:1], s[2:3]
	s_andn2_b64 vcc, exec, s[0:1]
	s_cbranch_vccnz .LBB68_14
; %bb.9:
	s_load_dwordx2 s[8:9], s[4:5], 0x18
	s_load_dwordx2 s[0:1], s[4:5], 0x0
	v_lshrrev_b32_e32 v1, 5, v0
	v_lshl_or_b32 v8, s6, 2, v1
	s_mov_b64 s[2:3], 0
	s_waitcnt lgkmcnt(0)
	s_cmp_lg_u64 s[8:9], 0
	s_cbranch_scc0 .LBB68_15
; %bb.10:
	s_load_dword s6, s[4:5], 0x10
                                        ; implicit-def: $vgpr1
	s_waitcnt lgkmcnt(0)
	v_cmp_gt_i32_e32 vcc, s6, v8
	s_and_saveexec_b64 s[6:7], vcc
	s_xor_b64 s[6:7], exec, s[6:7]
	s_cbranch_execz .LBB68_12
; %bb.11:
	v_ashrrev_i32_e32 v9, 31, v8
	v_lshlrev_b64 v[1:2], 2, v[8:9]
	v_mov_b32_e32 v3, s9
	v_add_co_u32_e32 v1, vcc, s8, v1
	v_addc_co_u32_e32 v2, vcc, v3, v2, vcc
	global_load_dword v1, v[1:2], off
	s_mov_b64 s[2:3], exec
	s_waitcnt vmcnt(0)
	v_subrev_u32_e32 v1, s16, v1
.LBB68_12:
	s_or_b64 exec, exec, s[6:7]
	s_branch .LBB68_16
.LBB68_13:
	v_cmp_gt_i32_e32 vcc, s0, v8
	s_andn2_b64 s[2:3], s[2:3], exec
	s_and_b64 s[6:7], vcc, exec
	s_or_b64 s[2:3], s[2:3], s[6:7]
	s_and_saveexec_b64 s[6:7], s[2:3]
	s_cbranch_execnz .LBB68_17
.LBB68_14:
	s_endpgm
.LBB68_15:
                                        ; implicit-def: $vgpr1
	s_cbranch_execnz .LBB68_13
.LBB68_16:
	v_mov_b32_e32 v8, v1
	s_and_saveexec_b64 s[6:7], s[2:3]
	s_cbranch_execz .LBB68_14
.LBB68_17:
	s_load_dwordx8 s[8:15], s[4:5], 0x20
	v_ashrrev_i32_e32 v9, 31, v8
	v_lshlrev_b64 v[1:2], 3, v[8:9]
	v_and_b32_e32 v23, 31, v0
	s_waitcnt lgkmcnt(0)
	v_mov_b32_e32 v4, s9
	v_add_co_u32_e32 v3, vcc, s8, v1
	v_addc_co_u32_e32 v4, vcc, v4, v2, vcc
	global_load_dwordx2 v[13:14], v[3:4], off
	v_add_co_u32_e32 v3, vcc, 8, v3
	v_addc_co_u32_e32 v4, vcc, 0, v4, vcc
	v_mov_b32_e32 v5, s11
	v_add_co_u32_e32 v1, vcc, s10, v1
	s_cmp_eq_u64 s[10:11], 0
	v_addc_co_u32_e32 v2, vcc, v5, v2, vcc
	s_cselect_b64 vcc, -1, 0
	v_cndmask_b32_e32 v2, v2, v4, vcc
	v_cndmask_b32_e32 v1, v1, v3, vcc
	global_load_dwordx2 v[1:2], v[1:2], off
	s_load_dwordx2 s[10:11], s[4:5], 0x40
	v_mov_b32_e32 v3, s15
	s_cmp_eq_u32 s1, 1
	v_mov_b32_e32 v4, 0
	s_waitcnt vmcnt(1)
	v_subrev_co_u32_e32 v0, vcc, s16, v13
	v_subbrev_co_u32_e32 v5, vcc, 0, v14, vcc
	v_add_co_u32_e32 v11, vcc, v0, v23
	v_addc_co_u32_e32 v12, vcc, 0, v5, vcc
	s_waitcnt vmcnt(0)
	v_subrev_co_u32_e32 v15, vcc, s16, v1
	v_lshlrev_b64 v[0:1], 4, v[11:12]
	v_subbrev_co_u32_e32 v16, vcc, 0, v2, vcc
	v_cmp_lt_i64_e64 s[0:1], v[11:12], v[15:16]
	v_add_co_u32_e32 v9, vcc, s14, v0
	v_addc_co_u32_e32 v10, vcc, v3, v1, vcc
	s_cbranch_scc1 .LBB68_29
; %bb.18:
	v_mov_b32_e32 v2, 0
	v_mov_b32_e32 v1, 0
	;; [unrolled: 1-line block ×3, first 2 shown]
	s_and_saveexec_b64 s[14:15], s[0:1]
	s_cbranch_execz .LBB68_28
; %bb.19:
	v_or_b32_e32 v0, 32, v23
	v_subrev_co_u32_e32 v0, vcc, s16, v0
	v_subb_co_u32_e64 v1, s[2:3], 0, 0, vcc
	v_add_co_u32_e32 v0, vcc, v0, v13
	v_addc_co_u32_e32 v1, vcc, v1, v14, vcc
	v_cmp_gt_i64_e32 vcc, v[0:1], v[15:16]
	v_not_b32_e32 v3, v13
	v_cndmask_b32_e32 v1, v16, v1, vcc
	v_cndmask_b32_e32 v0, v15, v0, vcc
	v_sub_co_u32_e32 v4, vcc, s16, v23
	v_not_b32_e32 v2, v14
	v_subb_co_u32_e64 v5, s[2:3], 0, 0, vcc
	v_add_co_u32_e32 v3, vcc, v4, v3
	v_addc_co_u32_e32 v2, vcc, v5, v2, vcc
	v_add_co_u32_e32 v0, vcc, v3, v0
	v_addc_co_u32_e32 v1, vcc, v2, v1, vcc
	v_lshrrev_b64 v[2:3], 5, v[0:1]
	s_mov_b64 s[2:3], 0x5f
	v_add_co_u32_e32 v24, vcc, 1, v2
	v_addc_co_u32_e32 v22, vcc, 0, v3, vcc
	v_mov_b32_e32 v4, 0
	v_cmp_lt_u64_e32 vcc, s[2:3], v[0:1]
	v_mov_b32_e32 v5, v4
	v_mov_b32_e32 v6, v4
	v_mov_b32_e32 v7, v4
	v_mov_b32_e32 v20, v12
	v_mov_b32_e32 v18, v10
	v_mov_b32_e32 v0, v4
	v_mov_b32_e32 v19, v11
	v_mov_b32_e32 v17, v9
	v_mov_b32_e32 v1, v5
	v_mov_b32_e32 v2, v6
	v_mov_b32_e32 v3, v7
	s_and_saveexec_b64 s[18:19], vcc
	s_cbranch_execz .LBB68_23
; %bb.20:
	v_lshlrev_b64 v[0:1], 2, v[11:12]
	v_mov_b32_e32 v2, s13
	v_add_co_u32_e32 v0, vcc, s12, v0
	v_addc_co_u32_e32 v1, vcc, v2, v1, vcc
	v_add_co_u32_e32 v5, vcc, 0x100, v0
	v_mov_b32_e32 v18, v10
	v_mov_b32_e32 v20, v12
	v_and_b32_e32 v21, -4, v24
	v_addc_co_u32_e32 v6, vcc, 0, v1, vcc
	s_mov_b64 s[20:21], 0
	s_movk_i32 s23, 0x800
	s_movk_i32 s24, 0x80
	v_mov_b32_e32 v17, v9
	v_mov_b32_e32 v19, v11
	;; [unrolled: 1-line block ×5, first 2 shown]
.LBB68_21:                              ; =>This Inner Loop Header: Depth=1
	global_load_dword v3, v[5:6], off offset:-256
	global_load_dword v7, v[5:6], off offset:-128
	global_load_dword v41, v[5:6], off
	global_load_dword v42, v[5:6], off offset:128
	s_waitcnt lgkmcnt(0)
	v_mov_b32_e32 v46, s11
	global_load_dwordx4 v[25:28], v[17:18], off
	global_load_dwordx4 v[29:32], v[17:18], off offset:512
	global_load_dwordx4 v[33:36], v[17:18], off offset:1024
	;; [unrolled: 1-line block ×3, first 2 shown]
	s_waitcnt vmcnt(7)
	v_subrev_u32_e32 v3, s16, v3
	s_waitcnt vmcnt(6)
	v_subrev_u32_e32 v7, s16, v7
	;; [unrolled: 2-line block ×4, first 2 shown]
	v_lshlrev_b32_e32 v3, 2, v3
	v_lshlrev_b32_e32 v7, 2, v7
	;; [unrolled: 1-line block ×4, first 2 shown]
	v_ashrrev_i32_e32 v44, 31, v3
	v_add_co_u32_e64 v47, s[8:9], s10, v3
	v_ashrrev_i32_e32 v49, 31, v7
	v_add_co_u32_e32 v41, vcc, s10, v7
	v_ashrrev_i32_e32 v7, 31, v43
	v_add_co_u32_e64 v43, s[2:3], s10, v43
	v_ashrrev_i32_e32 v50, 31, v42
	v_add_co_u32_e64 v45, s[6:7], s10, v42
	v_addc_co_u32_e64 v48, s[8:9], v46, v44, s[8:9]
	v_addc_co_u32_e32 v42, vcc, v46, v49, vcc
	v_addc_co_u32_e64 v44, vcc, v46, v7, s[2:3]
	v_addc_co_u32_e64 v46, vcc, v46, v50, s[6:7]
	global_load_dword v3, v[47:48], off
	global_load_dword v7, v[41:42], off
	;; [unrolled: 1-line block ×4, first 2 shown]
	s_waitcnt vmcnt(7)
	v_lshrrev_b16_e32 v41, 8, v28
	v_ashrrev_i32_e32 v42, 24, v28
	v_bfe_i32 v43, v28, 0, 8
	v_bfe_i32 v28, v28, 16, 8
	s_waitcnt vmcnt(6)
	v_lshrrev_b16_e32 v44, 8, v32
	v_add_co_u32_e32 v17, vcc, s23, v17
	v_add_co_u32_e64 v21, s[2:3], -4, v21
	v_addc_co_u32_e32 v18, vcc, 0, v18, vcc
	s_waitcnt vmcnt(5)
	v_bfe_i32 v45, v36, 8, 8
	v_addc_co_u32_e64 v22, s[2:3], -1, v22, s[2:3]
	v_add_co_u32_e32 v19, vcc, s24, v19
	v_cmp_eq_u64_e64 s[2:3], 0, v[21:22]
	v_addc_co_u32_e32 v20, vcc, 0, v20, vcc
	v_add_co_u32_e32 v5, vcc, 0x200, v5
	v_addc_co_u32_e32 v6, vcc, 0, v6, vcc
	s_or_b64 s[20:21], s[2:3], s[20:21]
	s_waitcnt vmcnt(3)
	v_lshrrev_b16_e32 v46, 8, v3
	v_ashrrev_i32_e32 v47, 24, v3
	v_bfe_i32 v48, v3, 0, 8
	v_bfe_i32 v51, v3, 16, 8
	v_dot4_i32_i8 v0, v3, v25, v0
	v_dot4_i32_i8 v1, v3, v26, v1
	v_dot4_i32_i8 v2, v3, v27, v2
	s_waitcnt vmcnt(2)
	v_lshrrev_b16_e32 v3, 8, v7
	v_mul_i32_i24_sdwa v26, sext(v32), sext(v7) dst_sel:DWORD dst_unused:UNUSED_PAD src0_sel:BYTE_2 src1_sel:BYTE_2
	v_mul_i32_i24_sdwa v27, sext(v32), sext(v7) dst_sel:DWORD dst_unused:UNUSED_PAD src0_sel:BYTE_3 src1_sel:BYTE_3
	v_mul_i32_i24_sdwa v25, sext(v32), sext(v7) dst_sel:DWORD dst_unused:UNUSED_PAD src0_sel:BYTE_0 src1_sel:BYTE_0
	v_mul_i32_i24_sdwa v41, sext(v41), sext(v46) dst_sel:DWORD dst_unused:UNUSED_PAD src0_sel:BYTE_0 src1_sel:BYTE_0
	v_dot4_i32_i8 v0, v7, v29, v0
	v_dot4_i32_i8 v1, v7, v30, v1
	;; [unrolled: 1-line block ×3, first 2 shown]
	v_mul_i32_i24_sdwa v3, sext(v44), sext(v3) dst_sel:DWORD dst_unused:UNUSED_PAD src0_sel:BYTE_0 src1_sel:BYTE_0
	v_mad_i32_i24 v7, v28, v51, v26
	v_mad_i32_i24 v26, v42, v47, v27
	s_waitcnt vmcnt(1)
	v_bfe_i32 v32, v49, 8, 8
	v_mul_i32_i24_sdwa v53, sext(v36), sext(v49) dst_sel:DWORD dst_unused:UNUSED_PAD src0_sel:BYTE_2 src1_sel:BYTE_2
	v_mad_i32_i24 v25, v43, v48, v25
	v_add3_u32 v3, v41, v3, v26
	v_mul_i32_i24_sdwa v52, sext(v49), sext(v36) dst_sel:DWORD dst_unused:UNUSED_PAD src0_sel:BYTE_0 src1_sel:BYTE_0
	v_mad_i32_i24 v27, v32, v45, v53
	v_add3_u32 v3, v25, v7, v3
	v_mul_i32_i24_sdwa v36, sext(v36), sext(v49) dst_sel:DWORD dst_unused:UNUSED_PAD src0_sel:BYTE_3 src1_sel:BYTE_3
	v_add3_u32 v3, v3, v52, v27
	v_dot4_i32_i8 v0, v49, v33, v0
	v_dot4_i32_i8 v1, v34, v49, v1
	;; [unrolled: 1-line block ×3, first 2 shown]
	v_add3_u32 v3, v3, v4, v36
	s_waitcnt vmcnt(0)
	v_dot4_i32_i8 v2, v50, v39, v2
	v_dot4_i32_i8 v1, v50, v38, v1
	;; [unrolled: 1-line block ×4, first 2 shown]
	s_andn2_b64 exec, exec, s[20:21]
	s_cbranch_execnz .LBB68_21
; %bb.22:
	s_or_b64 exec, exec, s[20:21]
	v_mov_b32_e32 v3, v4
.LBB68_23:
	s_or_b64 exec, exec, s[18:19]
	v_and_b32_e32 v5, 3, v24
	v_mov_b32_e32 v6, 0
	v_cmp_ne_u64_e32 vcc, 0, v[5:6]
	s_mov_b64 s[8:9], 0
	s_and_saveexec_b64 s[6:7], vcc
	s_cbranch_execz .LBB68_27
; %bb.24:
	v_lshlrev_b64 v[19:20], 2, v[19:20]
	v_mov_b32_e32 v4, s13
	v_add_co_u32_e32 v19, vcc, s12, v19
	v_addc_co_u32_e32 v20, vcc, v4, v20, vcc
	v_lshlrev_b32_e32 v5, 2, v5
	s_waitcnt lgkmcnt(0)
	v_mov_b32_e32 v4, s11
	s_movk_i32 s18, 0x200
.LBB68_25:                              ; =>This Inner Loop Header: Depth=1
	global_load_dword v7, v[19:20], off
	global_load_dwordx4 v[24:27], v[17:18], off
	v_add_co_u32_e64 v5, s[2:3], -4, v5
	v_addc_co_u32_e64 v6, s[2:3], -1, v6, s[2:3]
	v_cmp_eq_u64_e64 s[2:3], 0, v[5:6]
	s_or_b64 s[8:9], s[2:3], s[8:9]
	s_waitcnt vmcnt(1)
	v_subrev_u32_e32 v7, s16, v7
	v_lshlrev_b32_e32 v7, 2, v7
	v_ashrrev_i32_e32 v22, 31, v7
	v_add_co_u32_e32 v21, vcc, s10, v7
	v_addc_co_u32_e32 v22, vcc, v4, v22, vcc
	global_load_dword v7, v[21:22], off
	v_add_co_u32_e32 v17, vcc, s18, v17
	v_addc_co_u32_e32 v18, vcc, 0, v18, vcc
	v_add_co_u32_e32 v19, vcc, 0x80, v19
	v_addc_co_u32_e32 v20, vcc, 0, v20, vcc
	s_waitcnt vmcnt(0)
	v_dot4_i32_i8 v3, v7, v27, v3
	v_dot4_i32_i8 v2, v7, v26, v2
	;; [unrolled: 1-line block ×4, first 2 shown]
	s_andn2_b64 exec, exec, s[8:9]
	s_cbranch_execnz .LBB68_25
; %bb.26:
	s_or_b64 exec, exec, s[8:9]
	v_mov_b32_e32 v4, v3
.LBB68_27:
	s_or_b64 exec, exec, s[6:7]
.LBB68_28:
	s_or_b64 exec, exec, s[14:15]
	s_cbranch_execz .LBB68_30
	s_branch .LBB68_41
.LBB68_29:
                                        ; implicit-def: $vgpr4
                                        ; implicit-def: $vgpr2
.LBB68_30:
	v_mov_b32_e32 v4, 0
	v_mov_b32_e32 v2, 0
	;; [unrolled: 1-line block ×4, first 2 shown]
	s_and_saveexec_b64 s[8:9], s[0:1]
	s_cbranch_execz .LBB68_40
; %bb.31:
	v_or_b32_e32 v0, 32, v23
	v_subrev_co_u32_e32 v0, vcc, s16, v0
	v_subb_co_u32_e64 v1, s[0:1], 0, 0, vcc
	v_add_co_u32_e32 v0, vcc, v0, v13
	v_addc_co_u32_e32 v1, vcc, v1, v14, vcc
	v_cmp_gt_i64_e32 vcc, v[0:1], v[15:16]
	v_not_b32_e32 v3, v13
	v_cndmask_b32_e32 v1, v16, v1, vcc
	v_cndmask_b32_e32 v0, v15, v0, vcc
	v_sub_co_u32_e32 v4, vcc, s16, v23
	v_not_b32_e32 v2, v14
	v_subb_co_u32_e64 v5, s[0:1], 0, 0, vcc
	v_add_co_u32_e32 v3, vcc, v4, v3
	v_addc_co_u32_e32 v2, vcc, v5, v2, vcc
	v_add_co_u32_e32 v0, vcc, v3, v0
	v_addc_co_u32_e32 v1, vcc, v2, v1, vcc
	v_lshrrev_b64 v[2:3], 5, v[0:1]
	s_mov_b64 s[0:1], 0x5f
	v_add_co_u32_e32 v15, vcc, 1, v2
	v_addc_co_u32_e32 v14, vcc, 0, v3, vcc
	v_mov_b32_e32 v4, 0
	v_cmp_lt_u64_e32 vcc, s[0:1], v[0:1]
	v_mov_b32_e32 v5, v4
	v_mov_b32_e32 v6, v4
	;; [unrolled: 1-line block ×7, first 2 shown]
	s_and_saveexec_b64 s[14:15], vcc
	s_cbranch_execz .LBB68_35
; %bb.32:
	v_lshlrev_b64 v[0:1], 2, v[11:12]
	v_mov_b32_e32 v2, s13
	v_add_co_u32_e32 v0, vcc, s12, v0
	v_addc_co_u32_e32 v1, vcc, v2, v1, vcc
	v_add_co_u32_e32 v5, vcc, 0x100, v0
	v_and_b32_e32 v13, -4, v15
	v_addc_co_u32_e32 v6, vcc, 0, v1, vcc
	s_mov_b64 s[18:19], 0
	s_mov_b32 s20, 0xc04000c
	s_mov_b32 s21, 0xc0c0c00
	;; [unrolled: 1-line block ×19, first 2 shown]
	s_movk_i32 s41, 0x800
	s_movk_i32 s42, 0x80
	v_mov_b32_e32 v2, 0
	v_mov_b32_e32 v1, 0
	;; [unrolled: 1-line block ×3, first 2 shown]
.LBB68_33:                              ; =>This Inner Loop Header: Depth=1
	global_load_dword v3, v[5:6], off offset:-256
	global_load_dword v7, v[5:6], off offset:-128
	global_load_dword v20, v[5:6], off
	global_load_dword v21, v[5:6], off offset:128
	global_load_dwordx4 v[16:19], v[9:10], off
	global_load_dwordx4 v[24:27], v[9:10], off offset:512
	global_load_dwordx4 v[28:31], v[9:10], off offset:1024
	global_load_dwordx4 v[32:35], v[9:10], off offset:1536
	v_add_co_u32_e32 v9, vcc, s41, v9
	s_mov_b64 s[0:1], vcc
	v_add_co_u32_e32 v13, vcc, -4, v13
	v_addc_co_u32_e32 v14, vcc, -1, v14, vcc
	v_add_co_u32_e32 v11, vcc, s42, v11
	s_mov_b64 s[2:3], vcc
	v_addc_co_u32_e64 v10, vcc, 0, v10, s[0:1]
	v_cmp_eq_u64_e64 s[0:1], 0, v[13:14]
	v_add_co_u32_e32 v5, vcc, 0x200, v5
	s_waitcnt lgkmcnt(0)
	v_mov_b32_e32 v22, s11
	v_addc_co_u32_e64 v12, s[2:3], 0, v12, s[2:3]
	v_addc_co_u32_e32 v6, vcc, 0, v6, vcc
	s_or_b64 s[18:19], s[0:1], s[18:19]
	s_waitcnt vmcnt(7)
	v_subrev_u32_e32 v3, s16, v3
	s_waitcnt vmcnt(6)
	v_subrev_u32_e32 v7, s16, v7
	;; [unrolled: 2-line block ×4, first 2 shown]
	v_lshlrev_b32_e32 v3, 2, v3
	v_lshlrev_b32_e32 v7, 2, v7
	;; [unrolled: 1-line block ×4, first 2 shown]
	v_ashrrev_i32_e32 v37, 31, v3
	v_add_co_u32_e64 v40, s[6:7], s10, v3
	v_ashrrev_i32_e32 v39, 31, v7
	v_add_co_u32_e32 v20, vcc, s10, v7
	v_ashrrev_i32_e32 v7, 31, v36
	v_add_co_u32_e64 v36, s[0:1], s10, v36
	v_ashrrev_i32_e32 v44, 31, v21
	v_add_co_u32_e64 v38, s[2:3], s10, v21
	v_addc_co_u32_e64 v41, s[6:7], v22, v37, s[6:7]
	v_addc_co_u32_e32 v21, vcc, v22, v39, vcc
	v_addc_co_u32_e64 v37, vcc, v22, v7, s[0:1]
	v_addc_co_u32_e64 v39, vcc, v22, v44, s[2:3]
	global_load_dword v3, v[40:41], off
	global_load_dword v7, v[20:21], off
	;; [unrolled: 1-line block ×4, first 2 shown]
	s_waitcnt vmcnt(7)
	v_perm_b32 v42, v18, v17, s20
	v_perm_b32 v20, v18, v17, s24
	;; [unrolled: 1-line block ×4, first 2 shown]
	s_waitcnt vmcnt(6)
	v_perm_b32 v18, v24, v19, s30
	v_perm_b32 v38, v24, v19, s34
	;; [unrolled: 1-line block ×8, first 2 shown]
	s_waitcnt vmcnt(5)
	v_perm_b32 v26, v28, v27, s30
	v_perm_b32 v45, v28, v27, s34
	;; [unrolled: 1-line block ×4, first 2 shown]
	v_lshrrev_b32_e32 v28, 16, v31
	s_waitcnt vmcnt(4)
	v_perm_b32 v50, v33, v32, s38
	v_perm_b32 v52, v33, v32, s36
	;; [unrolled: 1-line block ×9, first 2 shown]
	v_or_b32_e32 v32, v33, v32
	v_ashrrev_i16_e32 v33, 8, v28
	v_bfe_i32 v28, v28, 0, 8
	v_perm_b32 v51, v35, v34, s39
	v_perm_b32 v53, v35, v34, s37
	;; [unrolled: 1-line block ×3, first 2 shown]
	v_or_b32_e32 v34, v42, v43
	v_or_b32_e32 v20, v20, v21
	;; [unrolled: 1-line block ×4, first 2 shown]
	v_perm_b32 v28, v33, v28, s40
	v_perm_b32 v47, v30, v29, s31
	;; [unrolled: 1-line block ×5, first 2 shown]
	v_ashrrev_i16_e32 v30, 8, v31
	v_bfe_i32 v31, v31, 0, 8
	v_or_b32_e32 v17, v24, v18
	v_or_b32_e32 v18, v40, v38
	;; [unrolled: 1-line block ×8, first 2 shown]
	v_perm_b32 v29, v30, v31, s40
	v_or_b32_e32 v30, v51, v50
	v_or_b32_e32 v31, v53, v52
	;; [unrolled: 1-line block ×3, first 2 shown]
	s_waitcnt vmcnt(3)
	v_perm_b32 v33, v3, v3, s23
	s_waitcnt vmcnt(2)
	v_perm_b32 v3, v7, v3, s33
	;; [unrolled: 2-line block ×3, first 2 shown]
	v_lshrrev_b32_e32 v22, 24, v22
	v_dot4_i32_i8 v0, v33, v34, v0
	v_dot4_i32_i8 v1, v20, v33, v1
	;; [unrolled: 1-line block ×4, first 2 shown]
	v_bfe_i32 v16, v22, 0, 8
	v_dot4_i32_i8 v0, v3, v17, v0
	v_dot4_i32_i8 v1, v18, v3, v1
	;; [unrolled: 1-line block ×4, first 2 shown]
	v_pk_mul_lo_u16 v4, v16, v28 op_sel_hi:[0,1]
	v_pk_mul_lo_u16 v16, v16, v29 op_sel_hi:[0,1]
	v_dot4_i32_i8 v0, v7, v25, v0
	v_dot4_i32_i8 v1, v26, v7, v1
	;; [unrolled: 1-line block ×4, first 2 shown]
	v_add_u32_sdwa v0, v0, sext(v16) dst_sel:DWORD dst_unused:UNUSED_PAD src0_sel:DWORD src1_sel:WORD_0
	v_add_u32_sdwa v1, v1, sext(v16) dst_sel:DWORD dst_unused:UNUSED_PAD src0_sel:DWORD src1_sel:WORD_1
	v_add_u32_sdwa v2, v2, sext(v4) dst_sel:DWORD dst_unused:UNUSED_PAD src0_sel:DWORD src1_sel:WORD_0
	v_add_u32_sdwa v3, v3, sext(v4) dst_sel:DWORD dst_unused:UNUSED_PAD src0_sel:DWORD src1_sel:WORD_1
	s_waitcnt vmcnt(0)
	v_dot4_i32_i8 v2, v44, v31, v2
	v_dot4_i32_i8 v1, v44, v36, v1
	v_dot4_i32_i8 v4, v44, v30, v3
	v_dot4_i32_i8 v0, v44, v32, v0
	s_andn2_b64 exec, exec, s[18:19]
	s_cbranch_execnz .LBB68_33
; %bb.34:
	s_or_b64 exec, exec, s[18:19]
	v_mov_b32_e32 v3, v4
.LBB68_35:
	s_or_b64 exec, exec, s[14:15]
	v_and_b32_e32 v5, 3, v15
	v_mov_b32_e32 v6, 0
	v_cmp_ne_u64_e32 vcc, 0, v[5:6]
	s_mov_b64 s[6:7], 0
	s_and_saveexec_b64 s[2:3], vcc
	s_cbranch_execz .LBB68_39
; %bb.36:
	v_lshlrev_b64 v[11:12], 2, v[11:12]
	v_mov_b32_e32 v4, s13
	v_add_co_u32_e32 v11, vcc, s12, v11
	v_addc_co_u32_e32 v12, vcc, v4, v12, vcc
	v_lshlrev_b32_e32 v5, 2, v5
	s_waitcnt lgkmcnt(0)
	v_mov_b32_e32 v4, s11
	s_mov_b32 s11, 0xc0c0703
	s_mov_b32 s12, 0x7030c0c
	;; [unrolled: 1-line block ×8, first 2 shown]
	s_movk_i32 s21, 0x200
.LBB68_37:                              ; =>This Inner Loop Header: Depth=1
	global_load_dword v7, v[11:12], off
	global_load_dwordx4 v[13:16], v[9:10], off
	v_add_co_u32_e64 v5, s[0:1], -4, v5
	v_addc_co_u32_e64 v6, s[0:1], -1, v6, s[0:1]
	v_cmp_eq_u64_e64 s[0:1], 0, v[5:6]
	s_or_b64 s[6:7], s[0:1], s[6:7]
	s_waitcnt vmcnt(1)
	v_subrev_u32_e32 v7, s16, v7
	v_lshlrev_b32_e32 v7, 2, v7
	v_ashrrev_i32_e32 v18, 31, v7
	v_add_co_u32_e32 v17, vcc, s10, v7
	v_addc_co_u32_e32 v18, vcc, v4, v18, vcc
	global_load_dword v7, v[17:18], off
	v_add_co_u32_e32 v9, vcc, s21, v9
	v_addc_co_u32_e32 v10, vcc, 0, v10, vcc
	s_waitcnt vmcnt(1)
	v_perm_b32 v17, v14, v13, s11
	v_perm_b32 v18, v16, v15, s12
	;; [unrolled: 1-line block ×8, first 2 shown]
	v_add_co_u32_e32 v11, vcc, 0x80, v11
	v_or_b32_e32 v15, v18, v17
	v_or_b32_e32 v16, v20, v19
	;; [unrolled: 1-line block ×4, first 2 shown]
	v_addc_co_u32_e32 v12, vcc, 0, v12, vcc
	s_waitcnt vmcnt(0)
	v_dot4_i32_i8 v3, v7, v15, v3
	v_dot4_i32_i8 v2, v7, v16, v2
	;; [unrolled: 1-line block ×4, first 2 shown]
	s_andn2_b64 exec, exec, s[6:7]
	s_cbranch_execnz .LBB68_37
; %bb.38:
	s_or_b64 exec, exec, s[6:7]
	v_mov_b32_e32 v4, v3
.LBB68_39:
	s_or_b64 exec, exec, s[2:3]
.LBB68_40:
	s_or_b64 exec, exec, s[8:9]
.LBB68_41:
	v_mov_b32_dpp v3, v0 row_shr:1 row_mask:0xf bank_mask:0xf
	v_mov_b32_dpp v5, v1 row_shr:1 row_mask:0xf bank_mask:0xf
	v_mov_b32_dpp v6, v2 row_shr:1 row_mask:0xf bank_mask:0xf
	v_mov_b32_dpp v7, v4 row_shr:1 row_mask:0xf bank_mask:0xf
	v_add_u32_e32 v0, v3, v0
	v_add_u32_e32 v1, v5, v1
	v_add_u32_e32 v2, v6, v2
	v_add_u32_e32 v4, v7, v4
	v_mov_b32_dpp v3, v0 row_shr:2 row_mask:0xf bank_mask:0xf
	v_mov_b32_dpp v5, v1 row_shr:2 row_mask:0xf bank_mask:0xf
	v_mov_b32_dpp v6, v2 row_shr:2 row_mask:0xf bank_mask:0xf
	v_mov_b32_dpp v7, v4 row_shr:2 row_mask:0xf bank_mask:0xf
	v_add_u32_e32 v0, v0, v3
	v_add_u32_e32 v1, v1, v5
	v_add_u32_e32 v2, v2, v6
	v_add_u32_e32 v4, v4, v7
	;; [unrolled: 8-line block ×4, first 2 shown]
	v_mov_b32_dpp v3, v0 row_bcast:15 row_mask:0xa bank_mask:0xf
	v_mov_b32_dpp v5, v1 row_bcast:15 row_mask:0xa bank_mask:0xf
	;; [unrolled: 1-line block ×4, first 2 shown]
	v_cmp_eq_u32_e32 vcc, 31, v23
	s_and_b64 exec, exec, vcc
	s_cbranch_execz .LBB68_14
; %bb.42:
	s_load_dwordx2 s[0:1], s[4:5], 0x50
	v_add_u32_e32 v0, v0, v3
	v_add_u32_e32 v1, v1, v5
	;; [unrolled: 1-line block ×4, first 2 shown]
	v_mul_lo_u32 v0, v0, s17
	v_mul_lo_u32 v1, v1, s17
	;; [unrolled: 1-line block ×4, first 2 shown]
	s_cmp_eq_u32 s22, 0
	v_lshlrev_b32_e32 v4, 2, v8
	s_cbranch_scc1 .LBB68_44
; %bb.43:
	v_ashrrev_i32_e32 v5, 31, v4
	v_lshlrev_b64 v[5:6], 2, v[4:5]
	s_waitcnt lgkmcnt(0)
	v_mov_b32_e32 v7, s1
	v_add_co_u32_e32 v13, vcc, s0, v5
	v_addc_co_u32_e32 v14, vcc, v7, v6, vcc
	global_load_dwordx4 v[5:8], v[13:14], off
	s_waitcnt vmcnt(0)
	v_mad_u64_u32 v[9:10], s[2:3], v5, s22, v[0:1]
	v_mad_u64_u32 v[15:16], s[2:3], v8, s22, v[3:4]
	;; [unrolled: 1-line block ×4, first 2 shown]
	v_mov_b32_e32 v12, v15
	global_store_dwordx4 v[13:14], v[9:12], off
	s_cbranch_execnz .LBB68_14
	s_branch .LBB68_45
.LBB68_44:
.LBB68_45:
	v_ashrrev_i32_e32 v5, 31, v4
	v_lshlrev_b64 v[4:5], 2, v[4:5]
	s_waitcnt lgkmcnt(0)
	v_mov_b32_e32 v6, s1
	v_add_co_u32_e32 v4, vcc, s0, v4
	v_addc_co_u32_e32 v5, vcc, v6, v5, vcc
	global_store_dwordx4 v[4:5], v[0:3], off
	s_endpgm
	.section	.rodata,"a",@progbits
	.p2align	6, 0x0
	.amdhsa_kernel _ZN9rocsparseL18bsrxmvn_4x4_kernelILj128ELj32EiliaaiEEvT3_20rocsparse_direction_NS_24const_host_device_scalarIT1_EES1_PKS1_PKT2_SA_S7_PKT4_PKT5_S5_PT6_21rocsparse_index_base_b
		.amdhsa_group_segment_fixed_size 0
		.amdhsa_private_segment_fixed_size 0
		.amdhsa_kernarg_size 96
		.amdhsa_user_sgpr_count 6
		.amdhsa_user_sgpr_private_segment_buffer 1
		.amdhsa_user_sgpr_dispatch_ptr 0
		.amdhsa_user_sgpr_queue_ptr 0
		.amdhsa_user_sgpr_kernarg_segment_ptr 1
		.amdhsa_user_sgpr_dispatch_id 0
		.amdhsa_user_sgpr_flat_scratch_init 0
		.amdhsa_user_sgpr_private_segment_size 0
		.amdhsa_uses_dynamic_stack 0
		.amdhsa_system_sgpr_private_segment_wavefront_offset 0
		.amdhsa_system_sgpr_workgroup_id_x 1
		.amdhsa_system_sgpr_workgroup_id_y 0
		.amdhsa_system_sgpr_workgroup_id_z 0
		.amdhsa_system_sgpr_workgroup_info 0
		.amdhsa_system_vgpr_workitem_id 0
		.amdhsa_next_free_vgpr 56
		.amdhsa_next_free_sgpr 43
		.amdhsa_reserve_vcc 1
		.amdhsa_reserve_flat_scratch 0
		.amdhsa_float_round_mode_32 0
		.amdhsa_float_round_mode_16_64 0
		.amdhsa_float_denorm_mode_32 3
		.amdhsa_float_denorm_mode_16_64 3
		.amdhsa_dx10_clamp 1
		.amdhsa_ieee_mode 1
		.amdhsa_fp16_overflow 0
		.amdhsa_exception_fp_ieee_invalid_op 0
		.amdhsa_exception_fp_denorm_src 0
		.amdhsa_exception_fp_ieee_div_zero 0
		.amdhsa_exception_fp_ieee_overflow 0
		.amdhsa_exception_fp_ieee_underflow 0
		.amdhsa_exception_fp_ieee_inexact 0
		.amdhsa_exception_int_div_zero 0
	.end_amdhsa_kernel
	.section	.text._ZN9rocsparseL18bsrxmvn_4x4_kernelILj128ELj32EiliaaiEEvT3_20rocsparse_direction_NS_24const_host_device_scalarIT1_EES1_PKS1_PKT2_SA_S7_PKT4_PKT5_S5_PT6_21rocsparse_index_base_b,"axG",@progbits,_ZN9rocsparseL18bsrxmvn_4x4_kernelILj128ELj32EiliaaiEEvT3_20rocsparse_direction_NS_24const_host_device_scalarIT1_EES1_PKS1_PKT2_SA_S7_PKT4_PKT5_S5_PT6_21rocsparse_index_base_b,comdat
.Lfunc_end68:
	.size	_ZN9rocsparseL18bsrxmvn_4x4_kernelILj128ELj32EiliaaiEEvT3_20rocsparse_direction_NS_24const_host_device_scalarIT1_EES1_PKS1_PKT2_SA_S7_PKT4_PKT5_S5_PT6_21rocsparse_index_base_b, .Lfunc_end68-_ZN9rocsparseL18bsrxmvn_4x4_kernelILj128ELj32EiliaaiEEvT3_20rocsparse_direction_NS_24const_host_device_scalarIT1_EES1_PKS1_PKT2_SA_S7_PKT4_PKT5_S5_PT6_21rocsparse_index_base_b
                                        ; -- End function
	.set _ZN9rocsparseL18bsrxmvn_4x4_kernelILj128ELj32EiliaaiEEvT3_20rocsparse_direction_NS_24const_host_device_scalarIT1_EES1_PKS1_PKT2_SA_S7_PKT4_PKT5_S5_PT6_21rocsparse_index_base_b.num_vgpr, 56
	.set _ZN9rocsparseL18bsrxmvn_4x4_kernelILj128ELj32EiliaaiEEvT3_20rocsparse_direction_NS_24const_host_device_scalarIT1_EES1_PKS1_PKT2_SA_S7_PKT4_PKT5_S5_PT6_21rocsparse_index_base_b.num_agpr, 0
	.set _ZN9rocsparseL18bsrxmvn_4x4_kernelILj128ELj32EiliaaiEEvT3_20rocsparse_direction_NS_24const_host_device_scalarIT1_EES1_PKS1_PKT2_SA_S7_PKT4_PKT5_S5_PT6_21rocsparse_index_base_b.numbered_sgpr, 43
	.set _ZN9rocsparseL18bsrxmvn_4x4_kernelILj128ELj32EiliaaiEEvT3_20rocsparse_direction_NS_24const_host_device_scalarIT1_EES1_PKS1_PKT2_SA_S7_PKT4_PKT5_S5_PT6_21rocsparse_index_base_b.num_named_barrier, 0
	.set _ZN9rocsparseL18bsrxmvn_4x4_kernelILj128ELj32EiliaaiEEvT3_20rocsparse_direction_NS_24const_host_device_scalarIT1_EES1_PKS1_PKT2_SA_S7_PKT4_PKT5_S5_PT6_21rocsparse_index_base_b.private_seg_size, 0
	.set _ZN9rocsparseL18bsrxmvn_4x4_kernelILj128ELj32EiliaaiEEvT3_20rocsparse_direction_NS_24const_host_device_scalarIT1_EES1_PKS1_PKT2_SA_S7_PKT4_PKT5_S5_PT6_21rocsparse_index_base_b.uses_vcc, 1
	.set _ZN9rocsparseL18bsrxmvn_4x4_kernelILj128ELj32EiliaaiEEvT3_20rocsparse_direction_NS_24const_host_device_scalarIT1_EES1_PKS1_PKT2_SA_S7_PKT4_PKT5_S5_PT6_21rocsparse_index_base_b.uses_flat_scratch, 0
	.set _ZN9rocsparseL18bsrxmvn_4x4_kernelILj128ELj32EiliaaiEEvT3_20rocsparse_direction_NS_24const_host_device_scalarIT1_EES1_PKS1_PKT2_SA_S7_PKT4_PKT5_S5_PT6_21rocsparse_index_base_b.has_dyn_sized_stack, 0
	.set _ZN9rocsparseL18bsrxmvn_4x4_kernelILj128ELj32EiliaaiEEvT3_20rocsparse_direction_NS_24const_host_device_scalarIT1_EES1_PKS1_PKT2_SA_S7_PKT4_PKT5_S5_PT6_21rocsparse_index_base_b.has_recursion, 0
	.set _ZN9rocsparseL18bsrxmvn_4x4_kernelILj128ELj32EiliaaiEEvT3_20rocsparse_direction_NS_24const_host_device_scalarIT1_EES1_PKS1_PKT2_SA_S7_PKT4_PKT5_S5_PT6_21rocsparse_index_base_b.has_indirect_call, 0
	.section	.AMDGPU.csdata,"",@progbits
; Kernel info:
; codeLenInByte = 3704
; TotalNumSgprs: 47
; NumVgprs: 56
; ScratchSize: 0
; MemoryBound: 0
; FloatMode: 240
; IeeeMode: 1
; LDSByteSize: 0 bytes/workgroup (compile time only)
; SGPRBlocks: 5
; VGPRBlocks: 13
; NumSGPRsForWavesPerEU: 47
; NumVGPRsForWavesPerEU: 56
; Occupancy: 4
; WaveLimiterHint : 1
; COMPUTE_PGM_RSRC2:SCRATCH_EN: 0
; COMPUTE_PGM_RSRC2:USER_SGPR: 6
; COMPUTE_PGM_RSRC2:TRAP_HANDLER: 0
; COMPUTE_PGM_RSRC2:TGID_X_EN: 1
; COMPUTE_PGM_RSRC2:TGID_Y_EN: 0
; COMPUTE_PGM_RSRC2:TGID_Z_EN: 0
; COMPUTE_PGM_RSRC2:TIDIG_COMP_CNT: 0
	.section	.text._ZN9rocsparseL18bsrxmvn_4x4_kernelILj128ELj64EiliaaiEEvT3_20rocsparse_direction_NS_24const_host_device_scalarIT1_EES1_PKS1_PKT2_SA_S7_PKT4_PKT5_S5_PT6_21rocsparse_index_base_b,"axG",@progbits,_ZN9rocsparseL18bsrxmvn_4x4_kernelILj128ELj64EiliaaiEEvT3_20rocsparse_direction_NS_24const_host_device_scalarIT1_EES1_PKS1_PKT2_SA_S7_PKT4_PKT5_S5_PT6_21rocsparse_index_base_b,comdat
	.globl	_ZN9rocsparseL18bsrxmvn_4x4_kernelILj128ELj64EiliaaiEEvT3_20rocsparse_direction_NS_24const_host_device_scalarIT1_EES1_PKS1_PKT2_SA_S7_PKT4_PKT5_S5_PT6_21rocsparse_index_base_b ; -- Begin function _ZN9rocsparseL18bsrxmvn_4x4_kernelILj128ELj64EiliaaiEEvT3_20rocsparse_direction_NS_24const_host_device_scalarIT1_EES1_PKS1_PKT2_SA_S7_PKT4_PKT5_S5_PT6_21rocsparse_index_base_b
	.p2align	8
	.type	_ZN9rocsparseL18bsrxmvn_4x4_kernelILj128ELj64EiliaaiEEvT3_20rocsparse_direction_NS_24const_host_device_scalarIT1_EES1_PKS1_PKT2_SA_S7_PKT4_PKT5_S5_PT6_21rocsparse_index_base_b,@function
_ZN9rocsparseL18bsrxmvn_4x4_kernelILj128ELj64EiliaaiEEvT3_20rocsparse_direction_NS_24const_host_device_scalarIT1_EES1_PKS1_PKT2_SA_S7_PKT4_PKT5_S5_PT6_21rocsparse_index_base_b: ; @_ZN9rocsparseL18bsrxmvn_4x4_kernelILj128ELj64EiliaaiEEvT3_20rocsparse_direction_NS_24const_host_device_scalarIT1_EES1_PKS1_PKT2_SA_S7_PKT4_PKT5_S5_PT6_21rocsparse_index_base_b
; %bb.0:
	s_load_dwordx2 s[16:17], s[4:5], 0x58
	s_load_dwordx2 s[8:9], s[4:5], 0x8
	s_mov_b64 s[10:11], -1
	s_waitcnt lgkmcnt(0)
	s_bitcmp1_b32 s17, 0
	s_cselect_b64 s[0:1], -1, 0
	s_xor_b64 s[2:3], s[0:1], -1
	s_and_b64 vcc, exec, s[2:3]
                                        ; implicit-def: $sgpr17
	s_cbranch_vccnz .LBB69_4
; %bb.1:
	s_load_dwordx2 s[0:1], s[4:5], 0x48
	s_andn2_b64 vcc, exec, s[10:11]
	s_cbranch_vccz .LBB69_5
.LBB69_2:
	s_and_b64 vcc, exec, s[2:3]
	s_cbranch_vccz .LBB69_6
.LBB69_3:
	s_waitcnt lgkmcnt(0)
	s_load_dword s22, s[0:1], 0x0
	s_cbranch_execz .LBB69_7
	s_branch .LBB69_8
.LBB69_4:
	s_load_dword s17, s[8:9], 0x0
	s_load_dwordx2 s[0:1], s[4:5], 0x48
	s_cbranch_execnz .LBB69_2
.LBB69_5:
	s_waitcnt lgkmcnt(0)
	s_mov_b32 s17, s8
	s_and_b64 vcc, exec, s[2:3]
	s_cbranch_vccnz .LBB69_3
.LBB69_6:
                                        ; implicit-def: $sgpr22
.LBB69_7:
	s_waitcnt lgkmcnt(0)
	s_mov_b32 s22, s0
.LBB69_8:
	s_waitcnt lgkmcnt(0)
	s_cmp_lg_u32 s17, 0
	s_cselect_b64 s[0:1], -1, 0
	s_cmp_lg_u32 s22, 1
	s_cselect_b64 s[2:3], -1, 0
	s_or_b64 s[0:1], s[0:1], s[2:3]
	s_andn2_b64 vcc, exec, s[0:1]
	s_cbranch_vccnz .LBB69_14
; %bb.9:
	s_load_dwordx2 s[8:9], s[4:5], 0x18
	s_load_dwordx2 s[0:1], s[4:5], 0x0
	v_lshrrev_b32_e32 v1, 6, v0
	v_lshl_or_b32 v8, s6, 1, v1
	s_mov_b64 s[2:3], 0
	s_waitcnt lgkmcnt(0)
	s_cmp_lg_u64 s[8:9], 0
	s_cbranch_scc0 .LBB69_15
; %bb.10:
	s_load_dword s6, s[4:5], 0x10
                                        ; implicit-def: $vgpr1
	s_waitcnt lgkmcnt(0)
	v_cmp_gt_i32_e32 vcc, s6, v8
	s_and_saveexec_b64 s[6:7], vcc
	s_xor_b64 s[6:7], exec, s[6:7]
	s_cbranch_execz .LBB69_12
; %bb.11:
	v_ashrrev_i32_e32 v9, 31, v8
	v_lshlrev_b64 v[1:2], 2, v[8:9]
	v_mov_b32_e32 v3, s9
	v_add_co_u32_e32 v1, vcc, s8, v1
	v_addc_co_u32_e32 v2, vcc, v3, v2, vcc
	global_load_dword v1, v[1:2], off
	s_mov_b64 s[2:3], exec
	s_waitcnt vmcnt(0)
	v_subrev_u32_e32 v1, s16, v1
.LBB69_12:
	s_or_b64 exec, exec, s[6:7]
	s_branch .LBB69_16
.LBB69_13:
	v_cmp_gt_i32_e32 vcc, s0, v8
	s_andn2_b64 s[2:3], s[2:3], exec
	s_and_b64 s[6:7], vcc, exec
	s_or_b64 s[2:3], s[2:3], s[6:7]
	s_and_saveexec_b64 s[6:7], s[2:3]
	s_cbranch_execnz .LBB69_17
.LBB69_14:
	s_endpgm
.LBB69_15:
                                        ; implicit-def: $vgpr1
	s_cbranch_execnz .LBB69_13
.LBB69_16:
	v_mov_b32_e32 v8, v1
	s_and_saveexec_b64 s[6:7], s[2:3]
	s_cbranch_execz .LBB69_14
.LBB69_17:
	s_load_dwordx8 s[8:15], s[4:5], 0x20
	v_ashrrev_i32_e32 v9, 31, v8
	v_lshlrev_b64 v[1:2], 3, v[8:9]
	v_and_b32_e32 v23, 63, v0
	s_waitcnt lgkmcnt(0)
	v_mov_b32_e32 v4, s9
	v_add_co_u32_e32 v3, vcc, s8, v1
	v_addc_co_u32_e32 v4, vcc, v4, v2, vcc
	global_load_dwordx2 v[13:14], v[3:4], off
	v_add_co_u32_e32 v3, vcc, 8, v3
	v_addc_co_u32_e32 v4, vcc, 0, v4, vcc
	v_mov_b32_e32 v5, s11
	v_add_co_u32_e32 v1, vcc, s10, v1
	s_cmp_eq_u64 s[10:11], 0
	v_addc_co_u32_e32 v2, vcc, v5, v2, vcc
	s_cselect_b64 vcc, -1, 0
	v_cndmask_b32_e32 v2, v2, v4, vcc
	v_cndmask_b32_e32 v1, v1, v3, vcc
	global_load_dwordx2 v[1:2], v[1:2], off
	s_load_dwordx2 s[10:11], s[4:5], 0x40
	v_mov_b32_e32 v3, s15
	s_cmp_eq_u32 s1, 1
	v_mov_b32_e32 v4, 0
	s_waitcnt vmcnt(1)
	v_subrev_co_u32_e32 v0, vcc, s16, v13
	v_subbrev_co_u32_e32 v5, vcc, 0, v14, vcc
	v_add_co_u32_e32 v11, vcc, v0, v23
	v_addc_co_u32_e32 v12, vcc, 0, v5, vcc
	s_waitcnt vmcnt(0)
	v_subrev_co_u32_e32 v15, vcc, s16, v1
	v_lshlrev_b64 v[0:1], 4, v[11:12]
	v_subbrev_co_u32_e32 v16, vcc, 0, v2, vcc
	v_cmp_lt_i64_e64 s[0:1], v[11:12], v[15:16]
	v_add_co_u32_e32 v9, vcc, s14, v0
	v_addc_co_u32_e32 v10, vcc, v3, v1, vcc
	s_cbranch_scc1 .LBB69_29
; %bb.18:
	v_mov_b32_e32 v2, 0
	v_mov_b32_e32 v1, 0
	;; [unrolled: 1-line block ×3, first 2 shown]
	s_and_saveexec_b64 s[14:15], s[0:1]
	s_cbranch_execz .LBB69_28
; %bb.19:
	v_or_b32_e32 v0, 64, v23
	v_subrev_co_u32_e32 v0, vcc, s16, v0
	v_subb_co_u32_e64 v1, s[2:3], 0, 0, vcc
	v_add_co_u32_e32 v0, vcc, v0, v13
	v_addc_co_u32_e32 v1, vcc, v1, v14, vcc
	v_cmp_gt_i64_e32 vcc, v[0:1], v[15:16]
	v_not_b32_e32 v3, v13
	v_cndmask_b32_e32 v1, v16, v1, vcc
	v_cndmask_b32_e32 v0, v15, v0, vcc
	v_sub_co_u32_e32 v4, vcc, s16, v23
	v_not_b32_e32 v2, v14
	v_subb_co_u32_e64 v5, s[2:3], 0, 0, vcc
	v_add_co_u32_e32 v3, vcc, v4, v3
	v_addc_co_u32_e32 v2, vcc, v5, v2, vcc
	v_add_co_u32_e32 v0, vcc, v3, v0
	v_addc_co_u32_e32 v1, vcc, v2, v1, vcc
	v_lshrrev_b64 v[2:3], 6, v[0:1]
	s_mov_b64 s[2:3], 0xbf
	v_add_co_u32_e32 v24, vcc, 1, v2
	v_addc_co_u32_e32 v22, vcc, 0, v3, vcc
	v_mov_b32_e32 v4, 0
	v_cmp_lt_u64_e32 vcc, s[2:3], v[0:1]
	v_mov_b32_e32 v5, v4
	v_mov_b32_e32 v6, v4
	;; [unrolled: 1-line block ×11, first 2 shown]
	s_and_saveexec_b64 s[18:19], vcc
	s_cbranch_execz .LBB69_23
; %bb.20:
	v_lshlrev_b64 v[0:1], 2, v[11:12]
	v_mov_b32_e32 v2, s13
	v_add_co_u32_e32 v0, vcc, s12, v0
	v_addc_co_u32_e32 v1, vcc, v2, v1, vcc
	v_add_co_u32_e32 v5, vcc, 0x200, v0
	v_mov_b32_e32 v18, v10
	v_mov_b32_e32 v20, v12
	v_and_b32_e32 v21, -4, v24
	v_addc_co_u32_e32 v6, vcc, 0, v1, vcc
	s_mov_b64 s[20:21], 0
	s_movk_i32 s23, 0x1000
	s_movk_i32 s24, 0x100
	v_mov_b32_e32 v17, v9
	v_mov_b32_e32 v19, v11
	;; [unrolled: 1-line block ×5, first 2 shown]
.LBB69_21:                              ; =>This Inner Loop Header: Depth=1
	global_load_dword v3, v[5:6], off offset:-512
	global_load_dword v7, v[5:6], off offset:-256
	global_load_dword v41, v[5:6], off
	global_load_dword v42, v[5:6], off offset:256
	s_waitcnt lgkmcnt(0)
	v_mov_b32_e32 v46, s11
	global_load_dwordx4 v[25:28], v[17:18], off
	global_load_dwordx4 v[29:32], v[17:18], off offset:1024
	global_load_dwordx4 v[33:36], v[17:18], off offset:2048
	;; [unrolled: 1-line block ×3, first 2 shown]
	s_waitcnt vmcnt(7)
	v_subrev_u32_e32 v3, s16, v3
	s_waitcnt vmcnt(6)
	v_subrev_u32_e32 v7, s16, v7
	;; [unrolled: 2-line block ×4, first 2 shown]
	v_lshlrev_b32_e32 v3, 2, v3
	v_lshlrev_b32_e32 v7, 2, v7
	;; [unrolled: 1-line block ×4, first 2 shown]
	v_ashrrev_i32_e32 v44, 31, v3
	v_add_co_u32_e64 v47, s[8:9], s10, v3
	v_ashrrev_i32_e32 v49, 31, v7
	v_add_co_u32_e32 v41, vcc, s10, v7
	v_ashrrev_i32_e32 v7, 31, v43
	v_add_co_u32_e64 v43, s[2:3], s10, v43
	v_ashrrev_i32_e32 v50, 31, v42
	v_add_co_u32_e64 v45, s[6:7], s10, v42
	v_addc_co_u32_e64 v48, s[8:9], v46, v44, s[8:9]
	v_addc_co_u32_e32 v42, vcc, v46, v49, vcc
	v_addc_co_u32_e64 v44, vcc, v46, v7, s[2:3]
	v_addc_co_u32_e64 v46, vcc, v46, v50, s[6:7]
	global_load_dword v3, v[47:48], off
	global_load_dword v7, v[41:42], off
	;; [unrolled: 1-line block ×4, first 2 shown]
	s_waitcnt vmcnt(7)
	v_lshrrev_b16_e32 v41, 8, v28
	v_ashrrev_i32_e32 v42, 24, v28
	v_bfe_i32 v43, v28, 0, 8
	v_bfe_i32 v28, v28, 16, 8
	s_waitcnt vmcnt(6)
	v_lshrrev_b16_e32 v44, 8, v32
	v_add_co_u32_e32 v17, vcc, s23, v17
	v_add_co_u32_e64 v21, s[2:3], -4, v21
	v_addc_co_u32_e32 v18, vcc, 0, v18, vcc
	s_waitcnt vmcnt(5)
	v_bfe_i32 v45, v36, 8, 8
	v_addc_co_u32_e64 v22, s[2:3], -1, v22, s[2:3]
	v_add_co_u32_e32 v19, vcc, s24, v19
	v_cmp_eq_u64_e64 s[2:3], 0, v[21:22]
	v_addc_co_u32_e32 v20, vcc, 0, v20, vcc
	v_add_co_u32_e32 v5, vcc, 0x400, v5
	v_addc_co_u32_e32 v6, vcc, 0, v6, vcc
	s_or_b64 s[20:21], s[2:3], s[20:21]
	s_waitcnt vmcnt(3)
	v_lshrrev_b16_e32 v46, 8, v3
	v_ashrrev_i32_e32 v47, 24, v3
	v_bfe_i32 v48, v3, 0, 8
	v_bfe_i32 v51, v3, 16, 8
	v_dot4_i32_i8 v0, v3, v25, v0
	v_dot4_i32_i8 v1, v3, v26, v1
	;; [unrolled: 1-line block ×3, first 2 shown]
	s_waitcnt vmcnt(2)
	v_lshrrev_b16_e32 v3, 8, v7
	v_mul_i32_i24_sdwa v26, sext(v32), sext(v7) dst_sel:DWORD dst_unused:UNUSED_PAD src0_sel:BYTE_2 src1_sel:BYTE_2
	v_mul_i32_i24_sdwa v27, sext(v32), sext(v7) dst_sel:DWORD dst_unused:UNUSED_PAD src0_sel:BYTE_3 src1_sel:BYTE_3
	v_mul_i32_i24_sdwa v25, sext(v32), sext(v7) dst_sel:DWORD dst_unused:UNUSED_PAD src0_sel:BYTE_0 src1_sel:BYTE_0
	v_mul_i32_i24_sdwa v41, sext(v41), sext(v46) dst_sel:DWORD dst_unused:UNUSED_PAD src0_sel:BYTE_0 src1_sel:BYTE_0
	v_dot4_i32_i8 v0, v7, v29, v0
	v_dot4_i32_i8 v1, v7, v30, v1
	;; [unrolled: 1-line block ×3, first 2 shown]
	v_mul_i32_i24_sdwa v3, sext(v44), sext(v3) dst_sel:DWORD dst_unused:UNUSED_PAD src0_sel:BYTE_0 src1_sel:BYTE_0
	v_mad_i32_i24 v7, v28, v51, v26
	v_mad_i32_i24 v26, v42, v47, v27
	s_waitcnt vmcnt(1)
	v_bfe_i32 v32, v49, 8, 8
	v_mul_i32_i24_sdwa v53, sext(v36), sext(v49) dst_sel:DWORD dst_unused:UNUSED_PAD src0_sel:BYTE_2 src1_sel:BYTE_2
	v_mad_i32_i24 v25, v43, v48, v25
	v_add3_u32 v3, v41, v3, v26
	v_mul_i32_i24_sdwa v52, sext(v49), sext(v36) dst_sel:DWORD dst_unused:UNUSED_PAD src0_sel:BYTE_0 src1_sel:BYTE_0
	v_mad_i32_i24 v27, v32, v45, v53
	v_add3_u32 v3, v25, v7, v3
	v_mul_i32_i24_sdwa v36, sext(v36), sext(v49) dst_sel:DWORD dst_unused:UNUSED_PAD src0_sel:BYTE_3 src1_sel:BYTE_3
	v_add3_u32 v3, v3, v52, v27
	v_dot4_i32_i8 v0, v49, v33, v0
	v_dot4_i32_i8 v1, v34, v49, v1
	;; [unrolled: 1-line block ×3, first 2 shown]
	v_add3_u32 v3, v3, v4, v36
	s_waitcnt vmcnt(0)
	v_dot4_i32_i8 v2, v50, v39, v2
	v_dot4_i32_i8 v1, v50, v38, v1
	;; [unrolled: 1-line block ×4, first 2 shown]
	s_andn2_b64 exec, exec, s[20:21]
	s_cbranch_execnz .LBB69_21
; %bb.22:
	s_or_b64 exec, exec, s[20:21]
	v_mov_b32_e32 v3, v4
.LBB69_23:
	s_or_b64 exec, exec, s[18:19]
	v_and_b32_e32 v5, 3, v24
	v_mov_b32_e32 v6, 0
	v_cmp_ne_u64_e32 vcc, 0, v[5:6]
	s_mov_b64 s[8:9], 0
	s_and_saveexec_b64 s[6:7], vcc
	s_cbranch_execz .LBB69_27
; %bb.24:
	v_lshlrev_b64 v[19:20], 2, v[19:20]
	v_mov_b32_e32 v4, s13
	v_add_co_u32_e32 v19, vcc, s12, v19
	v_addc_co_u32_e32 v20, vcc, v4, v20, vcc
	v_lshlrev_b32_e32 v5, 2, v5
	s_waitcnt lgkmcnt(0)
	v_mov_b32_e32 v4, s11
	s_movk_i32 s18, 0x400
.LBB69_25:                              ; =>This Inner Loop Header: Depth=1
	global_load_dword v7, v[19:20], off
	global_load_dwordx4 v[24:27], v[17:18], off
	v_add_co_u32_e64 v5, s[2:3], -4, v5
	v_addc_co_u32_e64 v6, s[2:3], -1, v6, s[2:3]
	v_cmp_eq_u64_e64 s[2:3], 0, v[5:6]
	s_or_b64 s[8:9], s[2:3], s[8:9]
	s_waitcnt vmcnt(1)
	v_subrev_u32_e32 v7, s16, v7
	v_lshlrev_b32_e32 v7, 2, v7
	v_ashrrev_i32_e32 v22, 31, v7
	v_add_co_u32_e32 v21, vcc, s10, v7
	v_addc_co_u32_e32 v22, vcc, v4, v22, vcc
	global_load_dword v7, v[21:22], off
	v_add_co_u32_e32 v17, vcc, s18, v17
	v_addc_co_u32_e32 v18, vcc, 0, v18, vcc
	v_add_co_u32_e32 v19, vcc, 0x100, v19
	v_addc_co_u32_e32 v20, vcc, 0, v20, vcc
	s_waitcnt vmcnt(0)
	v_dot4_i32_i8 v3, v7, v27, v3
	v_dot4_i32_i8 v2, v7, v26, v2
	v_dot4_i32_i8 v1, v7, v25, v1
	v_dot4_i32_i8 v0, v7, v24, v0
	s_andn2_b64 exec, exec, s[8:9]
	s_cbranch_execnz .LBB69_25
; %bb.26:
	s_or_b64 exec, exec, s[8:9]
	v_mov_b32_e32 v4, v3
.LBB69_27:
	s_or_b64 exec, exec, s[6:7]
.LBB69_28:
	s_or_b64 exec, exec, s[14:15]
	s_cbranch_execz .LBB69_30
	s_branch .LBB69_41
.LBB69_29:
                                        ; implicit-def: $vgpr4
                                        ; implicit-def: $vgpr2
.LBB69_30:
	v_mov_b32_e32 v4, 0
	v_mov_b32_e32 v2, 0
	;; [unrolled: 1-line block ×4, first 2 shown]
	s_and_saveexec_b64 s[8:9], s[0:1]
	s_cbranch_execz .LBB69_40
; %bb.31:
	v_or_b32_e32 v0, 64, v23
	v_subrev_co_u32_e32 v0, vcc, s16, v0
	v_subb_co_u32_e64 v1, s[0:1], 0, 0, vcc
	v_add_co_u32_e32 v0, vcc, v0, v13
	v_addc_co_u32_e32 v1, vcc, v1, v14, vcc
	v_cmp_gt_i64_e32 vcc, v[0:1], v[15:16]
	v_not_b32_e32 v3, v13
	v_cndmask_b32_e32 v1, v16, v1, vcc
	v_cndmask_b32_e32 v0, v15, v0, vcc
	v_sub_co_u32_e32 v4, vcc, s16, v23
	v_not_b32_e32 v2, v14
	v_subb_co_u32_e64 v5, s[0:1], 0, 0, vcc
	v_add_co_u32_e32 v3, vcc, v4, v3
	v_addc_co_u32_e32 v2, vcc, v5, v2, vcc
	v_add_co_u32_e32 v0, vcc, v3, v0
	v_addc_co_u32_e32 v1, vcc, v2, v1, vcc
	v_lshrrev_b64 v[2:3], 6, v[0:1]
	s_mov_b64 s[0:1], 0xbf
	v_add_co_u32_e32 v15, vcc, 1, v2
	v_addc_co_u32_e32 v14, vcc, 0, v3, vcc
	v_mov_b32_e32 v4, 0
	v_cmp_lt_u64_e32 vcc, s[0:1], v[0:1]
	v_mov_b32_e32 v5, v4
	v_mov_b32_e32 v6, v4
	;; [unrolled: 1-line block ×7, first 2 shown]
	s_and_saveexec_b64 s[14:15], vcc
	s_cbranch_execz .LBB69_35
; %bb.32:
	v_lshlrev_b64 v[0:1], 2, v[11:12]
	v_mov_b32_e32 v2, s13
	v_add_co_u32_e32 v0, vcc, s12, v0
	v_addc_co_u32_e32 v1, vcc, v2, v1, vcc
	v_add_co_u32_e32 v5, vcc, 0x200, v0
	v_and_b32_e32 v13, -4, v15
	v_addc_co_u32_e32 v6, vcc, 0, v1, vcc
	s_mov_b64 s[18:19], 0
	s_mov_b32 s20, 0xc04000c
	s_mov_b32 s21, 0xc0c0c00
	;; [unrolled: 1-line block ×19, first 2 shown]
	s_movk_i32 s41, 0x1000
	s_movk_i32 s42, 0x100
	v_mov_b32_e32 v2, 0
	v_mov_b32_e32 v1, 0
	;; [unrolled: 1-line block ×3, first 2 shown]
.LBB69_33:                              ; =>This Inner Loop Header: Depth=1
	global_load_dword v3, v[5:6], off offset:-512
	global_load_dword v7, v[5:6], off offset:-256
	global_load_dword v20, v[5:6], off
	global_load_dword v21, v[5:6], off offset:256
	global_load_dwordx4 v[16:19], v[9:10], off
	global_load_dwordx4 v[24:27], v[9:10], off offset:1024
	global_load_dwordx4 v[28:31], v[9:10], off offset:2048
	;; [unrolled: 1-line block ×3, first 2 shown]
	v_add_co_u32_e32 v9, vcc, s41, v9
	s_mov_b64 s[0:1], vcc
	v_add_co_u32_e32 v13, vcc, -4, v13
	v_addc_co_u32_e32 v14, vcc, -1, v14, vcc
	v_add_co_u32_e32 v11, vcc, s42, v11
	s_mov_b64 s[2:3], vcc
	v_addc_co_u32_e64 v10, vcc, 0, v10, s[0:1]
	v_cmp_eq_u64_e64 s[0:1], 0, v[13:14]
	v_add_co_u32_e32 v5, vcc, 0x400, v5
	s_waitcnt lgkmcnt(0)
	v_mov_b32_e32 v22, s11
	v_addc_co_u32_e64 v12, s[2:3], 0, v12, s[2:3]
	v_addc_co_u32_e32 v6, vcc, 0, v6, vcc
	s_or_b64 s[18:19], s[0:1], s[18:19]
	s_waitcnt vmcnt(7)
	v_subrev_u32_e32 v3, s16, v3
	s_waitcnt vmcnt(6)
	v_subrev_u32_e32 v7, s16, v7
	s_waitcnt vmcnt(5)
	v_subrev_u32_e32 v20, s16, v20
	s_waitcnt vmcnt(4)
	v_subrev_u32_e32 v21, s16, v21
	v_lshlrev_b32_e32 v3, 2, v3
	v_lshlrev_b32_e32 v7, 2, v7
	;; [unrolled: 1-line block ×4, first 2 shown]
	v_ashrrev_i32_e32 v37, 31, v3
	v_add_co_u32_e64 v40, s[6:7], s10, v3
	v_ashrrev_i32_e32 v39, 31, v7
	v_add_co_u32_e32 v20, vcc, s10, v7
	v_ashrrev_i32_e32 v7, 31, v36
	v_add_co_u32_e64 v36, s[0:1], s10, v36
	v_ashrrev_i32_e32 v44, 31, v21
	v_add_co_u32_e64 v38, s[2:3], s10, v21
	v_addc_co_u32_e64 v41, s[6:7], v22, v37, s[6:7]
	v_addc_co_u32_e32 v21, vcc, v22, v39, vcc
	v_addc_co_u32_e64 v37, vcc, v22, v7, s[0:1]
	v_addc_co_u32_e64 v39, vcc, v22, v44, s[2:3]
	global_load_dword v3, v[40:41], off
	global_load_dword v7, v[20:21], off
	;; [unrolled: 1-line block ×4, first 2 shown]
	s_waitcnt vmcnt(7)
	v_perm_b32 v42, v18, v17, s20
	v_perm_b32 v20, v18, v17, s24
	;; [unrolled: 1-line block ×4, first 2 shown]
	s_waitcnt vmcnt(6)
	v_perm_b32 v18, v24, v19, s30
	v_perm_b32 v38, v24, v19, s34
	;; [unrolled: 1-line block ×8, first 2 shown]
	s_waitcnt vmcnt(5)
	v_perm_b32 v26, v28, v27, s30
	v_perm_b32 v45, v28, v27, s34
	;; [unrolled: 1-line block ×4, first 2 shown]
	v_lshrrev_b32_e32 v28, 16, v31
	s_waitcnt vmcnt(4)
	v_perm_b32 v50, v33, v32, s38
	v_perm_b32 v52, v33, v32, s36
	;; [unrolled: 1-line block ×9, first 2 shown]
	v_or_b32_e32 v32, v33, v32
	v_ashrrev_i16_e32 v33, 8, v28
	v_bfe_i32 v28, v28, 0, 8
	v_perm_b32 v51, v35, v34, s39
	v_perm_b32 v53, v35, v34, s37
	;; [unrolled: 1-line block ×3, first 2 shown]
	v_or_b32_e32 v34, v42, v43
	v_or_b32_e32 v20, v20, v21
	;; [unrolled: 1-line block ×4, first 2 shown]
	v_perm_b32 v28, v33, v28, s40
	v_perm_b32 v47, v30, v29, s31
	;; [unrolled: 1-line block ×5, first 2 shown]
	v_ashrrev_i16_e32 v30, 8, v31
	v_bfe_i32 v31, v31, 0, 8
	v_or_b32_e32 v17, v24, v18
	v_or_b32_e32 v18, v40, v38
	;; [unrolled: 1-line block ×8, first 2 shown]
	v_perm_b32 v29, v30, v31, s40
	v_or_b32_e32 v30, v51, v50
	v_or_b32_e32 v31, v53, v52
	v_or_b32_e32 v36, v55, v54
	s_waitcnt vmcnt(3)
	v_perm_b32 v33, v3, v3, s23
	s_waitcnt vmcnt(2)
	v_perm_b32 v3, v7, v3, s33
	;; [unrolled: 2-line block ×3, first 2 shown]
	v_lshrrev_b32_e32 v22, 24, v22
	v_dot4_i32_i8 v0, v33, v34, v0
	v_dot4_i32_i8 v1, v20, v33, v1
	;; [unrolled: 1-line block ×4, first 2 shown]
	v_bfe_i32 v16, v22, 0, 8
	v_dot4_i32_i8 v0, v3, v17, v0
	v_dot4_i32_i8 v1, v18, v3, v1
	;; [unrolled: 1-line block ×4, first 2 shown]
	v_pk_mul_lo_u16 v4, v16, v28 op_sel_hi:[0,1]
	v_pk_mul_lo_u16 v16, v16, v29 op_sel_hi:[0,1]
	v_dot4_i32_i8 v0, v7, v25, v0
	v_dot4_i32_i8 v1, v26, v7, v1
	;; [unrolled: 1-line block ×4, first 2 shown]
	v_add_u32_sdwa v0, v0, sext(v16) dst_sel:DWORD dst_unused:UNUSED_PAD src0_sel:DWORD src1_sel:WORD_0
	v_add_u32_sdwa v1, v1, sext(v16) dst_sel:DWORD dst_unused:UNUSED_PAD src0_sel:DWORD src1_sel:WORD_1
	v_add_u32_sdwa v2, v2, sext(v4) dst_sel:DWORD dst_unused:UNUSED_PAD src0_sel:DWORD src1_sel:WORD_0
	v_add_u32_sdwa v3, v3, sext(v4) dst_sel:DWORD dst_unused:UNUSED_PAD src0_sel:DWORD src1_sel:WORD_1
	s_waitcnt vmcnt(0)
	v_dot4_i32_i8 v2, v44, v31, v2
	v_dot4_i32_i8 v1, v44, v36, v1
	;; [unrolled: 1-line block ×4, first 2 shown]
	s_andn2_b64 exec, exec, s[18:19]
	s_cbranch_execnz .LBB69_33
; %bb.34:
	s_or_b64 exec, exec, s[18:19]
	v_mov_b32_e32 v3, v4
.LBB69_35:
	s_or_b64 exec, exec, s[14:15]
	v_and_b32_e32 v5, 3, v15
	v_mov_b32_e32 v6, 0
	v_cmp_ne_u64_e32 vcc, 0, v[5:6]
	s_mov_b64 s[6:7], 0
	s_and_saveexec_b64 s[2:3], vcc
	s_cbranch_execz .LBB69_39
; %bb.36:
	v_lshlrev_b64 v[11:12], 2, v[11:12]
	v_mov_b32_e32 v4, s13
	v_add_co_u32_e32 v11, vcc, s12, v11
	v_addc_co_u32_e32 v12, vcc, v4, v12, vcc
	v_lshlrev_b32_e32 v5, 2, v5
	s_waitcnt lgkmcnt(0)
	v_mov_b32_e32 v4, s11
	s_mov_b32 s11, 0xc0c0703
	s_mov_b32 s12, 0x7030c0c
	;; [unrolled: 1-line block ×8, first 2 shown]
	s_movk_i32 s21, 0x400
.LBB69_37:                              ; =>This Inner Loop Header: Depth=1
	global_load_dword v7, v[11:12], off
	global_load_dwordx4 v[13:16], v[9:10], off
	v_add_co_u32_e64 v5, s[0:1], -4, v5
	v_addc_co_u32_e64 v6, s[0:1], -1, v6, s[0:1]
	v_cmp_eq_u64_e64 s[0:1], 0, v[5:6]
	s_or_b64 s[6:7], s[0:1], s[6:7]
	s_waitcnt vmcnt(1)
	v_subrev_u32_e32 v7, s16, v7
	v_lshlrev_b32_e32 v7, 2, v7
	v_ashrrev_i32_e32 v18, 31, v7
	v_add_co_u32_e32 v17, vcc, s10, v7
	v_addc_co_u32_e32 v18, vcc, v4, v18, vcc
	global_load_dword v7, v[17:18], off
	v_add_co_u32_e32 v9, vcc, s21, v9
	v_addc_co_u32_e32 v10, vcc, 0, v10, vcc
	s_waitcnt vmcnt(1)
	v_perm_b32 v17, v14, v13, s11
	v_perm_b32 v18, v16, v15, s12
	;; [unrolled: 1-line block ×8, first 2 shown]
	v_add_co_u32_e32 v11, vcc, 0x100, v11
	v_or_b32_e32 v15, v18, v17
	v_or_b32_e32 v16, v20, v19
	;; [unrolled: 1-line block ×4, first 2 shown]
	v_addc_co_u32_e32 v12, vcc, 0, v12, vcc
	s_waitcnt vmcnt(0)
	v_dot4_i32_i8 v3, v7, v15, v3
	v_dot4_i32_i8 v2, v7, v16, v2
	;; [unrolled: 1-line block ×4, first 2 shown]
	s_andn2_b64 exec, exec, s[6:7]
	s_cbranch_execnz .LBB69_37
; %bb.38:
	s_or_b64 exec, exec, s[6:7]
	v_mov_b32_e32 v4, v3
.LBB69_39:
	s_or_b64 exec, exec, s[2:3]
.LBB69_40:
	s_or_b64 exec, exec, s[8:9]
.LBB69_41:
	v_mov_b32_dpp v3, v0 row_shr:1 row_mask:0xf bank_mask:0xf
	v_mov_b32_dpp v5, v1 row_shr:1 row_mask:0xf bank_mask:0xf
	v_mov_b32_dpp v6, v2 row_shr:1 row_mask:0xf bank_mask:0xf
	v_mov_b32_dpp v7, v4 row_shr:1 row_mask:0xf bank_mask:0xf
	v_add_u32_e32 v0, v3, v0
	v_add_u32_e32 v1, v5, v1
	v_add_u32_e32 v2, v6, v2
	v_add_u32_e32 v4, v7, v4
	v_mov_b32_dpp v3, v0 row_shr:2 row_mask:0xf bank_mask:0xf
	v_mov_b32_dpp v5, v1 row_shr:2 row_mask:0xf bank_mask:0xf
	v_mov_b32_dpp v6, v2 row_shr:2 row_mask:0xf bank_mask:0xf
	v_mov_b32_dpp v7, v4 row_shr:2 row_mask:0xf bank_mask:0xf
	v_add_u32_e32 v0, v0, v3
	v_add_u32_e32 v1, v1, v5
	v_add_u32_e32 v2, v2, v6
	v_add_u32_e32 v4, v4, v7
	;; [unrolled: 8-line block ×4, first 2 shown]
	v_mov_b32_dpp v3, v0 row_bcast:15 row_mask:0xa bank_mask:0xf
	v_mov_b32_dpp v5, v1 row_bcast:15 row_mask:0xa bank_mask:0xf
	v_mov_b32_dpp v6, v2 row_bcast:15 row_mask:0xa bank_mask:0xf
	v_mov_b32_dpp v7, v4 row_bcast:15 row_mask:0xa bank_mask:0xf
	v_add_u32_e32 v0, v0, v3
	v_add_u32_e32 v1, v1, v5
	;; [unrolled: 1-line block ×4, first 2 shown]
	v_mov_b32_dpp v3, v0 row_bcast:31 row_mask:0xc bank_mask:0xf
	v_mov_b32_dpp v5, v1 row_bcast:31 row_mask:0xc bank_mask:0xf
	;; [unrolled: 1-line block ×4, first 2 shown]
	v_cmp_eq_u32_e32 vcc, 63, v23
	s_and_b64 exec, exec, vcc
	s_cbranch_execz .LBB69_14
; %bb.42:
	s_load_dwordx2 s[0:1], s[4:5], 0x50
	v_add_u32_e32 v0, v0, v3
	v_add_u32_e32 v1, v1, v5
	;; [unrolled: 1-line block ×4, first 2 shown]
	v_mul_lo_u32 v0, v0, s17
	v_mul_lo_u32 v1, v1, s17
	;; [unrolled: 1-line block ×4, first 2 shown]
	s_cmp_eq_u32 s22, 0
	v_lshlrev_b32_e32 v4, 2, v8
	s_cbranch_scc1 .LBB69_44
; %bb.43:
	v_ashrrev_i32_e32 v5, 31, v4
	v_lshlrev_b64 v[5:6], 2, v[4:5]
	s_waitcnt lgkmcnt(0)
	v_mov_b32_e32 v7, s1
	v_add_co_u32_e32 v13, vcc, s0, v5
	v_addc_co_u32_e32 v14, vcc, v7, v6, vcc
	global_load_dwordx4 v[5:8], v[13:14], off
	s_waitcnt vmcnt(0)
	v_mad_u64_u32 v[9:10], s[2:3], v5, s22, v[0:1]
	v_mad_u64_u32 v[15:16], s[2:3], v8, s22, v[3:4]
	;; [unrolled: 1-line block ×4, first 2 shown]
	v_mov_b32_e32 v12, v15
	global_store_dwordx4 v[13:14], v[9:12], off
	s_cbranch_execnz .LBB69_14
	s_branch .LBB69_45
.LBB69_44:
.LBB69_45:
	v_ashrrev_i32_e32 v5, 31, v4
	v_lshlrev_b64 v[4:5], 2, v[4:5]
	s_waitcnt lgkmcnt(0)
	v_mov_b32_e32 v6, s1
	v_add_co_u32_e32 v4, vcc, s0, v4
	v_addc_co_u32_e32 v5, vcc, v6, v5, vcc
	global_store_dwordx4 v[4:5], v[0:3], off
	s_endpgm
	.section	.rodata,"a",@progbits
	.p2align	6, 0x0
	.amdhsa_kernel _ZN9rocsparseL18bsrxmvn_4x4_kernelILj128ELj64EiliaaiEEvT3_20rocsparse_direction_NS_24const_host_device_scalarIT1_EES1_PKS1_PKT2_SA_S7_PKT4_PKT5_S5_PT6_21rocsparse_index_base_b
		.amdhsa_group_segment_fixed_size 0
		.amdhsa_private_segment_fixed_size 0
		.amdhsa_kernarg_size 96
		.amdhsa_user_sgpr_count 6
		.amdhsa_user_sgpr_private_segment_buffer 1
		.amdhsa_user_sgpr_dispatch_ptr 0
		.amdhsa_user_sgpr_queue_ptr 0
		.amdhsa_user_sgpr_kernarg_segment_ptr 1
		.amdhsa_user_sgpr_dispatch_id 0
		.amdhsa_user_sgpr_flat_scratch_init 0
		.amdhsa_user_sgpr_private_segment_size 0
		.amdhsa_uses_dynamic_stack 0
		.amdhsa_system_sgpr_private_segment_wavefront_offset 0
		.amdhsa_system_sgpr_workgroup_id_x 1
		.amdhsa_system_sgpr_workgroup_id_y 0
		.amdhsa_system_sgpr_workgroup_id_z 0
		.amdhsa_system_sgpr_workgroup_info 0
		.amdhsa_system_vgpr_workitem_id 0
		.amdhsa_next_free_vgpr 56
		.amdhsa_next_free_sgpr 43
		.amdhsa_reserve_vcc 1
		.amdhsa_reserve_flat_scratch 0
		.amdhsa_float_round_mode_32 0
		.amdhsa_float_round_mode_16_64 0
		.amdhsa_float_denorm_mode_32 3
		.amdhsa_float_denorm_mode_16_64 3
		.amdhsa_dx10_clamp 1
		.amdhsa_ieee_mode 1
		.amdhsa_fp16_overflow 0
		.amdhsa_exception_fp_ieee_invalid_op 0
		.amdhsa_exception_fp_denorm_src 0
		.amdhsa_exception_fp_ieee_div_zero 0
		.amdhsa_exception_fp_ieee_overflow 0
		.amdhsa_exception_fp_ieee_underflow 0
		.amdhsa_exception_fp_ieee_inexact 0
		.amdhsa_exception_int_div_zero 0
	.end_amdhsa_kernel
	.section	.text._ZN9rocsparseL18bsrxmvn_4x4_kernelILj128ELj64EiliaaiEEvT3_20rocsparse_direction_NS_24const_host_device_scalarIT1_EES1_PKS1_PKT2_SA_S7_PKT4_PKT5_S5_PT6_21rocsparse_index_base_b,"axG",@progbits,_ZN9rocsparseL18bsrxmvn_4x4_kernelILj128ELj64EiliaaiEEvT3_20rocsparse_direction_NS_24const_host_device_scalarIT1_EES1_PKS1_PKT2_SA_S7_PKT4_PKT5_S5_PT6_21rocsparse_index_base_b,comdat
.Lfunc_end69:
	.size	_ZN9rocsparseL18bsrxmvn_4x4_kernelILj128ELj64EiliaaiEEvT3_20rocsparse_direction_NS_24const_host_device_scalarIT1_EES1_PKS1_PKT2_SA_S7_PKT4_PKT5_S5_PT6_21rocsparse_index_base_b, .Lfunc_end69-_ZN9rocsparseL18bsrxmvn_4x4_kernelILj128ELj64EiliaaiEEvT3_20rocsparse_direction_NS_24const_host_device_scalarIT1_EES1_PKS1_PKT2_SA_S7_PKT4_PKT5_S5_PT6_21rocsparse_index_base_b
                                        ; -- End function
	.set _ZN9rocsparseL18bsrxmvn_4x4_kernelILj128ELj64EiliaaiEEvT3_20rocsparse_direction_NS_24const_host_device_scalarIT1_EES1_PKS1_PKT2_SA_S7_PKT4_PKT5_S5_PT6_21rocsparse_index_base_b.num_vgpr, 56
	.set _ZN9rocsparseL18bsrxmvn_4x4_kernelILj128ELj64EiliaaiEEvT3_20rocsparse_direction_NS_24const_host_device_scalarIT1_EES1_PKS1_PKT2_SA_S7_PKT4_PKT5_S5_PT6_21rocsparse_index_base_b.num_agpr, 0
	.set _ZN9rocsparseL18bsrxmvn_4x4_kernelILj128ELj64EiliaaiEEvT3_20rocsparse_direction_NS_24const_host_device_scalarIT1_EES1_PKS1_PKT2_SA_S7_PKT4_PKT5_S5_PT6_21rocsparse_index_base_b.numbered_sgpr, 43
	.set _ZN9rocsparseL18bsrxmvn_4x4_kernelILj128ELj64EiliaaiEEvT3_20rocsparse_direction_NS_24const_host_device_scalarIT1_EES1_PKS1_PKT2_SA_S7_PKT4_PKT5_S5_PT6_21rocsparse_index_base_b.num_named_barrier, 0
	.set _ZN9rocsparseL18bsrxmvn_4x4_kernelILj128ELj64EiliaaiEEvT3_20rocsparse_direction_NS_24const_host_device_scalarIT1_EES1_PKS1_PKT2_SA_S7_PKT4_PKT5_S5_PT6_21rocsparse_index_base_b.private_seg_size, 0
	.set _ZN9rocsparseL18bsrxmvn_4x4_kernelILj128ELj64EiliaaiEEvT3_20rocsparse_direction_NS_24const_host_device_scalarIT1_EES1_PKS1_PKT2_SA_S7_PKT4_PKT5_S5_PT6_21rocsparse_index_base_b.uses_vcc, 1
	.set _ZN9rocsparseL18bsrxmvn_4x4_kernelILj128ELj64EiliaaiEEvT3_20rocsparse_direction_NS_24const_host_device_scalarIT1_EES1_PKS1_PKT2_SA_S7_PKT4_PKT5_S5_PT6_21rocsparse_index_base_b.uses_flat_scratch, 0
	.set _ZN9rocsparseL18bsrxmvn_4x4_kernelILj128ELj64EiliaaiEEvT3_20rocsparse_direction_NS_24const_host_device_scalarIT1_EES1_PKS1_PKT2_SA_S7_PKT4_PKT5_S5_PT6_21rocsparse_index_base_b.has_dyn_sized_stack, 0
	.set _ZN9rocsparseL18bsrxmvn_4x4_kernelILj128ELj64EiliaaiEEvT3_20rocsparse_direction_NS_24const_host_device_scalarIT1_EES1_PKS1_PKT2_SA_S7_PKT4_PKT5_S5_PT6_21rocsparse_index_base_b.has_recursion, 0
	.set _ZN9rocsparseL18bsrxmvn_4x4_kernelILj128ELj64EiliaaiEEvT3_20rocsparse_direction_NS_24const_host_device_scalarIT1_EES1_PKS1_PKT2_SA_S7_PKT4_PKT5_S5_PT6_21rocsparse_index_base_b.has_indirect_call, 0
	.section	.AMDGPU.csdata,"",@progbits
; Kernel info:
; codeLenInByte = 3752
; TotalNumSgprs: 47
; NumVgprs: 56
; ScratchSize: 0
; MemoryBound: 0
; FloatMode: 240
; IeeeMode: 1
; LDSByteSize: 0 bytes/workgroup (compile time only)
; SGPRBlocks: 5
; VGPRBlocks: 13
; NumSGPRsForWavesPerEU: 47
; NumVGPRsForWavesPerEU: 56
; Occupancy: 4
; WaveLimiterHint : 1
; COMPUTE_PGM_RSRC2:SCRATCH_EN: 0
; COMPUTE_PGM_RSRC2:USER_SGPR: 6
; COMPUTE_PGM_RSRC2:TRAP_HANDLER: 0
; COMPUTE_PGM_RSRC2:TGID_X_EN: 1
; COMPUTE_PGM_RSRC2:TGID_Y_EN: 0
; COMPUTE_PGM_RSRC2:TGID_Z_EN: 0
; COMPUTE_PGM_RSRC2:TIDIG_COMP_CNT: 0
	.section	.text._ZN9rocsparseL18bsrxmvn_4x4_kernelILj128ELj4EillaaiEEvT3_20rocsparse_direction_NS_24const_host_device_scalarIT1_EES1_PKS1_PKT2_SA_S7_PKT4_PKT5_S5_PT6_21rocsparse_index_base_b,"axG",@progbits,_ZN9rocsparseL18bsrxmvn_4x4_kernelILj128ELj4EillaaiEEvT3_20rocsparse_direction_NS_24const_host_device_scalarIT1_EES1_PKS1_PKT2_SA_S7_PKT4_PKT5_S5_PT6_21rocsparse_index_base_b,comdat
	.globl	_ZN9rocsparseL18bsrxmvn_4x4_kernelILj128ELj4EillaaiEEvT3_20rocsparse_direction_NS_24const_host_device_scalarIT1_EES1_PKS1_PKT2_SA_S7_PKT4_PKT5_S5_PT6_21rocsparse_index_base_b ; -- Begin function _ZN9rocsparseL18bsrxmvn_4x4_kernelILj128ELj4EillaaiEEvT3_20rocsparse_direction_NS_24const_host_device_scalarIT1_EES1_PKS1_PKT2_SA_S7_PKT4_PKT5_S5_PT6_21rocsparse_index_base_b
	.p2align	8
	.type	_ZN9rocsparseL18bsrxmvn_4x4_kernelILj128ELj4EillaaiEEvT3_20rocsparse_direction_NS_24const_host_device_scalarIT1_EES1_PKS1_PKT2_SA_S7_PKT4_PKT5_S5_PT6_21rocsparse_index_base_b,@function
_ZN9rocsparseL18bsrxmvn_4x4_kernelILj128ELj4EillaaiEEvT3_20rocsparse_direction_NS_24const_host_device_scalarIT1_EES1_PKS1_PKT2_SA_S7_PKT4_PKT5_S5_PT6_21rocsparse_index_base_b: ; @_ZN9rocsparseL18bsrxmvn_4x4_kernelILj128ELj4EillaaiEEvT3_20rocsparse_direction_NS_24const_host_device_scalarIT1_EES1_PKS1_PKT2_SA_S7_PKT4_PKT5_S5_PT6_21rocsparse_index_base_b
; %bb.0:
	s_load_dwordx2 s[8:9], s[4:5], 0x60
	s_load_dwordx4 s[0:3], s[4:5], 0x10
	s_mov_b64 s[14:15], -1
                                        ; implicit-def: $sgpr16
	s_waitcnt lgkmcnt(0)
	s_bitcmp1_b32 s9, 0
	s_cselect_b64 s[10:11], -1, 0
	s_xor_b64 s[12:13], s[10:11], -1
	s_and_b64 vcc, exec, s[12:13]
	s_cbranch_vccnz .LBB70_4
; %bb.1:
	s_load_dwordx2 s[10:11], s[4:5], 0x50
	s_andn2_b64 vcc, exec, s[14:15]
	s_cbranch_vccz .LBB70_5
.LBB70_2:
	s_and_b64 vcc, exec, s[12:13]
	s_cbranch_vccz .LBB70_6
.LBB70_3:
	s_waitcnt lgkmcnt(0)
	s_load_dword s17, s[10:11], 0x0
	s_cbranch_execz .LBB70_7
	s_branch .LBB70_8
.LBB70_4:
	s_load_dword s16, s[0:1], 0x0
	s_load_dwordx2 s[10:11], s[4:5], 0x50
	s_cbranch_execnz .LBB70_2
.LBB70_5:
	s_waitcnt lgkmcnt(0)
	s_mov_b32 s16, s0
	s_and_b64 vcc, exec, s[12:13]
	s_cbranch_vccnz .LBB70_3
.LBB70_6:
                                        ; implicit-def: $sgpr17
.LBB70_7:
	s_waitcnt lgkmcnt(0)
	s_mov_b32 s17, s10
.LBB70_8:
	s_waitcnt lgkmcnt(0)
	s_cmp_lg_u32 s16, 0
	s_cselect_b64 s[0:1], -1, 0
	s_cmp_lg_u32 s17, 1
	s_cselect_b64 s[10:11], -1, 0
	s_or_b64 s[0:1], s[0:1], s[10:11]
	s_andn2_b64 vcc, exec, s[0:1]
	s_cbranch_vccnz .LBB70_14
; %bb.9:
	s_load_dwordx2 s[10:11], s[4:5], 0x20
	v_lshrrev_b32_e32 v1, 2, v0
	v_lshl_or_b32 v1, s6, 5, v1
	v_mov_b32_e32 v2, 0
	s_mov_b64 s[0:1], 0
	s_waitcnt lgkmcnt(0)
	s_cmp_lg_u64 s[10:11], 0
	s_cbranch_scc0 .LBB70_15
; %bb.10:
	v_cmp_gt_i64_e32 vcc, s[2:3], v[1:2]
                                        ; implicit-def: $vgpr8_vgpr9
                                        ; implicit-def: $vgpr10_vgpr11
	s_and_saveexec_b64 s[2:3], vcc
	s_xor_b64 s[2:3], exec, s[2:3]
	s_cbranch_execz .LBB70_12
; %bb.11:
	v_lshlrev_b64 v[3:4], 3, v[1:2]
	v_mov_b32_e32 v5, s11
	v_add_co_u32_e32 v3, vcc, s10, v3
	v_addc_co_u32_e32 v4, vcc, v5, v4, vcc
	global_load_dwordx2 v[3:4], v[3:4], off
	s_mov_b32 s9, 0
	v_mov_b32_e32 v11, s9
	s_mov_b64 s[0:1], exec
	v_mov_b32_e32 v10, s8
	s_waitcnt vmcnt(0)
	v_subrev_co_u32_e32 v8, vcc, s8, v3
	v_subbrev_co_u32_e32 v9, vcc, 0, v4, vcc
.LBB70_12:
	s_or_b64 exec, exec, s[2:3]
.LBB70_13:
	s_and_saveexec_b64 s[2:3], s[0:1]
	s_cbranch_execnz .LBB70_19
.LBB70_14:
	s_endpgm
.LBB70_15:
                                        ; implicit-def: $vgpr8_vgpr9
                                        ; implicit-def: $vgpr10_vgpr11
	s_cbranch_execz .LBB70_13
; %bb.16:
	s_load_dwordx2 s[2:3], s[4:5], 0x0
	s_waitcnt lgkmcnt(0)
	v_cmp_gt_i64_e32 vcc, s[2:3], v[1:2]
	s_and_saveexec_b64 s[2:3], vcc
; %bb.17:
	s_mov_b32 s9, 0
	s_or_b64 s[0:1], s[0:1], exec
; %bb.18:
	s_or_b64 exec, exec, s[2:3]
	v_mov_b32_e32 v11, s9
	v_mov_b32_e32 v9, v2
	;; [unrolled: 1-line block ×4, first 2 shown]
	s_and_saveexec_b64 s[2:3], s[0:1]
	s_cbranch_execz .LBB70_14
.LBB70_19:
	s_load_dwordx8 s[8:15], s[4:5], 0x28
	v_lshlrev_b64 v[1:2], 3, v[8:9]
	v_and_b32_e32 v26, 3, v0
	s_waitcnt lgkmcnt(0)
	v_mov_b32_e32 v4, s9
	v_add_co_u32_e32 v3, vcc, s8, v1
	v_addc_co_u32_e32 v4, vcc, v4, v2, vcc
	global_load_dwordx2 v[16:17], v[3:4], off
	v_add_co_u32_e32 v3, vcc, 8, v3
	v_addc_co_u32_e32 v4, vcc, 0, v4, vcc
	v_mov_b32_e32 v5, s11
	v_add_co_u32_e32 v1, vcc, s10, v1
	s_cmp_eq_u64 s[10:11], 0
	v_addc_co_u32_e32 v2, vcc, v5, v2, vcc
	s_cselect_b64 vcc, -1, 0
	v_cndmask_b32_e32 v2, v2, v4, vcc
	v_cndmask_b32_e32 v1, v1, v3, vcc
	global_load_dwordx2 v[1:2], v[1:2], off
	s_load_dword s0, s[4:5], 0x8
	s_load_dwordx2 s[6:7], s[4:5], 0x48
	v_mov_b32_e32 v3, s15
	v_mov_b32_e32 v4, 0
	s_waitcnt lgkmcnt(0)
	s_cmp_eq_u32 s0, 1
	s_waitcnt vmcnt(1)
	v_sub_co_u32_e32 v0, vcc, v16, v10
	v_subb_co_u32_e32 v5, vcc, v17, v11, vcc
	v_add_co_u32_e32 v14, vcc, v0, v26
	v_addc_co_u32_e32 v15, vcc, 0, v5, vcc
	s_waitcnt vmcnt(0)
	v_sub_co_u32_e32 v18, vcc, v1, v10
	v_lshlrev_b64 v[0:1], 4, v[14:15]
	v_subb_co_u32_e32 v19, vcc, v2, v11, vcc
	v_cmp_lt_i64_e64 s[0:1], v[14:15], v[18:19]
	v_add_co_u32_e32 v12, vcc, s14, v0
	v_addc_co_u32_e32 v13, vcc, v3, v1, vcc
	s_cbranch_scc1 .LBB70_31
; %bb.20:
	v_mov_b32_e32 v2, 0
	v_mov_b32_e32 v1, 0
	v_mov_b32_e32 v0, 0
	s_and_saveexec_b64 s[8:9], s[0:1]
	s_cbranch_execz .LBB70_30
; %bb.21:
	v_or_b32_e32 v0, 4, v26
	v_sub_co_u32_e32 v0, vcc, v0, v10
	v_subb_co_u32_e32 v1, vcc, 0, v11, vcc
	v_add_co_u32_e32 v0, vcc, v0, v16
	v_addc_co_u32_e32 v1, vcc, v1, v17, vcc
	v_cmp_gt_i64_e32 vcc, v[0:1], v[18:19]
	v_not_b32_e32 v3, v16
	v_cndmask_b32_e32 v1, v19, v1, vcc
	v_cndmask_b32_e32 v0, v18, v0, vcc
	v_sub_co_u32_e32 v4, vcc, v10, v26
	v_subbrev_co_u32_e32 v5, vcc, 0, v11, vcc
	v_not_b32_e32 v2, v17
	v_add_co_u32_e32 v3, vcc, v4, v3
	v_addc_co_u32_e32 v2, vcc, v5, v2, vcc
	v_add_co_u32_e32 v0, vcc, v3, v0
	v_addc_co_u32_e32 v1, vcc, v2, v1, vcc
	v_lshrrev_b64 v[2:3], 2, v[0:1]
	v_mov_b32_e32 v4, 0
	v_add_co_u32_e32 v27, vcc, 1, v2
	v_addc_co_u32_e32 v25, vcc, 0, v3, vcc
	v_cmp_lt_u64_e32 vcc, 11, v[0:1]
	v_mov_b32_e32 v5, v4
	v_mov_b32_e32 v6, v4
	;; [unrolled: 1-line block ×11, first 2 shown]
	s_and_saveexec_b64 s[10:11], vcc
	s_cbranch_execz .LBB70_25
; %bb.22:
	v_lshlrev_b64 v[0:1], 3, v[14:15]
	v_mov_b32_e32 v2, s13
	v_add_co_u32_e32 v0, vcc, s12, v0
	v_addc_co_u32_e32 v1, vcc, v2, v1, vcc
	v_add_co_u32_e32 v5, vcc, 64, v0
	v_mov_b32_e32 v21, v13
	v_mov_b32_e32 v23, v15
	v_and_b32_e32 v24, -4, v27
	v_addc_co_u32_e32 v6, vcc, 0, v1, vcc
	s_mov_b64 s[14:15], 0
	s_movk_i32 s18, 0x100
	v_mov_b32_e32 v20, v12
	v_mov_b32_e32 v22, v14
	;; [unrolled: 1-line block ×5, first 2 shown]
.LBB70_23:                              ; =>This Inner Loop Header: Depth=1
	global_load_dwordx2 v[44:45], v[5:6], off offset:-64
	global_load_dwordx2 v[46:47], v[5:6], off offset:-32
	global_load_dwordx2 v[48:49], v[5:6], off
	global_load_dwordx2 v[50:51], v[5:6], off offset:32
	v_mov_b32_e32 v3, s7
	global_load_dwordx4 v[28:31], v[20:21], off
	global_load_dwordx4 v[32:35], v[20:21], off offset:64
	global_load_dwordx4 v[36:39], v[20:21], off offset:128
	;; [unrolled: 1-line block ×3, first 2 shown]
	v_add_co_u32_e64 v22, s[2:3], 16, v22
	v_addc_co_u32_e64 v23, s[2:3], 0, v23, s[2:3]
	v_add_co_u32_e64 v24, s[2:3], -4, v24
	v_addc_co_u32_e64 v25, s[2:3], -1, v25, s[2:3]
	v_cmp_eq_u64_e64 s[2:3], 0, v[24:25]
	s_or_b64 s[14:15], s[2:3], s[14:15]
	s_waitcnt vmcnt(7)
	v_sub_co_u32_e32 v44, vcc, v44, v10
	v_subb_co_u32_e32 v45, vcc, v45, v11, vcc
	s_waitcnt vmcnt(6)
	v_sub_co_u32_e32 v46, vcc, v46, v10
	v_subb_co_u32_e32 v47, vcc, v47, v11, vcc
	;; [unrolled: 3-line block ×3, first 2 shown]
	s_waitcnt vmcnt(4)
	v_sub_co_u32_e32 v50, vcc, v50, v10
	v_lshlrev_b64 v[44:45], 2, v[44:45]
	v_subb_co_u32_e32 v51, vcc, v51, v11, vcc
	v_lshlrev_b64 v[46:47], 2, v[46:47]
	v_add_co_u32_e32 v44, vcc, s6, v44
	v_addc_co_u32_e32 v45, vcc, v3, v45, vcc
	v_lshlrev_b64 v[48:49], 2, v[48:49]
	v_add_co_u32_e32 v46, vcc, s6, v46
	v_addc_co_u32_e32 v47, vcc, v3, v47, vcc
	;; [unrolled: 3-line block ×3, first 2 shown]
	v_add_co_u32_e32 v50, vcc, s6, v50
	v_addc_co_u32_e32 v51, vcc, v3, v51, vcc
	global_load_dword v3, v[44:45], off
	global_load_dword v7, v[46:47], off
	;; [unrolled: 1-line block ×4, first 2 shown]
	s_waitcnt vmcnt(7)
	v_lshrrev_b16_e32 v44, 8, v31
	v_ashrrev_i32_e32 v45, 24, v31
	v_bfe_i32 v46, v31, 0, 8
	v_bfe_i32 v31, v31, 16, 8
	s_waitcnt vmcnt(6)
	v_lshrrev_b16_e32 v47, 8, v35
	s_waitcnt vmcnt(5)
	v_bfe_i32 v48, v39, 8, 8
	v_add_co_u32_e32 v20, vcc, s18, v20
	v_addc_co_u32_e32 v21, vcc, 0, v21, vcc
	v_add_co_u32_e32 v5, vcc, 0x80, v5
	v_addc_co_u32_e32 v6, vcc, 0, v6, vcc
	s_waitcnt vmcnt(3)
	v_lshrrev_b16_e32 v49, 8, v3
	v_ashrrev_i32_e32 v50, 24, v3
	v_bfe_i32 v51, v3, 0, 8
	v_bfe_i32 v54, v3, 16, 8
	v_dot4_i32_i8 v0, v3, v28, v0
	v_dot4_i32_i8 v1, v3, v29, v1
	;; [unrolled: 1-line block ×3, first 2 shown]
	s_waitcnt vmcnt(2)
	v_lshrrev_b16_e32 v3, 8, v7
	v_mul_i32_i24_sdwa v29, sext(v35), sext(v7) dst_sel:DWORD dst_unused:UNUSED_PAD src0_sel:BYTE_2 src1_sel:BYTE_2
	v_mul_i32_i24_sdwa v30, sext(v35), sext(v7) dst_sel:DWORD dst_unused:UNUSED_PAD src0_sel:BYTE_3 src1_sel:BYTE_3
	v_mul_i32_i24_sdwa v28, sext(v35), sext(v7) dst_sel:DWORD dst_unused:UNUSED_PAD src0_sel:BYTE_0 src1_sel:BYTE_0
	v_mul_i32_i24_sdwa v44, sext(v44), sext(v49) dst_sel:DWORD dst_unused:UNUSED_PAD src0_sel:BYTE_0 src1_sel:BYTE_0
	v_dot4_i32_i8 v0, v7, v32, v0
	v_dot4_i32_i8 v1, v7, v33, v1
	;; [unrolled: 1-line block ×3, first 2 shown]
	v_mul_i32_i24_sdwa v3, sext(v47), sext(v3) dst_sel:DWORD dst_unused:UNUSED_PAD src0_sel:BYTE_0 src1_sel:BYTE_0
	v_mad_i32_i24 v7, v31, v54, v29
	v_mad_i32_i24 v29, v45, v50, v30
	s_waitcnt vmcnt(1)
	v_bfe_i32 v35, v52, 8, 8
	v_mul_i32_i24_sdwa v56, sext(v39), sext(v52) dst_sel:DWORD dst_unused:UNUSED_PAD src0_sel:BYTE_2 src1_sel:BYTE_2
	v_mad_i32_i24 v28, v46, v51, v28
	v_add3_u32 v3, v44, v3, v29
	v_mul_i32_i24_sdwa v55, sext(v52), sext(v39) dst_sel:DWORD dst_unused:UNUSED_PAD src0_sel:BYTE_0 src1_sel:BYTE_0
	v_mad_i32_i24 v30, v35, v48, v56
	v_add3_u32 v3, v28, v7, v3
	v_mul_i32_i24_sdwa v39, sext(v39), sext(v52) dst_sel:DWORD dst_unused:UNUSED_PAD src0_sel:BYTE_3 src1_sel:BYTE_3
	v_add3_u32 v3, v3, v55, v30
	v_dot4_i32_i8 v0, v52, v36, v0
	v_dot4_i32_i8 v1, v37, v52, v1
	;; [unrolled: 1-line block ×3, first 2 shown]
	v_add3_u32 v3, v3, v4, v39
	s_waitcnt vmcnt(0)
	v_dot4_i32_i8 v2, v53, v42, v2
	v_dot4_i32_i8 v1, v53, v41, v1
	;; [unrolled: 1-line block ×4, first 2 shown]
	s_andn2_b64 exec, exec, s[14:15]
	s_cbranch_execnz .LBB70_23
; %bb.24:
	s_or_b64 exec, exec, s[14:15]
	v_mov_b32_e32 v3, v4
.LBB70_25:
	s_or_b64 exec, exec, s[10:11]
	v_and_b32_e32 v5, 3, v27
	v_mov_b32_e32 v6, 0
	v_cmp_ne_u64_e32 vcc, 0, v[5:6]
	s_mov_b64 s[10:11], 0
	s_and_saveexec_b64 s[2:3], vcc
	s_cbranch_execz .LBB70_29
; %bb.26:
	v_lshlrev_b64 v[22:23], 3, v[22:23]
	v_mov_b32_e32 v4, s13
	v_add_co_u32_e32 v22, vcc, s12, v22
	v_addc_co_u32_e32 v23, vcc, v4, v23, vcc
	v_lshlrev_b32_e32 v5, 1, v5
	v_mov_b32_e32 v4, s7
.LBB70_27:                              ; =>This Inner Loop Header: Depth=1
	global_load_dwordx2 v[24:25], v[22:23], off
	global_load_dwordx4 v[27:30], v[20:21], off
	s_waitcnt vmcnt(1)
	v_sub_co_u32_e32 v24, vcc, v24, v10
	v_subb_co_u32_e32 v25, vcc, v25, v11, vcc
	v_lshlrev_b64 v[24:25], 2, v[24:25]
	v_add_co_u32_e32 v24, vcc, s6, v24
	v_addc_co_u32_e32 v25, vcc, v4, v25, vcc
	global_load_dword v7, v[24:25], off
	v_add_co_u32_e32 v20, vcc, 64, v20
	v_addc_co_u32_e32 v21, vcc, 0, v21, vcc
	v_add_co_u32_e32 v22, vcc, 32, v22
	v_addc_co_u32_e32 v23, vcc, 0, v23, vcc
	v_add_co_u32_e32 v5, vcc, -2, v5
	v_addc_co_u32_e32 v6, vcc, -1, v6, vcc
	v_cmp_eq_u64_e32 vcc, 0, v[5:6]
	s_or_b64 s[10:11], vcc, s[10:11]
	s_waitcnt vmcnt(0)
	v_dot4_i32_i8 v3, v7, v30, v3
	v_dot4_i32_i8 v2, v7, v29, v2
	;; [unrolled: 1-line block ×4, first 2 shown]
	s_andn2_b64 exec, exec, s[10:11]
	s_cbranch_execnz .LBB70_27
; %bb.28:
	s_or_b64 exec, exec, s[10:11]
	v_mov_b32_e32 v4, v3
.LBB70_29:
	s_or_b64 exec, exec, s[2:3]
.LBB70_30:
	s_or_b64 exec, exec, s[8:9]
	s_cbranch_execz .LBB70_32
	s_branch .LBB70_43
.LBB70_31:
                                        ; implicit-def: $vgpr4
                                        ; implicit-def: $vgpr2
.LBB70_32:
	v_mov_b32_e32 v4, 0
	v_mov_b32_e32 v2, 0
	;; [unrolled: 1-line block ×4, first 2 shown]
	s_and_saveexec_b64 s[2:3], s[0:1]
	s_cbranch_execz .LBB70_42
; %bb.33:
	v_or_b32_e32 v0, 4, v26
	v_sub_co_u32_e32 v0, vcc, v0, v10
	v_subb_co_u32_e32 v1, vcc, 0, v11, vcc
	v_add_co_u32_e32 v0, vcc, v0, v16
	v_addc_co_u32_e32 v1, vcc, v1, v17, vcc
	v_cmp_gt_i64_e32 vcc, v[0:1], v[18:19]
	v_not_b32_e32 v3, v16
	v_cndmask_b32_e32 v1, v19, v1, vcc
	v_cndmask_b32_e32 v0, v18, v0, vcc
	v_sub_co_u32_e32 v4, vcc, v10, v26
	v_subbrev_co_u32_e32 v5, vcc, 0, v11, vcc
	v_not_b32_e32 v2, v17
	v_add_co_u32_e32 v3, vcc, v4, v3
	v_addc_co_u32_e32 v2, vcc, v5, v2, vcc
	v_add_co_u32_e32 v0, vcc, v3, v0
	v_addc_co_u32_e32 v1, vcc, v2, v1, vcc
	v_lshrrev_b64 v[2:3], 2, v[0:1]
	v_mov_b32_e32 v4, 0
	v_add_co_u32_e32 v18, vcc, 1, v2
	v_addc_co_u32_e32 v17, vcc, 0, v3, vcc
	v_cmp_lt_u64_e32 vcc, 11, v[0:1]
	v_mov_b32_e32 v5, v4
	v_mov_b32_e32 v6, v4
	;; [unrolled: 1-line block ×7, first 2 shown]
	s_and_saveexec_b64 s[8:9], vcc
	s_cbranch_execz .LBB70_37
; %bb.34:
	v_lshlrev_b64 v[0:1], 3, v[14:15]
	v_mov_b32_e32 v2, s13
	v_add_co_u32_e32 v0, vcc, s12, v0
	v_addc_co_u32_e32 v1, vcc, v2, v1, vcc
	v_add_co_u32_e32 v5, vcc, 64, v0
	v_and_b32_e32 v16, -4, v18
	v_addc_co_u32_e32 v6, vcc, 0, v1, vcc
	s_mov_b64 s[10:11], 0
	s_mov_b32 s14, 0xc04000c
	s_mov_b32 s15, 0xc0c0c00
	;; [unrolled: 1-line block ×19, first 2 shown]
	s_movk_i32 s36, 0x100
	v_mov_b32_e32 v2, 0
	v_mov_b32_e32 v1, 0
	;; [unrolled: 1-line block ×3, first 2 shown]
.LBB70_35:                              ; =>This Inner Loop Header: Depth=1
	global_load_dwordx4 v[19:22], v[12:13], off
	global_load_dwordx2 v[23:24], v[5:6], off offset:-64
	global_load_dwordx2 v[39:40], v[5:6], off offset:-32
	global_load_dwordx2 v[41:42], v[5:6], off
	global_load_dwordx2 v[43:44], v[5:6], off offset:32
	global_load_dwordx4 v[27:30], v[12:13], off offset:64
	global_load_dwordx4 v[31:34], v[12:13], off offset:128
	;; [unrolled: 1-line block ×3, first 2 shown]
	v_add_co_u32_e32 v12, vcc, s36, v12
	s_mov_b64 s[0:1], vcc
	v_add_co_u32_e32 v14, vcc, 16, v14
	v_addc_co_u32_e32 v15, vcc, 0, v15, vcc
	v_add_co_u32_e32 v16, vcc, -4, v16
	v_addc_co_u32_e32 v17, vcc, -1, v17, vcc
	v_add_co_u32_e32 v5, vcc, 0x80, v5
	v_addc_co_u32_e32 v6, vcc, 0, v6, vcc
	v_mov_b32_e32 v3, s7
	v_addc_co_u32_e64 v13, s[0:1], 0, v13, s[0:1]
	v_cmp_eq_u64_e64 s[0:1], 0, v[16:17]
	s_or_b64 s[10:11], s[0:1], s[10:11]
	s_waitcnt vmcnt(7)
	v_perm_b32 v7, v21, v20, s14
	s_waitcnt vmcnt(6)
	v_sub_co_u32_e32 v23, vcc, v23, v10
	v_subb_co_u32_e32 v24, vcc, v24, v11, vcc
	s_waitcnt vmcnt(5)
	v_sub_co_u32_e32 v39, vcc, v39, v10
	v_subb_co_u32_e32 v40, vcc, v40, v11, vcc
	;; [unrolled: 3-line block ×3, first 2 shown]
	s_waitcnt vmcnt(3)
	v_sub_co_u32_e32 v43, vcc, v43, v10
	v_lshlrev_b64 v[23:24], 2, v[23:24]
	v_subb_co_u32_e32 v44, vcc, v44, v11, vcc
	v_lshlrev_b64 v[39:40], 2, v[39:40]
	v_add_co_u32_e32 v23, vcc, s6, v23
	v_addc_co_u32_e32 v24, vcc, v3, v24, vcc
	v_lshlrev_b64 v[41:42], 2, v[41:42]
	v_add_co_u32_e32 v39, vcc, s6, v39
	v_addc_co_u32_e32 v40, vcc, v3, v40, vcc
	;; [unrolled: 3-line block ×3, first 2 shown]
	v_add_co_u32_e32 v43, vcc, s6, v43
	v_addc_co_u32_e32 v44, vcc, v3, v44, vcc
	global_load_dword v3, v[23:24], off
	global_load_dword v45, v[39:40], off
	;; [unrolled: 1-line block ×4, first 2 shown]
	v_perm_b32 v23, v21, v20, s19
	v_perm_b32 v39, v21, v20, s21
	;; [unrolled: 1-line block ×3, first 2 shown]
	s_waitcnt vmcnt(6)
	v_perm_b32 v21, v27, v22, s25
	v_perm_b32 v41, v27, v22, s28
	v_perm_b32 v42, v27, v22, s30
	v_perm_b32 v22, v27, v22, s33
	v_perm_b32 v27, v29, v28, s26
	v_perm_b32 v43, v29, v28, s29
	v_perm_b32 v44, v29, v28, s31
	v_perm_b32 v28, v29, v28, s34
	s_waitcnt vmcnt(5)
	v_perm_b32 v29, v31, v30, s25
	v_perm_b32 v48, v31, v30, s28
	;; [unrolled: 1-line block ×4, first 2 shown]
	v_lshrrev_b32_e32 v31, 16, v34
	s_waitcnt vmcnt(4)
	v_perm_b32 v53, v36, v35, s33
	v_perm_b32 v55, v36, v35, s30
	;; [unrolled: 1-line block ×9, first 2 shown]
	v_or_b32_e32 v35, v36, v35
	v_ashrrev_i16_e32 v36, 8, v31
	v_bfe_i32 v31, v31, 0, 8
	v_or_b32_e32 v7, v7, v25
	v_or_b32_e32 v23, v23, v24
	;; [unrolled: 1-line block ×4, first 2 shown]
	v_perm_b32 v31, v36, v31, s35
	v_perm_b32 v50, v33, v32, s26
	;; [unrolled: 1-line block ×5, first 2 shown]
	v_ashrrev_i16_e32 v33, 8, v34
	v_bfe_i32 v34, v34, 0, 8
	v_or_b32_e32 v20, v27, v21
	v_or_b32_e32 v21, v43, v41
	;; [unrolled: 1-line block ×4, first 2 shown]
	v_perm_b32 v54, v38, v37, s34
	v_perm_b32 v56, v38, v37, s31
	;; [unrolled: 1-line block ×3, first 2 shown]
	v_or_b32_e32 v27, v50, v29
	v_or_b32_e32 v28, v51, v48
	;; [unrolled: 1-line block ×4, first 2 shown]
	v_perm_b32 v32, v33, v34, s35
	v_or_b32_e32 v33, v54, v53
	v_or_b32_e32 v34, v56, v55
	;; [unrolled: 1-line block ×3, first 2 shown]
	s_waitcnt vmcnt(3)
	v_perm_b32 v36, v3, v3, s18
	s_waitcnt vmcnt(2)
	v_perm_b32 v3, v45, v3, s27
	s_waitcnt vmcnt(1)
	v_lshrrev_b32_e32 v39, 24, v46
	v_dot4_i32_i8 v0, v36, v7, v0
	v_dot4_i32_i8 v1, v23, v36, v1
	;; [unrolled: 1-line block ×4, first 2 shown]
	v_perm_b32 v38, v46, v45, s27
	v_bfe_i32 v7, v39, 0, 8
	v_dot4_i32_i8 v0, v3, v20, v0
	v_dot4_i32_i8 v1, v21, v3, v1
	;; [unrolled: 1-line block ×4, first 2 shown]
	v_pk_mul_lo_u16 v4, v7, v32 op_sel_hi:[0,1]
	v_pk_mul_lo_u16 v7, v7, v31 op_sel_hi:[0,1]
	v_dot4_i32_i8 v0, v38, v27, v0
	v_dot4_i32_i8 v1, v28, v38, v1
	;; [unrolled: 1-line block ×4, first 2 shown]
	v_add_u32_sdwa v0, v0, sext(v4) dst_sel:DWORD dst_unused:UNUSED_PAD src0_sel:DWORD src1_sel:WORD_0
	v_add_u32_sdwa v1, v1, sext(v4) dst_sel:DWORD dst_unused:UNUSED_PAD src0_sel:DWORD src1_sel:WORD_1
	v_add_u32_sdwa v2, v2, sext(v7) dst_sel:DWORD dst_unused:UNUSED_PAD src0_sel:DWORD src1_sel:WORD_0
	v_add_u32_sdwa v3, v3, sext(v7) dst_sel:DWORD dst_unused:UNUSED_PAD src0_sel:DWORD src1_sel:WORD_1
	s_waitcnt vmcnt(0)
	v_dot4_i32_i8 v4, v47, v33, v3
	v_dot4_i32_i8 v2, v47, v34, v2
	;; [unrolled: 1-line block ×4, first 2 shown]
	s_andn2_b64 exec, exec, s[10:11]
	s_cbranch_execnz .LBB70_35
; %bb.36:
	s_or_b64 exec, exec, s[10:11]
	v_mov_b32_e32 v3, v4
.LBB70_37:
	s_or_b64 exec, exec, s[8:9]
	v_and_b32_e32 v5, 3, v18
	v_mov_b32_e32 v6, 0
	v_cmp_ne_u64_e32 vcc, 0, v[5:6]
	s_mov_b64 s[8:9], 0
	s_and_saveexec_b64 s[0:1], vcc
	s_cbranch_execz .LBB70_41
; %bb.38:
	v_lshlrev_b64 v[14:15], 3, v[14:15]
	v_mov_b32_e32 v4, s13
	v_add_co_u32_e32 v14, vcc, s12, v14
	v_addc_co_u32_e32 v15, vcc, v4, v15, vcc
	v_lshlrev_b32_e32 v5, 1, v5
	v_mov_b32_e32 v4, s7
	s_mov_b32 s7, 0xc0c0703
	s_mov_b32 s10, 0x7030c0c
	;; [unrolled: 1-line block ×8, first 2 shown]
.LBB70_39:                              ; =>This Inner Loop Header: Depth=1
	global_load_dwordx2 v[20:21], v[14:15], off
	global_load_dwordx4 v[16:19], v[12:13], off
	s_waitcnt vmcnt(1)
	v_sub_co_u32_e32 v20, vcc, v20, v10
	v_subb_co_u32_e32 v21, vcc, v21, v11, vcc
	v_lshlrev_b64 v[20:21], 2, v[20:21]
	s_waitcnt vmcnt(0)
	v_perm_b32 v22, v17, v16, s11
	v_add_co_u32_e32 v20, vcc, s6, v20
	v_addc_co_u32_e32 v21, vcc, v4, v21, vcc
	global_load_dword v7, v[20:21], off
	v_add_co_u32_e32 v12, vcc, 64, v12
	v_addc_co_u32_e32 v13, vcc, 0, v13, vcc
	v_add_co_u32_e32 v14, vcc, 32, v14
	v_addc_co_u32_e32 v15, vcc, 0, v15, vcc
	v_add_co_u32_e32 v5, vcc, -2, v5
	v_addc_co_u32_e32 v6, vcc, -1, v6, vcc
	v_cmp_eq_u64_e32 vcc, 0, v[5:6]
	v_perm_b32 v20, v17, v16, s7
	v_perm_b32 v21, v19, v18, s10
	v_perm_b32 v23, v19, v18, s12
	v_perm_b32 v24, v17, v16, s13
	v_perm_b32 v25, v19, v18, s14
	v_perm_b32 v16, v17, v16, s15
	v_perm_b32 v17, v19, v18, s18
	v_or_b32_e32 v18, v21, v20
	v_or_b32_e32 v19, v23, v22
	;; [unrolled: 1-line block ×4, first 2 shown]
	s_or_b64 s[8:9], vcc, s[8:9]
	s_waitcnt vmcnt(0)
	v_dot4_i32_i8 v3, v7, v18, v3
	v_dot4_i32_i8 v2, v7, v19, v2
	;; [unrolled: 1-line block ×4, first 2 shown]
	s_andn2_b64 exec, exec, s[8:9]
	s_cbranch_execnz .LBB70_39
; %bb.40:
	s_or_b64 exec, exec, s[8:9]
	v_mov_b32_e32 v4, v3
.LBB70_41:
	s_or_b64 exec, exec, s[0:1]
.LBB70_42:
	s_or_b64 exec, exec, s[2:3]
.LBB70_43:
	v_mov_b32_dpp v3, v0 row_shr:1 row_mask:0xf bank_mask:0xf
	v_mov_b32_dpp v5, v1 row_shr:1 row_mask:0xf bank_mask:0xf
	;; [unrolled: 1-line block ×4, first 2 shown]
	v_add_u32_e32 v0, v3, v0
	v_add_u32_e32 v1, v5, v1
	;; [unrolled: 1-line block ×4, first 2 shown]
	v_mov_b32_dpp v3, v0 row_shr:2 row_mask:0xf bank_mask:0xf
	v_mov_b32_dpp v5, v1 row_shr:2 row_mask:0xf bank_mask:0xf
	;; [unrolled: 1-line block ×4, first 2 shown]
	v_cmp_eq_u32_e32 vcc, 3, v26
	s_and_b64 exec, exec, vcc
	s_cbranch_execz .LBB70_14
; %bb.44:
	s_load_dwordx2 s[0:1], s[4:5], 0x58
	v_add_u32_e32 v0, v0, v3
	v_add_u32_e32 v1, v1, v5
	;; [unrolled: 1-line block ×4, first 2 shown]
	v_mul_lo_u32 v0, v0, s16
	v_mul_lo_u32 v1, v1, s16
	;; [unrolled: 1-line block ×4, first 2 shown]
	v_lshlrev_b64 v[4:5], 4, v[8:9]
	s_cmp_eq_u32 s17, 0
	s_cbranch_scc1 .LBB70_46
; %bb.45:
	s_waitcnt lgkmcnt(0)
	v_mov_b32_e32 v6, s1
	v_add_co_u32_e32 v14, vcc, s0, v4
	v_addc_co_u32_e32 v15, vcc, v6, v5, vcc
	global_load_dwordx4 v[6:9], v[14:15], off
	s_waitcnt vmcnt(0)
	v_mad_u64_u32 v[10:11], s[2:3], v6, s17, v[0:1]
	v_mad_u64_u32 v[16:17], s[2:3], v9, s17, v[3:4]
	;; [unrolled: 1-line block ×4, first 2 shown]
	v_mov_b32_e32 v13, v16
	global_store_dwordx4 v[14:15], v[10:13], off
	s_cbranch_execnz .LBB70_14
	s_branch .LBB70_47
.LBB70_46:
.LBB70_47:
	s_waitcnt lgkmcnt(0)
	v_mov_b32_e32 v6, s1
	v_add_co_u32_e32 v4, vcc, s0, v4
	v_addc_co_u32_e32 v5, vcc, v6, v5, vcc
	global_store_dwordx4 v[4:5], v[0:3], off
	s_endpgm
	.section	.rodata,"a",@progbits
	.p2align	6, 0x0
	.amdhsa_kernel _ZN9rocsparseL18bsrxmvn_4x4_kernelILj128ELj4EillaaiEEvT3_20rocsparse_direction_NS_24const_host_device_scalarIT1_EES1_PKS1_PKT2_SA_S7_PKT4_PKT5_S5_PT6_21rocsparse_index_base_b
		.amdhsa_group_segment_fixed_size 0
		.amdhsa_private_segment_fixed_size 0
		.amdhsa_kernarg_size 104
		.amdhsa_user_sgpr_count 6
		.amdhsa_user_sgpr_private_segment_buffer 1
		.amdhsa_user_sgpr_dispatch_ptr 0
		.amdhsa_user_sgpr_queue_ptr 0
		.amdhsa_user_sgpr_kernarg_segment_ptr 1
		.amdhsa_user_sgpr_dispatch_id 0
		.amdhsa_user_sgpr_flat_scratch_init 0
		.amdhsa_user_sgpr_private_segment_size 0
		.amdhsa_uses_dynamic_stack 0
		.amdhsa_system_sgpr_private_segment_wavefront_offset 0
		.amdhsa_system_sgpr_workgroup_id_x 1
		.amdhsa_system_sgpr_workgroup_id_y 0
		.amdhsa_system_sgpr_workgroup_id_z 0
		.amdhsa_system_sgpr_workgroup_info 0
		.amdhsa_system_vgpr_workitem_id 0
		.amdhsa_next_free_vgpr 59
		.amdhsa_next_free_sgpr 37
		.amdhsa_reserve_vcc 1
		.amdhsa_reserve_flat_scratch 0
		.amdhsa_float_round_mode_32 0
		.amdhsa_float_round_mode_16_64 0
		.amdhsa_float_denorm_mode_32 3
		.amdhsa_float_denorm_mode_16_64 3
		.amdhsa_dx10_clamp 1
		.amdhsa_ieee_mode 1
		.amdhsa_fp16_overflow 0
		.amdhsa_exception_fp_ieee_invalid_op 0
		.amdhsa_exception_fp_denorm_src 0
		.amdhsa_exception_fp_ieee_div_zero 0
		.amdhsa_exception_fp_ieee_overflow 0
		.amdhsa_exception_fp_ieee_underflow 0
		.amdhsa_exception_fp_ieee_inexact 0
		.amdhsa_exception_int_div_zero 0
	.end_amdhsa_kernel
	.section	.text._ZN9rocsparseL18bsrxmvn_4x4_kernelILj128ELj4EillaaiEEvT3_20rocsparse_direction_NS_24const_host_device_scalarIT1_EES1_PKS1_PKT2_SA_S7_PKT4_PKT5_S5_PT6_21rocsparse_index_base_b,"axG",@progbits,_ZN9rocsparseL18bsrxmvn_4x4_kernelILj128ELj4EillaaiEEvT3_20rocsparse_direction_NS_24const_host_device_scalarIT1_EES1_PKS1_PKT2_SA_S7_PKT4_PKT5_S5_PT6_21rocsparse_index_base_b,comdat
.Lfunc_end70:
	.size	_ZN9rocsparseL18bsrxmvn_4x4_kernelILj128ELj4EillaaiEEvT3_20rocsparse_direction_NS_24const_host_device_scalarIT1_EES1_PKS1_PKT2_SA_S7_PKT4_PKT5_S5_PT6_21rocsparse_index_base_b, .Lfunc_end70-_ZN9rocsparseL18bsrxmvn_4x4_kernelILj128ELj4EillaaiEEvT3_20rocsparse_direction_NS_24const_host_device_scalarIT1_EES1_PKS1_PKT2_SA_S7_PKT4_PKT5_S5_PT6_21rocsparse_index_base_b
                                        ; -- End function
	.set _ZN9rocsparseL18bsrxmvn_4x4_kernelILj128ELj4EillaaiEEvT3_20rocsparse_direction_NS_24const_host_device_scalarIT1_EES1_PKS1_PKT2_SA_S7_PKT4_PKT5_S5_PT6_21rocsparse_index_base_b.num_vgpr, 59
	.set _ZN9rocsparseL18bsrxmvn_4x4_kernelILj128ELj4EillaaiEEvT3_20rocsparse_direction_NS_24const_host_device_scalarIT1_EES1_PKS1_PKT2_SA_S7_PKT4_PKT5_S5_PT6_21rocsparse_index_base_b.num_agpr, 0
	.set _ZN9rocsparseL18bsrxmvn_4x4_kernelILj128ELj4EillaaiEEvT3_20rocsparse_direction_NS_24const_host_device_scalarIT1_EES1_PKS1_PKT2_SA_S7_PKT4_PKT5_S5_PT6_21rocsparse_index_base_b.numbered_sgpr, 37
	.set _ZN9rocsparseL18bsrxmvn_4x4_kernelILj128ELj4EillaaiEEvT3_20rocsparse_direction_NS_24const_host_device_scalarIT1_EES1_PKS1_PKT2_SA_S7_PKT4_PKT5_S5_PT6_21rocsparse_index_base_b.num_named_barrier, 0
	.set _ZN9rocsparseL18bsrxmvn_4x4_kernelILj128ELj4EillaaiEEvT3_20rocsparse_direction_NS_24const_host_device_scalarIT1_EES1_PKS1_PKT2_SA_S7_PKT4_PKT5_S5_PT6_21rocsparse_index_base_b.private_seg_size, 0
	.set _ZN9rocsparseL18bsrxmvn_4x4_kernelILj128ELj4EillaaiEEvT3_20rocsparse_direction_NS_24const_host_device_scalarIT1_EES1_PKS1_PKT2_SA_S7_PKT4_PKT5_S5_PT6_21rocsparse_index_base_b.uses_vcc, 1
	.set _ZN9rocsparseL18bsrxmvn_4x4_kernelILj128ELj4EillaaiEEvT3_20rocsparse_direction_NS_24const_host_device_scalarIT1_EES1_PKS1_PKT2_SA_S7_PKT4_PKT5_S5_PT6_21rocsparse_index_base_b.uses_flat_scratch, 0
	.set _ZN9rocsparseL18bsrxmvn_4x4_kernelILj128ELj4EillaaiEEvT3_20rocsparse_direction_NS_24const_host_device_scalarIT1_EES1_PKS1_PKT2_SA_S7_PKT4_PKT5_S5_PT6_21rocsparse_index_base_b.has_dyn_sized_stack, 0
	.set _ZN9rocsparseL18bsrxmvn_4x4_kernelILj128ELj4EillaaiEEvT3_20rocsparse_direction_NS_24const_host_device_scalarIT1_EES1_PKS1_PKT2_SA_S7_PKT4_PKT5_S5_PT6_21rocsparse_index_base_b.has_recursion, 0
	.set _ZN9rocsparseL18bsrxmvn_4x4_kernelILj128ELj4EillaaiEEvT3_20rocsparse_direction_NS_24const_host_device_scalarIT1_EES1_PKS1_PKT2_SA_S7_PKT4_PKT5_S5_PT6_21rocsparse_index_base_b.has_indirect_call, 0
	.section	.AMDGPU.csdata,"",@progbits
; Kernel info:
; codeLenInByte = 3456
; TotalNumSgprs: 41
; NumVgprs: 59
; ScratchSize: 0
; MemoryBound: 0
; FloatMode: 240
; IeeeMode: 1
; LDSByteSize: 0 bytes/workgroup (compile time only)
; SGPRBlocks: 5
; VGPRBlocks: 14
; NumSGPRsForWavesPerEU: 41
; NumVGPRsForWavesPerEU: 59
; Occupancy: 4
; WaveLimiterHint : 1
; COMPUTE_PGM_RSRC2:SCRATCH_EN: 0
; COMPUTE_PGM_RSRC2:USER_SGPR: 6
; COMPUTE_PGM_RSRC2:TRAP_HANDLER: 0
; COMPUTE_PGM_RSRC2:TGID_X_EN: 1
; COMPUTE_PGM_RSRC2:TGID_Y_EN: 0
; COMPUTE_PGM_RSRC2:TGID_Z_EN: 0
; COMPUTE_PGM_RSRC2:TIDIG_COMP_CNT: 0
	.section	.text._ZN9rocsparseL18bsrxmvn_4x4_kernelILj128ELj8EillaaiEEvT3_20rocsparse_direction_NS_24const_host_device_scalarIT1_EES1_PKS1_PKT2_SA_S7_PKT4_PKT5_S5_PT6_21rocsparse_index_base_b,"axG",@progbits,_ZN9rocsparseL18bsrxmvn_4x4_kernelILj128ELj8EillaaiEEvT3_20rocsparse_direction_NS_24const_host_device_scalarIT1_EES1_PKS1_PKT2_SA_S7_PKT4_PKT5_S5_PT6_21rocsparse_index_base_b,comdat
	.globl	_ZN9rocsparseL18bsrxmvn_4x4_kernelILj128ELj8EillaaiEEvT3_20rocsparse_direction_NS_24const_host_device_scalarIT1_EES1_PKS1_PKT2_SA_S7_PKT4_PKT5_S5_PT6_21rocsparse_index_base_b ; -- Begin function _ZN9rocsparseL18bsrxmvn_4x4_kernelILj128ELj8EillaaiEEvT3_20rocsparse_direction_NS_24const_host_device_scalarIT1_EES1_PKS1_PKT2_SA_S7_PKT4_PKT5_S5_PT6_21rocsparse_index_base_b
	.p2align	8
	.type	_ZN9rocsparseL18bsrxmvn_4x4_kernelILj128ELj8EillaaiEEvT3_20rocsparse_direction_NS_24const_host_device_scalarIT1_EES1_PKS1_PKT2_SA_S7_PKT4_PKT5_S5_PT6_21rocsparse_index_base_b,@function
_ZN9rocsparseL18bsrxmvn_4x4_kernelILj128ELj8EillaaiEEvT3_20rocsparse_direction_NS_24const_host_device_scalarIT1_EES1_PKS1_PKT2_SA_S7_PKT4_PKT5_S5_PT6_21rocsparse_index_base_b: ; @_ZN9rocsparseL18bsrxmvn_4x4_kernelILj128ELj8EillaaiEEvT3_20rocsparse_direction_NS_24const_host_device_scalarIT1_EES1_PKS1_PKT2_SA_S7_PKT4_PKT5_S5_PT6_21rocsparse_index_base_b
; %bb.0:
	s_load_dwordx2 s[8:9], s[4:5], 0x60
	s_load_dwordx4 s[0:3], s[4:5], 0x10
	s_mov_b64 s[14:15], -1
                                        ; implicit-def: $sgpr16
	s_waitcnt lgkmcnt(0)
	s_bitcmp1_b32 s9, 0
	s_cselect_b64 s[10:11], -1, 0
	s_xor_b64 s[12:13], s[10:11], -1
	s_and_b64 vcc, exec, s[12:13]
	s_cbranch_vccnz .LBB71_4
; %bb.1:
	s_load_dwordx2 s[10:11], s[4:5], 0x50
	s_andn2_b64 vcc, exec, s[14:15]
	s_cbranch_vccz .LBB71_5
.LBB71_2:
	s_and_b64 vcc, exec, s[12:13]
	s_cbranch_vccz .LBB71_6
.LBB71_3:
	s_waitcnt lgkmcnt(0)
	s_load_dword s17, s[10:11], 0x0
	s_cbranch_execz .LBB71_7
	s_branch .LBB71_8
.LBB71_4:
	s_load_dword s16, s[0:1], 0x0
	s_load_dwordx2 s[10:11], s[4:5], 0x50
	s_cbranch_execnz .LBB71_2
.LBB71_5:
	s_waitcnt lgkmcnt(0)
	s_mov_b32 s16, s0
	s_and_b64 vcc, exec, s[12:13]
	s_cbranch_vccnz .LBB71_3
.LBB71_6:
                                        ; implicit-def: $sgpr17
.LBB71_7:
	s_waitcnt lgkmcnt(0)
	s_mov_b32 s17, s10
.LBB71_8:
	s_waitcnt lgkmcnt(0)
	s_cmp_lg_u32 s16, 0
	s_cselect_b64 s[0:1], -1, 0
	s_cmp_lg_u32 s17, 1
	s_cselect_b64 s[10:11], -1, 0
	s_or_b64 s[0:1], s[0:1], s[10:11]
	s_andn2_b64 vcc, exec, s[0:1]
	s_cbranch_vccnz .LBB71_14
; %bb.9:
	s_load_dwordx2 s[10:11], s[4:5], 0x20
	v_lshrrev_b32_e32 v1, 3, v0
	v_lshl_or_b32 v1, s6, 4, v1
	v_mov_b32_e32 v2, 0
	s_mov_b64 s[0:1], 0
	s_waitcnt lgkmcnt(0)
	s_cmp_lg_u64 s[10:11], 0
	s_cbranch_scc0 .LBB71_15
; %bb.10:
	v_cmp_gt_i64_e32 vcc, s[2:3], v[1:2]
                                        ; implicit-def: $vgpr8_vgpr9
                                        ; implicit-def: $vgpr10_vgpr11
	s_and_saveexec_b64 s[2:3], vcc
	s_xor_b64 s[2:3], exec, s[2:3]
	s_cbranch_execz .LBB71_12
; %bb.11:
	v_lshlrev_b64 v[3:4], 3, v[1:2]
	v_mov_b32_e32 v5, s11
	v_add_co_u32_e32 v3, vcc, s10, v3
	v_addc_co_u32_e32 v4, vcc, v5, v4, vcc
	global_load_dwordx2 v[3:4], v[3:4], off
	s_mov_b32 s9, 0
	v_mov_b32_e32 v11, s9
	s_mov_b64 s[0:1], exec
	v_mov_b32_e32 v10, s8
	s_waitcnt vmcnt(0)
	v_subrev_co_u32_e32 v8, vcc, s8, v3
	v_subbrev_co_u32_e32 v9, vcc, 0, v4, vcc
.LBB71_12:
	s_or_b64 exec, exec, s[2:3]
.LBB71_13:
	s_and_saveexec_b64 s[2:3], s[0:1]
	s_cbranch_execnz .LBB71_19
.LBB71_14:
	s_endpgm
.LBB71_15:
                                        ; implicit-def: $vgpr8_vgpr9
                                        ; implicit-def: $vgpr10_vgpr11
	s_cbranch_execz .LBB71_13
; %bb.16:
	s_load_dwordx2 s[2:3], s[4:5], 0x0
	s_waitcnt lgkmcnt(0)
	v_cmp_gt_i64_e32 vcc, s[2:3], v[1:2]
	s_and_saveexec_b64 s[2:3], vcc
; %bb.17:
	s_mov_b32 s9, 0
	s_or_b64 s[0:1], s[0:1], exec
; %bb.18:
	s_or_b64 exec, exec, s[2:3]
	v_mov_b32_e32 v11, s9
	v_mov_b32_e32 v9, v2
	;; [unrolled: 1-line block ×4, first 2 shown]
	s_and_saveexec_b64 s[2:3], s[0:1]
	s_cbranch_execz .LBB71_14
.LBB71_19:
	s_load_dwordx8 s[8:15], s[4:5], 0x28
	v_lshlrev_b64 v[1:2], 3, v[8:9]
	v_and_b32_e32 v26, 7, v0
	s_waitcnt lgkmcnt(0)
	v_mov_b32_e32 v4, s9
	v_add_co_u32_e32 v3, vcc, s8, v1
	v_addc_co_u32_e32 v4, vcc, v4, v2, vcc
	global_load_dwordx2 v[16:17], v[3:4], off
	v_add_co_u32_e32 v3, vcc, 8, v3
	v_addc_co_u32_e32 v4, vcc, 0, v4, vcc
	v_mov_b32_e32 v5, s11
	v_add_co_u32_e32 v1, vcc, s10, v1
	s_cmp_eq_u64 s[10:11], 0
	v_addc_co_u32_e32 v2, vcc, v5, v2, vcc
	s_cselect_b64 vcc, -1, 0
	v_cndmask_b32_e32 v2, v2, v4, vcc
	v_cndmask_b32_e32 v1, v1, v3, vcc
	global_load_dwordx2 v[1:2], v[1:2], off
	s_load_dword s0, s[4:5], 0x8
	s_load_dwordx2 s[6:7], s[4:5], 0x48
	v_mov_b32_e32 v3, s15
	v_mov_b32_e32 v4, 0
	s_waitcnt lgkmcnt(0)
	s_cmp_eq_u32 s0, 1
	s_waitcnt vmcnt(1)
	v_sub_co_u32_e32 v0, vcc, v16, v10
	v_subb_co_u32_e32 v5, vcc, v17, v11, vcc
	v_add_co_u32_e32 v14, vcc, v0, v26
	v_addc_co_u32_e32 v15, vcc, 0, v5, vcc
	s_waitcnt vmcnt(0)
	v_sub_co_u32_e32 v18, vcc, v1, v10
	v_lshlrev_b64 v[0:1], 4, v[14:15]
	v_subb_co_u32_e32 v19, vcc, v2, v11, vcc
	v_cmp_lt_i64_e64 s[0:1], v[14:15], v[18:19]
	v_add_co_u32_e32 v12, vcc, s14, v0
	v_addc_co_u32_e32 v13, vcc, v3, v1, vcc
	s_cbranch_scc1 .LBB71_31
; %bb.20:
	v_mov_b32_e32 v2, 0
	v_mov_b32_e32 v1, 0
	;; [unrolled: 1-line block ×3, first 2 shown]
	s_and_saveexec_b64 s[8:9], s[0:1]
	s_cbranch_execz .LBB71_30
; %bb.21:
	v_or_b32_e32 v0, 8, v26
	v_sub_co_u32_e32 v0, vcc, v0, v10
	v_subb_co_u32_e32 v1, vcc, 0, v11, vcc
	v_add_co_u32_e32 v0, vcc, v0, v16
	v_addc_co_u32_e32 v1, vcc, v1, v17, vcc
	v_cmp_gt_i64_e32 vcc, v[0:1], v[18:19]
	v_not_b32_e32 v3, v16
	v_cndmask_b32_e32 v1, v19, v1, vcc
	v_cndmask_b32_e32 v0, v18, v0, vcc
	v_sub_co_u32_e32 v4, vcc, v10, v26
	v_subbrev_co_u32_e32 v5, vcc, 0, v11, vcc
	v_not_b32_e32 v2, v17
	v_add_co_u32_e32 v3, vcc, v4, v3
	v_addc_co_u32_e32 v2, vcc, v5, v2, vcc
	v_add_co_u32_e32 v0, vcc, v3, v0
	v_addc_co_u32_e32 v1, vcc, v2, v1, vcc
	v_lshrrev_b64 v[2:3], 3, v[0:1]
	v_mov_b32_e32 v4, 0
	v_add_co_u32_e32 v27, vcc, 1, v2
	v_addc_co_u32_e32 v25, vcc, 0, v3, vcc
	v_cmp_lt_u64_e32 vcc, 23, v[0:1]
	v_mov_b32_e32 v5, v4
	v_mov_b32_e32 v6, v4
	;; [unrolled: 1-line block ×11, first 2 shown]
	s_and_saveexec_b64 s[10:11], vcc
	s_cbranch_execz .LBB71_25
; %bb.22:
	v_lshlrev_b64 v[0:1], 3, v[14:15]
	v_mov_b32_e32 v2, s13
	v_add_co_u32_e32 v0, vcc, s12, v0
	v_addc_co_u32_e32 v1, vcc, v2, v1, vcc
	v_add_co_u32_e32 v5, vcc, 0x80, v0
	v_mov_b32_e32 v21, v13
	v_mov_b32_e32 v23, v15
	v_and_b32_e32 v24, -4, v27
	v_addc_co_u32_e32 v6, vcc, 0, v1, vcc
	s_mov_b64 s[14:15], 0
	s_movk_i32 s18, 0x200
	v_mov_b32_e32 v20, v12
	v_mov_b32_e32 v22, v14
	;; [unrolled: 1-line block ×5, first 2 shown]
.LBB71_23:                              ; =>This Inner Loop Header: Depth=1
	global_load_dwordx2 v[44:45], v[5:6], off offset:-128
	global_load_dwordx2 v[46:47], v[5:6], off offset:-64
	global_load_dwordx2 v[48:49], v[5:6], off
	global_load_dwordx2 v[50:51], v[5:6], off offset:64
	v_mov_b32_e32 v3, s7
	global_load_dwordx4 v[28:31], v[20:21], off
	global_load_dwordx4 v[32:35], v[20:21], off offset:128
	global_load_dwordx4 v[36:39], v[20:21], off offset:256
	;; [unrolled: 1-line block ×3, first 2 shown]
	v_add_co_u32_e64 v22, s[2:3], 32, v22
	v_addc_co_u32_e64 v23, s[2:3], 0, v23, s[2:3]
	v_add_co_u32_e64 v24, s[2:3], -4, v24
	v_addc_co_u32_e64 v25, s[2:3], -1, v25, s[2:3]
	v_cmp_eq_u64_e64 s[2:3], 0, v[24:25]
	s_or_b64 s[14:15], s[2:3], s[14:15]
	s_waitcnt vmcnt(7)
	v_sub_co_u32_e32 v44, vcc, v44, v10
	v_subb_co_u32_e32 v45, vcc, v45, v11, vcc
	s_waitcnt vmcnt(6)
	v_sub_co_u32_e32 v46, vcc, v46, v10
	v_subb_co_u32_e32 v47, vcc, v47, v11, vcc
	;; [unrolled: 3-line block ×3, first 2 shown]
	s_waitcnt vmcnt(4)
	v_sub_co_u32_e32 v50, vcc, v50, v10
	v_lshlrev_b64 v[44:45], 2, v[44:45]
	v_subb_co_u32_e32 v51, vcc, v51, v11, vcc
	v_lshlrev_b64 v[46:47], 2, v[46:47]
	v_add_co_u32_e32 v44, vcc, s6, v44
	v_addc_co_u32_e32 v45, vcc, v3, v45, vcc
	v_lshlrev_b64 v[48:49], 2, v[48:49]
	v_add_co_u32_e32 v46, vcc, s6, v46
	v_addc_co_u32_e32 v47, vcc, v3, v47, vcc
	;; [unrolled: 3-line block ×3, first 2 shown]
	v_add_co_u32_e32 v50, vcc, s6, v50
	v_addc_co_u32_e32 v51, vcc, v3, v51, vcc
	global_load_dword v3, v[44:45], off
	global_load_dword v7, v[46:47], off
	;; [unrolled: 1-line block ×4, first 2 shown]
	s_waitcnt vmcnt(7)
	v_lshrrev_b16_e32 v44, 8, v31
	v_ashrrev_i32_e32 v45, 24, v31
	v_bfe_i32 v46, v31, 0, 8
	v_bfe_i32 v31, v31, 16, 8
	s_waitcnt vmcnt(6)
	v_lshrrev_b16_e32 v47, 8, v35
	s_waitcnt vmcnt(5)
	v_bfe_i32 v48, v39, 8, 8
	v_add_co_u32_e32 v20, vcc, s18, v20
	v_addc_co_u32_e32 v21, vcc, 0, v21, vcc
	v_add_co_u32_e32 v5, vcc, 0x100, v5
	v_addc_co_u32_e32 v6, vcc, 0, v6, vcc
	s_waitcnt vmcnt(3)
	v_lshrrev_b16_e32 v49, 8, v3
	v_ashrrev_i32_e32 v50, 24, v3
	v_bfe_i32 v51, v3, 0, 8
	v_bfe_i32 v54, v3, 16, 8
	v_dot4_i32_i8 v0, v3, v28, v0
	v_dot4_i32_i8 v1, v3, v29, v1
	;; [unrolled: 1-line block ×3, first 2 shown]
	s_waitcnt vmcnt(2)
	v_lshrrev_b16_e32 v3, 8, v7
	v_mul_i32_i24_sdwa v29, sext(v35), sext(v7) dst_sel:DWORD dst_unused:UNUSED_PAD src0_sel:BYTE_2 src1_sel:BYTE_2
	v_mul_i32_i24_sdwa v30, sext(v35), sext(v7) dst_sel:DWORD dst_unused:UNUSED_PAD src0_sel:BYTE_3 src1_sel:BYTE_3
	v_mul_i32_i24_sdwa v28, sext(v35), sext(v7) dst_sel:DWORD dst_unused:UNUSED_PAD src0_sel:BYTE_0 src1_sel:BYTE_0
	v_mul_i32_i24_sdwa v44, sext(v44), sext(v49) dst_sel:DWORD dst_unused:UNUSED_PAD src0_sel:BYTE_0 src1_sel:BYTE_0
	v_dot4_i32_i8 v0, v7, v32, v0
	v_dot4_i32_i8 v1, v7, v33, v1
	;; [unrolled: 1-line block ×3, first 2 shown]
	v_mul_i32_i24_sdwa v3, sext(v47), sext(v3) dst_sel:DWORD dst_unused:UNUSED_PAD src0_sel:BYTE_0 src1_sel:BYTE_0
	v_mad_i32_i24 v7, v31, v54, v29
	v_mad_i32_i24 v29, v45, v50, v30
	s_waitcnt vmcnt(1)
	v_bfe_i32 v35, v52, 8, 8
	v_mul_i32_i24_sdwa v56, sext(v39), sext(v52) dst_sel:DWORD dst_unused:UNUSED_PAD src0_sel:BYTE_2 src1_sel:BYTE_2
	v_mad_i32_i24 v28, v46, v51, v28
	v_add3_u32 v3, v44, v3, v29
	v_mul_i32_i24_sdwa v55, sext(v52), sext(v39) dst_sel:DWORD dst_unused:UNUSED_PAD src0_sel:BYTE_0 src1_sel:BYTE_0
	v_mad_i32_i24 v30, v35, v48, v56
	v_add3_u32 v3, v28, v7, v3
	v_mul_i32_i24_sdwa v39, sext(v39), sext(v52) dst_sel:DWORD dst_unused:UNUSED_PAD src0_sel:BYTE_3 src1_sel:BYTE_3
	v_add3_u32 v3, v3, v55, v30
	v_dot4_i32_i8 v0, v52, v36, v0
	v_dot4_i32_i8 v1, v37, v52, v1
	v_dot4_i32_i8 v2, v38, v52, v2
	v_add3_u32 v3, v3, v4, v39
	s_waitcnt vmcnt(0)
	v_dot4_i32_i8 v2, v53, v42, v2
	v_dot4_i32_i8 v1, v53, v41, v1
	;; [unrolled: 1-line block ×4, first 2 shown]
	s_andn2_b64 exec, exec, s[14:15]
	s_cbranch_execnz .LBB71_23
; %bb.24:
	s_or_b64 exec, exec, s[14:15]
	v_mov_b32_e32 v3, v4
.LBB71_25:
	s_or_b64 exec, exec, s[10:11]
	v_and_b32_e32 v5, 3, v27
	v_mov_b32_e32 v6, 0
	v_cmp_ne_u64_e32 vcc, 0, v[5:6]
	s_mov_b64 s[14:15], 0
	s_and_saveexec_b64 s[10:11], vcc
	s_cbranch_execz .LBB71_29
; %bb.26:
	v_lshlrev_b64 v[22:23], 3, v[22:23]
	v_mov_b32_e32 v4, s13
	v_add_co_u32_e32 v22, vcc, s12, v22
	v_addc_co_u32_e32 v23, vcc, v4, v23, vcc
	v_lshlrev_b32_e32 v5, 1, v5
	v_mov_b32_e32 v4, s7
	s_movk_i32 s18, 0x80
.LBB71_27:                              ; =>This Inner Loop Header: Depth=1
	global_load_dwordx2 v[24:25], v[22:23], off
	global_load_dwordx4 v[27:30], v[20:21], off
	v_add_co_u32_e64 v22, s[2:3], 64, v22
	v_addc_co_u32_e64 v23, s[2:3], 0, v23, s[2:3]
	v_add_co_u32_e64 v5, s[2:3], -2, v5
	v_addc_co_u32_e64 v6, s[2:3], -1, v6, s[2:3]
	v_cmp_eq_u64_e64 s[2:3], 0, v[5:6]
	s_or_b64 s[14:15], s[2:3], s[14:15]
	s_waitcnt vmcnt(1)
	v_sub_co_u32_e32 v24, vcc, v24, v10
	v_subb_co_u32_e32 v25, vcc, v25, v11, vcc
	v_lshlrev_b64 v[24:25], 2, v[24:25]
	v_add_co_u32_e32 v24, vcc, s6, v24
	v_addc_co_u32_e32 v25, vcc, v4, v25, vcc
	global_load_dword v7, v[24:25], off
	v_add_co_u32_e32 v20, vcc, s18, v20
	v_addc_co_u32_e32 v21, vcc, 0, v21, vcc
	s_waitcnt vmcnt(0)
	v_dot4_i32_i8 v3, v7, v30, v3
	v_dot4_i32_i8 v2, v7, v29, v2
	;; [unrolled: 1-line block ×4, first 2 shown]
	s_andn2_b64 exec, exec, s[14:15]
	s_cbranch_execnz .LBB71_27
; %bb.28:
	s_or_b64 exec, exec, s[14:15]
	v_mov_b32_e32 v4, v3
.LBB71_29:
	s_or_b64 exec, exec, s[10:11]
.LBB71_30:
	s_or_b64 exec, exec, s[8:9]
	s_cbranch_execz .LBB71_32
	s_branch .LBB71_43
.LBB71_31:
                                        ; implicit-def: $vgpr4
                                        ; implicit-def: $vgpr2
.LBB71_32:
	v_mov_b32_e32 v4, 0
	v_mov_b32_e32 v2, 0
	;; [unrolled: 1-line block ×4, first 2 shown]
	s_and_saveexec_b64 s[2:3], s[0:1]
	s_cbranch_execz .LBB71_42
; %bb.33:
	v_or_b32_e32 v0, 8, v26
	v_sub_co_u32_e32 v0, vcc, v0, v10
	v_subb_co_u32_e32 v1, vcc, 0, v11, vcc
	v_add_co_u32_e32 v0, vcc, v0, v16
	v_addc_co_u32_e32 v1, vcc, v1, v17, vcc
	v_cmp_gt_i64_e32 vcc, v[0:1], v[18:19]
	v_not_b32_e32 v3, v16
	v_cndmask_b32_e32 v1, v19, v1, vcc
	v_cndmask_b32_e32 v0, v18, v0, vcc
	v_sub_co_u32_e32 v4, vcc, v10, v26
	v_subbrev_co_u32_e32 v5, vcc, 0, v11, vcc
	v_not_b32_e32 v2, v17
	v_add_co_u32_e32 v3, vcc, v4, v3
	v_addc_co_u32_e32 v2, vcc, v5, v2, vcc
	v_add_co_u32_e32 v0, vcc, v3, v0
	v_addc_co_u32_e32 v1, vcc, v2, v1, vcc
	v_lshrrev_b64 v[2:3], 3, v[0:1]
	v_mov_b32_e32 v4, 0
	v_add_co_u32_e32 v18, vcc, 1, v2
	v_addc_co_u32_e32 v17, vcc, 0, v3, vcc
	v_cmp_lt_u64_e32 vcc, 23, v[0:1]
	v_mov_b32_e32 v5, v4
	v_mov_b32_e32 v6, v4
	;; [unrolled: 1-line block ×7, first 2 shown]
	s_and_saveexec_b64 s[8:9], vcc
	s_cbranch_execz .LBB71_37
; %bb.34:
	v_lshlrev_b64 v[0:1], 3, v[14:15]
	v_mov_b32_e32 v2, s13
	v_add_co_u32_e32 v0, vcc, s12, v0
	v_addc_co_u32_e32 v1, vcc, v2, v1, vcc
	v_add_co_u32_e32 v5, vcc, 0x80, v0
	v_and_b32_e32 v16, -4, v18
	v_addc_co_u32_e32 v6, vcc, 0, v1, vcc
	s_mov_b64 s[10:11], 0
	s_mov_b32 s14, 0xc04000c
	s_mov_b32 s15, 0xc0c0c00
	;; [unrolled: 1-line block ×19, first 2 shown]
	s_movk_i32 s36, 0x200
	v_mov_b32_e32 v2, 0
	v_mov_b32_e32 v1, 0
	;; [unrolled: 1-line block ×3, first 2 shown]
.LBB71_35:                              ; =>This Inner Loop Header: Depth=1
	global_load_dwordx4 v[19:22], v[12:13], off
	global_load_dwordx2 v[23:24], v[5:6], off offset:-128
	global_load_dwordx2 v[39:40], v[5:6], off offset:-64
	global_load_dwordx2 v[41:42], v[5:6], off
	global_load_dwordx2 v[43:44], v[5:6], off offset:64
	global_load_dwordx4 v[27:30], v[12:13], off offset:128
	global_load_dwordx4 v[31:34], v[12:13], off offset:256
	;; [unrolled: 1-line block ×3, first 2 shown]
	v_add_co_u32_e32 v12, vcc, s36, v12
	s_mov_b64 s[0:1], vcc
	v_add_co_u32_e32 v14, vcc, 32, v14
	v_addc_co_u32_e32 v15, vcc, 0, v15, vcc
	v_add_co_u32_e32 v16, vcc, -4, v16
	v_addc_co_u32_e32 v17, vcc, -1, v17, vcc
	v_add_co_u32_e32 v5, vcc, 0x100, v5
	v_addc_co_u32_e32 v6, vcc, 0, v6, vcc
	v_mov_b32_e32 v3, s7
	v_addc_co_u32_e64 v13, s[0:1], 0, v13, s[0:1]
	v_cmp_eq_u64_e64 s[0:1], 0, v[16:17]
	s_or_b64 s[10:11], s[0:1], s[10:11]
	s_waitcnt vmcnt(7)
	v_perm_b32 v7, v21, v20, s14
	s_waitcnt vmcnt(6)
	v_sub_co_u32_e32 v23, vcc, v23, v10
	v_subb_co_u32_e32 v24, vcc, v24, v11, vcc
	s_waitcnt vmcnt(5)
	v_sub_co_u32_e32 v39, vcc, v39, v10
	v_subb_co_u32_e32 v40, vcc, v40, v11, vcc
	;; [unrolled: 3-line block ×3, first 2 shown]
	s_waitcnt vmcnt(3)
	v_sub_co_u32_e32 v43, vcc, v43, v10
	v_lshlrev_b64 v[23:24], 2, v[23:24]
	v_subb_co_u32_e32 v44, vcc, v44, v11, vcc
	v_lshlrev_b64 v[39:40], 2, v[39:40]
	v_add_co_u32_e32 v23, vcc, s6, v23
	v_addc_co_u32_e32 v24, vcc, v3, v24, vcc
	v_lshlrev_b64 v[41:42], 2, v[41:42]
	v_add_co_u32_e32 v39, vcc, s6, v39
	v_addc_co_u32_e32 v40, vcc, v3, v40, vcc
	;; [unrolled: 3-line block ×3, first 2 shown]
	v_add_co_u32_e32 v43, vcc, s6, v43
	v_addc_co_u32_e32 v44, vcc, v3, v44, vcc
	global_load_dword v3, v[23:24], off
	global_load_dword v45, v[39:40], off
	;; [unrolled: 1-line block ×4, first 2 shown]
	v_perm_b32 v23, v21, v20, s19
	v_perm_b32 v39, v21, v20, s21
	;; [unrolled: 1-line block ×3, first 2 shown]
	s_waitcnt vmcnt(6)
	v_perm_b32 v21, v27, v22, s25
	v_perm_b32 v41, v27, v22, s28
	;; [unrolled: 1-line block ×8, first 2 shown]
	s_waitcnt vmcnt(5)
	v_perm_b32 v29, v31, v30, s25
	v_perm_b32 v48, v31, v30, s28
	;; [unrolled: 1-line block ×4, first 2 shown]
	v_lshrrev_b32_e32 v31, 16, v34
	s_waitcnt vmcnt(4)
	v_perm_b32 v53, v36, v35, s33
	v_perm_b32 v55, v36, v35, s30
	;; [unrolled: 1-line block ×9, first 2 shown]
	v_or_b32_e32 v35, v36, v35
	v_ashrrev_i16_e32 v36, 8, v31
	v_bfe_i32 v31, v31, 0, 8
	v_or_b32_e32 v7, v7, v25
	v_or_b32_e32 v23, v23, v24
	;; [unrolled: 1-line block ×4, first 2 shown]
	v_perm_b32 v31, v36, v31, s35
	v_perm_b32 v50, v33, v32, s26
	;; [unrolled: 1-line block ×5, first 2 shown]
	v_ashrrev_i16_e32 v33, 8, v34
	v_bfe_i32 v34, v34, 0, 8
	v_or_b32_e32 v20, v27, v21
	v_or_b32_e32 v21, v43, v41
	;; [unrolled: 1-line block ×4, first 2 shown]
	v_perm_b32 v54, v38, v37, s34
	v_perm_b32 v56, v38, v37, s31
	;; [unrolled: 1-line block ×3, first 2 shown]
	v_or_b32_e32 v27, v50, v29
	v_or_b32_e32 v28, v51, v48
	;; [unrolled: 1-line block ×4, first 2 shown]
	v_perm_b32 v32, v33, v34, s35
	v_or_b32_e32 v33, v54, v53
	v_or_b32_e32 v34, v56, v55
	;; [unrolled: 1-line block ×3, first 2 shown]
	s_waitcnt vmcnt(3)
	v_perm_b32 v36, v3, v3, s18
	s_waitcnt vmcnt(2)
	v_perm_b32 v3, v45, v3, s27
	s_waitcnt vmcnt(1)
	v_lshrrev_b32_e32 v39, 24, v46
	v_dot4_i32_i8 v0, v36, v7, v0
	v_dot4_i32_i8 v1, v23, v36, v1
	;; [unrolled: 1-line block ×4, first 2 shown]
	v_perm_b32 v38, v46, v45, s27
	v_bfe_i32 v7, v39, 0, 8
	v_dot4_i32_i8 v0, v3, v20, v0
	v_dot4_i32_i8 v1, v21, v3, v1
	;; [unrolled: 1-line block ×4, first 2 shown]
	v_pk_mul_lo_u16 v4, v7, v32 op_sel_hi:[0,1]
	v_pk_mul_lo_u16 v7, v7, v31 op_sel_hi:[0,1]
	v_dot4_i32_i8 v0, v38, v27, v0
	v_dot4_i32_i8 v1, v28, v38, v1
	;; [unrolled: 1-line block ×4, first 2 shown]
	v_add_u32_sdwa v0, v0, sext(v4) dst_sel:DWORD dst_unused:UNUSED_PAD src0_sel:DWORD src1_sel:WORD_0
	v_add_u32_sdwa v1, v1, sext(v4) dst_sel:DWORD dst_unused:UNUSED_PAD src0_sel:DWORD src1_sel:WORD_1
	v_add_u32_sdwa v2, v2, sext(v7) dst_sel:DWORD dst_unused:UNUSED_PAD src0_sel:DWORD src1_sel:WORD_0
	v_add_u32_sdwa v3, v3, sext(v7) dst_sel:DWORD dst_unused:UNUSED_PAD src0_sel:DWORD src1_sel:WORD_1
	s_waitcnt vmcnt(0)
	v_dot4_i32_i8 v4, v47, v33, v3
	v_dot4_i32_i8 v2, v47, v34, v2
	;; [unrolled: 1-line block ×4, first 2 shown]
	s_andn2_b64 exec, exec, s[10:11]
	s_cbranch_execnz .LBB71_35
; %bb.36:
	s_or_b64 exec, exec, s[10:11]
	v_mov_b32_e32 v3, v4
.LBB71_37:
	s_or_b64 exec, exec, s[8:9]
	v_and_b32_e32 v5, 3, v18
	v_mov_b32_e32 v6, 0
	v_cmp_ne_u64_e32 vcc, 0, v[5:6]
	s_mov_b64 s[10:11], 0
	s_and_saveexec_b64 s[8:9], vcc
	s_cbranch_execz .LBB71_41
; %bb.38:
	v_lshlrev_b64 v[14:15], 3, v[14:15]
	v_mov_b32_e32 v4, s13
	v_add_co_u32_e32 v14, vcc, s12, v14
	v_addc_co_u32_e32 v15, vcc, v4, v15, vcc
	v_lshlrev_b32_e32 v5, 1, v5
	v_mov_b32_e32 v4, s7
	s_mov_b32 s7, 0xc0c0703
	s_mov_b32 s12, 0x7030c0c
	;; [unrolled: 1-line block ×8, first 2 shown]
	s_movk_i32 s21, 0x80
.LBB71_39:                              ; =>This Inner Loop Header: Depth=1
	global_load_dwordx2 v[20:21], v[14:15], off
	global_load_dwordx4 v[16:19], v[12:13], off
	v_add_co_u32_e64 v14, s[0:1], 64, v14
	v_addc_co_u32_e64 v15, s[0:1], 0, v15, s[0:1]
	v_add_co_u32_e64 v5, s[0:1], -2, v5
	v_addc_co_u32_e64 v6, s[0:1], -1, v6, s[0:1]
	v_cmp_eq_u64_e64 s[0:1], 0, v[5:6]
	s_or_b64 s[10:11], s[0:1], s[10:11]
	s_waitcnt vmcnt(1)
	v_sub_co_u32_e32 v20, vcc, v20, v10
	v_subb_co_u32_e32 v21, vcc, v21, v11, vcc
	v_lshlrev_b64 v[20:21], 2, v[20:21]
	s_waitcnt vmcnt(0)
	v_perm_b32 v22, v17, v16, s13
	v_add_co_u32_e32 v20, vcc, s6, v20
	v_addc_co_u32_e32 v21, vcc, v4, v21, vcc
	global_load_dword v7, v[20:21], off
	v_perm_b32 v20, v17, v16, s7
	v_perm_b32 v21, v19, v18, s12
	;; [unrolled: 1-line block ×7, first 2 shown]
	v_add_co_u32_e32 v12, vcc, s21, v12
	v_or_b32_e32 v18, v21, v20
	v_or_b32_e32 v19, v23, v22
	;; [unrolled: 1-line block ×4, first 2 shown]
	v_addc_co_u32_e32 v13, vcc, 0, v13, vcc
	s_waitcnt vmcnt(0)
	v_dot4_i32_i8 v3, v7, v18, v3
	v_dot4_i32_i8 v2, v7, v19, v2
	;; [unrolled: 1-line block ×4, first 2 shown]
	s_andn2_b64 exec, exec, s[10:11]
	s_cbranch_execnz .LBB71_39
; %bb.40:
	s_or_b64 exec, exec, s[10:11]
	v_mov_b32_e32 v4, v3
.LBB71_41:
	s_or_b64 exec, exec, s[8:9]
.LBB71_42:
	s_or_b64 exec, exec, s[2:3]
.LBB71_43:
	v_mov_b32_dpp v3, v0 row_shr:1 row_mask:0xf bank_mask:0xf
	v_mov_b32_dpp v5, v1 row_shr:1 row_mask:0xf bank_mask:0xf
	;; [unrolled: 1-line block ×4, first 2 shown]
	v_add_u32_e32 v0, v3, v0
	v_add_u32_e32 v1, v5, v1
	;; [unrolled: 1-line block ×4, first 2 shown]
	v_mov_b32_dpp v3, v0 row_shr:2 row_mask:0xf bank_mask:0xf
	v_mov_b32_dpp v5, v1 row_shr:2 row_mask:0xf bank_mask:0xf
	v_mov_b32_dpp v6, v2 row_shr:2 row_mask:0xf bank_mask:0xf
	v_mov_b32_dpp v7, v4 row_shr:2 row_mask:0xf bank_mask:0xf
	v_add_u32_e32 v0, v0, v3
	v_add_u32_e32 v1, v1, v5
	;; [unrolled: 1-line block ×4, first 2 shown]
	v_mov_b32_dpp v3, v0 row_shr:4 row_mask:0xf bank_mask:0xe
	v_mov_b32_dpp v5, v1 row_shr:4 row_mask:0xf bank_mask:0xe
	v_mov_b32_dpp v6, v2 row_shr:4 row_mask:0xf bank_mask:0xe
	v_mov_b32_dpp v7, v4 row_shr:4 row_mask:0xf bank_mask:0xe
	v_cmp_eq_u32_e32 vcc, 7, v26
	s_and_b64 exec, exec, vcc
	s_cbranch_execz .LBB71_14
; %bb.44:
	s_load_dwordx2 s[0:1], s[4:5], 0x58
	v_add_u32_e32 v0, v0, v3
	v_add_u32_e32 v1, v1, v5
	;; [unrolled: 1-line block ×4, first 2 shown]
	v_mul_lo_u32 v0, v0, s16
	v_mul_lo_u32 v1, v1, s16
	;; [unrolled: 1-line block ×4, first 2 shown]
	v_lshlrev_b64 v[4:5], 4, v[8:9]
	s_cmp_eq_u32 s17, 0
	s_cbranch_scc1 .LBB71_46
; %bb.45:
	s_waitcnt lgkmcnt(0)
	v_mov_b32_e32 v6, s1
	v_add_co_u32_e32 v14, vcc, s0, v4
	v_addc_co_u32_e32 v15, vcc, v6, v5, vcc
	global_load_dwordx4 v[6:9], v[14:15], off
	s_waitcnt vmcnt(0)
	v_mad_u64_u32 v[10:11], s[2:3], v6, s17, v[0:1]
	v_mad_u64_u32 v[16:17], s[2:3], v9, s17, v[3:4]
	;; [unrolled: 1-line block ×4, first 2 shown]
	v_mov_b32_e32 v13, v16
	global_store_dwordx4 v[14:15], v[10:13], off
	s_cbranch_execnz .LBB71_14
	s_branch .LBB71_47
.LBB71_46:
.LBB71_47:
	s_waitcnt lgkmcnt(0)
	v_mov_b32_e32 v6, s1
	v_add_co_u32_e32 v4, vcc, s0, v4
	v_addc_co_u32_e32 v5, vcc, v6, v5, vcc
	global_store_dwordx4 v[4:5], v[0:3], off
	s_endpgm
	.section	.rodata,"a",@progbits
	.p2align	6, 0x0
	.amdhsa_kernel _ZN9rocsparseL18bsrxmvn_4x4_kernelILj128ELj8EillaaiEEvT3_20rocsparse_direction_NS_24const_host_device_scalarIT1_EES1_PKS1_PKT2_SA_S7_PKT4_PKT5_S5_PT6_21rocsparse_index_base_b
		.amdhsa_group_segment_fixed_size 0
		.amdhsa_private_segment_fixed_size 0
		.amdhsa_kernarg_size 104
		.amdhsa_user_sgpr_count 6
		.amdhsa_user_sgpr_private_segment_buffer 1
		.amdhsa_user_sgpr_dispatch_ptr 0
		.amdhsa_user_sgpr_queue_ptr 0
		.amdhsa_user_sgpr_kernarg_segment_ptr 1
		.amdhsa_user_sgpr_dispatch_id 0
		.amdhsa_user_sgpr_flat_scratch_init 0
		.amdhsa_user_sgpr_private_segment_size 0
		.amdhsa_uses_dynamic_stack 0
		.amdhsa_system_sgpr_private_segment_wavefront_offset 0
		.amdhsa_system_sgpr_workgroup_id_x 1
		.amdhsa_system_sgpr_workgroup_id_y 0
		.amdhsa_system_sgpr_workgroup_id_z 0
		.amdhsa_system_sgpr_workgroup_info 0
		.amdhsa_system_vgpr_workitem_id 0
		.amdhsa_next_free_vgpr 59
		.amdhsa_next_free_sgpr 37
		.amdhsa_reserve_vcc 1
		.amdhsa_reserve_flat_scratch 0
		.amdhsa_float_round_mode_32 0
		.amdhsa_float_round_mode_16_64 0
		.amdhsa_float_denorm_mode_32 3
		.amdhsa_float_denorm_mode_16_64 3
		.amdhsa_dx10_clamp 1
		.amdhsa_ieee_mode 1
		.amdhsa_fp16_overflow 0
		.amdhsa_exception_fp_ieee_invalid_op 0
		.amdhsa_exception_fp_denorm_src 0
		.amdhsa_exception_fp_ieee_div_zero 0
		.amdhsa_exception_fp_ieee_overflow 0
		.amdhsa_exception_fp_ieee_underflow 0
		.amdhsa_exception_fp_ieee_inexact 0
		.amdhsa_exception_int_div_zero 0
	.end_amdhsa_kernel
	.section	.text._ZN9rocsparseL18bsrxmvn_4x4_kernelILj128ELj8EillaaiEEvT3_20rocsparse_direction_NS_24const_host_device_scalarIT1_EES1_PKS1_PKT2_SA_S7_PKT4_PKT5_S5_PT6_21rocsparse_index_base_b,"axG",@progbits,_ZN9rocsparseL18bsrxmvn_4x4_kernelILj128ELj8EillaaiEEvT3_20rocsparse_direction_NS_24const_host_device_scalarIT1_EES1_PKS1_PKT2_SA_S7_PKT4_PKT5_S5_PT6_21rocsparse_index_base_b,comdat
.Lfunc_end71:
	.size	_ZN9rocsparseL18bsrxmvn_4x4_kernelILj128ELj8EillaaiEEvT3_20rocsparse_direction_NS_24const_host_device_scalarIT1_EES1_PKS1_PKT2_SA_S7_PKT4_PKT5_S5_PT6_21rocsparse_index_base_b, .Lfunc_end71-_ZN9rocsparseL18bsrxmvn_4x4_kernelILj128ELj8EillaaiEEvT3_20rocsparse_direction_NS_24const_host_device_scalarIT1_EES1_PKS1_PKT2_SA_S7_PKT4_PKT5_S5_PT6_21rocsparse_index_base_b
                                        ; -- End function
	.set _ZN9rocsparseL18bsrxmvn_4x4_kernelILj128ELj8EillaaiEEvT3_20rocsparse_direction_NS_24const_host_device_scalarIT1_EES1_PKS1_PKT2_SA_S7_PKT4_PKT5_S5_PT6_21rocsparse_index_base_b.num_vgpr, 59
	.set _ZN9rocsparseL18bsrxmvn_4x4_kernelILj128ELj8EillaaiEEvT3_20rocsparse_direction_NS_24const_host_device_scalarIT1_EES1_PKS1_PKT2_SA_S7_PKT4_PKT5_S5_PT6_21rocsparse_index_base_b.num_agpr, 0
	.set _ZN9rocsparseL18bsrxmvn_4x4_kernelILj128ELj8EillaaiEEvT3_20rocsparse_direction_NS_24const_host_device_scalarIT1_EES1_PKS1_PKT2_SA_S7_PKT4_PKT5_S5_PT6_21rocsparse_index_base_b.numbered_sgpr, 37
	.set _ZN9rocsparseL18bsrxmvn_4x4_kernelILj128ELj8EillaaiEEvT3_20rocsparse_direction_NS_24const_host_device_scalarIT1_EES1_PKS1_PKT2_SA_S7_PKT4_PKT5_S5_PT6_21rocsparse_index_base_b.num_named_barrier, 0
	.set _ZN9rocsparseL18bsrxmvn_4x4_kernelILj128ELj8EillaaiEEvT3_20rocsparse_direction_NS_24const_host_device_scalarIT1_EES1_PKS1_PKT2_SA_S7_PKT4_PKT5_S5_PT6_21rocsparse_index_base_b.private_seg_size, 0
	.set _ZN9rocsparseL18bsrxmvn_4x4_kernelILj128ELj8EillaaiEEvT3_20rocsparse_direction_NS_24const_host_device_scalarIT1_EES1_PKS1_PKT2_SA_S7_PKT4_PKT5_S5_PT6_21rocsparse_index_base_b.uses_vcc, 1
	.set _ZN9rocsparseL18bsrxmvn_4x4_kernelILj128ELj8EillaaiEEvT3_20rocsparse_direction_NS_24const_host_device_scalarIT1_EES1_PKS1_PKT2_SA_S7_PKT4_PKT5_S5_PT6_21rocsparse_index_base_b.uses_flat_scratch, 0
	.set _ZN9rocsparseL18bsrxmvn_4x4_kernelILj128ELj8EillaaiEEvT3_20rocsparse_direction_NS_24const_host_device_scalarIT1_EES1_PKS1_PKT2_SA_S7_PKT4_PKT5_S5_PT6_21rocsparse_index_base_b.has_dyn_sized_stack, 0
	.set _ZN9rocsparseL18bsrxmvn_4x4_kernelILj128ELj8EillaaiEEvT3_20rocsparse_direction_NS_24const_host_device_scalarIT1_EES1_PKS1_PKT2_SA_S7_PKT4_PKT5_S5_PT6_21rocsparse_index_base_b.has_recursion, 0
	.set _ZN9rocsparseL18bsrxmvn_4x4_kernelILj128ELj8EillaaiEEvT3_20rocsparse_direction_NS_24const_host_device_scalarIT1_EES1_PKS1_PKT2_SA_S7_PKT4_PKT5_S5_PT6_21rocsparse_index_base_b.has_indirect_call, 0
	.section	.AMDGPU.csdata,"",@progbits
; Kernel info:
; codeLenInByte = 3560
; TotalNumSgprs: 41
; NumVgprs: 59
; ScratchSize: 0
; MemoryBound: 0
; FloatMode: 240
; IeeeMode: 1
; LDSByteSize: 0 bytes/workgroup (compile time only)
; SGPRBlocks: 5
; VGPRBlocks: 14
; NumSGPRsForWavesPerEU: 41
; NumVGPRsForWavesPerEU: 59
; Occupancy: 4
; WaveLimiterHint : 1
; COMPUTE_PGM_RSRC2:SCRATCH_EN: 0
; COMPUTE_PGM_RSRC2:USER_SGPR: 6
; COMPUTE_PGM_RSRC2:TRAP_HANDLER: 0
; COMPUTE_PGM_RSRC2:TGID_X_EN: 1
; COMPUTE_PGM_RSRC2:TGID_Y_EN: 0
; COMPUTE_PGM_RSRC2:TGID_Z_EN: 0
; COMPUTE_PGM_RSRC2:TIDIG_COMP_CNT: 0
	.section	.text._ZN9rocsparseL18bsrxmvn_4x4_kernelILj128ELj16EillaaiEEvT3_20rocsparse_direction_NS_24const_host_device_scalarIT1_EES1_PKS1_PKT2_SA_S7_PKT4_PKT5_S5_PT6_21rocsparse_index_base_b,"axG",@progbits,_ZN9rocsparseL18bsrxmvn_4x4_kernelILj128ELj16EillaaiEEvT3_20rocsparse_direction_NS_24const_host_device_scalarIT1_EES1_PKS1_PKT2_SA_S7_PKT4_PKT5_S5_PT6_21rocsparse_index_base_b,comdat
	.globl	_ZN9rocsparseL18bsrxmvn_4x4_kernelILj128ELj16EillaaiEEvT3_20rocsparse_direction_NS_24const_host_device_scalarIT1_EES1_PKS1_PKT2_SA_S7_PKT4_PKT5_S5_PT6_21rocsparse_index_base_b ; -- Begin function _ZN9rocsparseL18bsrxmvn_4x4_kernelILj128ELj16EillaaiEEvT3_20rocsparse_direction_NS_24const_host_device_scalarIT1_EES1_PKS1_PKT2_SA_S7_PKT4_PKT5_S5_PT6_21rocsparse_index_base_b
	.p2align	8
	.type	_ZN9rocsparseL18bsrxmvn_4x4_kernelILj128ELj16EillaaiEEvT3_20rocsparse_direction_NS_24const_host_device_scalarIT1_EES1_PKS1_PKT2_SA_S7_PKT4_PKT5_S5_PT6_21rocsparse_index_base_b,@function
_ZN9rocsparseL18bsrxmvn_4x4_kernelILj128ELj16EillaaiEEvT3_20rocsparse_direction_NS_24const_host_device_scalarIT1_EES1_PKS1_PKT2_SA_S7_PKT4_PKT5_S5_PT6_21rocsparse_index_base_b: ; @_ZN9rocsparseL18bsrxmvn_4x4_kernelILj128ELj16EillaaiEEvT3_20rocsparse_direction_NS_24const_host_device_scalarIT1_EES1_PKS1_PKT2_SA_S7_PKT4_PKT5_S5_PT6_21rocsparse_index_base_b
; %bb.0:
	s_load_dwordx2 s[8:9], s[4:5], 0x60
	s_load_dwordx4 s[0:3], s[4:5], 0x10
	s_mov_b64 s[14:15], -1
                                        ; implicit-def: $sgpr16
	s_waitcnt lgkmcnt(0)
	s_bitcmp1_b32 s9, 0
	s_cselect_b64 s[10:11], -1, 0
	s_xor_b64 s[12:13], s[10:11], -1
	s_and_b64 vcc, exec, s[12:13]
	s_cbranch_vccnz .LBB72_4
; %bb.1:
	s_load_dwordx2 s[10:11], s[4:5], 0x50
	s_andn2_b64 vcc, exec, s[14:15]
	s_cbranch_vccz .LBB72_5
.LBB72_2:
	s_and_b64 vcc, exec, s[12:13]
	s_cbranch_vccz .LBB72_6
.LBB72_3:
	s_waitcnt lgkmcnt(0)
	s_load_dword s17, s[10:11], 0x0
	s_cbranch_execz .LBB72_7
	s_branch .LBB72_8
.LBB72_4:
	s_load_dword s16, s[0:1], 0x0
	s_load_dwordx2 s[10:11], s[4:5], 0x50
	s_cbranch_execnz .LBB72_2
.LBB72_5:
	s_waitcnt lgkmcnt(0)
	s_mov_b32 s16, s0
	s_and_b64 vcc, exec, s[12:13]
	s_cbranch_vccnz .LBB72_3
.LBB72_6:
                                        ; implicit-def: $sgpr17
.LBB72_7:
	s_waitcnt lgkmcnt(0)
	s_mov_b32 s17, s10
.LBB72_8:
	s_waitcnt lgkmcnt(0)
	s_cmp_lg_u32 s16, 0
	s_cselect_b64 s[0:1], -1, 0
	s_cmp_lg_u32 s17, 1
	s_cselect_b64 s[10:11], -1, 0
	s_or_b64 s[0:1], s[0:1], s[10:11]
	s_andn2_b64 vcc, exec, s[0:1]
	s_cbranch_vccnz .LBB72_14
; %bb.9:
	s_load_dwordx2 s[10:11], s[4:5], 0x20
	v_lshrrev_b32_e32 v1, 4, v0
	v_lshl_or_b32 v1, s6, 3, v1
	v_mov_b32_e32 v2, 0
	s_mov_b64 s[0:1], 0
	s_waitcnt lgkmcnt(0)
	s_cmp_lg_u64 s[10:11], 0
	s_cbranch_scc0 .LBB72_15
; %bb.10:
	v_cmp_gt_i64_e32 vcc, s[2:3], v[1:2]
                                        ; implicit-def: $vgpr8_vgpr9
                                        ; implicit-def: $vgpr10_vgpr11
	s_and_saveexec_b64 s[2:3], vcc
	s_xor_b64 s[2:3], exec, s[2:3]
	s_cbranch_execz .LBB72_12
; %bb.11:
	v_lshlrev_b64 v[3:4], 3, v[1:2]
	v_mov_b32_e32 v5, s11
	v_add_co_u32_e32 v3, vcc, s10, v3
	v_addc_co_u32_e32 v4, vcc, v5, v4, vcc
	global_load_dwordx2 v[3:4], v[3:4], off
	s_mov_b32 s9, 0
	v_mov_b32_e32 v11, s9
	s_mov_b64 s[0:1], exec
	v_mov_b32_e32 v10, s8
	s_waitcnt vmcnt(0)
	v_subrev_co_u32_e32 v8, vcc, s8, v3
	v_subbrev_co_u32_e32 v9, vcc, 0, v4, vcc
.LBB72_12:
	s_or_b64 exec, exec, s[2:3]
.LBB72_13:
	s_and_saveexec_b64 s[2:3], s[0:1]
	s_cbranch_execnz .LBB72_19
.LBB72_14:
	s_endpgm
.LBB72_15:
                                        ; implicit-def: $vgpr8_vgpr9
                                        ; implicit-def: $vgpr10_vgpr11
	s_cbranch_execz .LBB72_13
; %bb.16:
	s_load_dwordx2 s[2:3], s[4:5], 0x0
	s_waitcnt lgkmcnt(0)
	v_cmp_gt_i64_e32 vcc, s[2:3], v[1:2]
	s_and_saveexec_b64 s[2:3], vcc
; %bb.17:
	s_mov_b32 s9, 0
	s_or_b64 s[0:1], s[0:1], exec
; %bb.18:
	s_or_b64 exec, exec, s[2:3]
	v_mov_b32_e32 v11, s9
	v_mov_b32_e32 v9, v2
	;; [unrolled: 1-line block ×4, first 2 shown]
	s_and_saveexec_b64 s[2:3], s[0:1]
	s_cbranch_execz .LBB72_14
.LBB72_19:
	s_load_dwordx8 s[8:15], s[4:5], 0x28
	v_lshlrev_b64 v[1:2], 3, v[8:9]
	v_and_b32_e32 v26, 15, v0
	s_waitcnt lgkmcnt(0)
	v_mov_b32_e32 v4, s9
	v_add_co_u32_e32 v3, vcc, s8, v1
	v_addc_co_u32_e32 v4, vcc, v4, v2, vcc
	global_load_dwordx2 v[16:17], v[3:4], off
	v_add_co_u32_e32 v3, vcc, 8, v3
	v_addc_co_u32_e32 v4, vcc, 0, v4, vcc
	v_mov_b32_e32 v5, s11
	v_add_co_u32_e32 v1, vcc, s10, v1
	s_cmp_eq_u64 s[10:11], 0
	v_addc_co_u32_e32 v2, vcc, v5, v2, vcc
	s_cselect_b64 vcc, -1, 0
	v_cndmask_b32_e32 v2, v2, v4, vcc
	v_cndmask_b32_e32 v1, v1, v3, vcc
	global_load_dwordx2 v[1:2], v[1:2], off
	s_load_dword s0, s[4:5], 0x8
	s_load_dwordx2 s[6:7], s[4:5], 0x48
	v_mov_b32_e32 v3, s15
	v_mov_b32_e32 v4, 0
	s_waitcnt lgkmcnt(0)
	s_cmp_eq_u32 s0, 1
	s_waitcnt vmcnt(1)
	v_sub_co_u32_e32 v0, vcc, v16, v10
	v_subb_co_u32_e32 v5, vcc, v17, v11, vcc
	v_add_co_u32_e32 v14, vcc, v0, v26
	v_addc_co_u32_e32 v15, vcc, 0, v5, vcc
	s_waitcnt vmcnt(0)
	v_sub_co_u32_e32 v18, vcc, v1, v10
	v_lshlrev_b64 v[0:1], 4, v[14:15]
	v_subb_co_u32_e32 v19, vcc, v2, v11, vcc
	v_cmp_lt_i64_e64 s[0:1], v[14:15], v[18:19]
	v_add_co_u32_e32 v12, vcc, s14, v0
	v_addc_co_u32_e32 v13, vcc, v3, v1, vcc
	s_cbranch_scc1 .LBB72_31
; %bb.20:
	v_mov_b32_e32 v2, 0
	v_mov_b32_e32 v1, 0
	;; [unrolled: 1-line block ×3, first 2 shown]
	s_and_saveexec_b64 s[8:9], s[0:1]
	s_cbranch_execz .LBB72_30
; %bb.21:
	v_or_b32_e32 v0, 16, v26
	v_sub_co_u32_e32 v0, vcc, v0, v10
	v_subb_co_u32_e32 v1, vcc, 0, v11, vcc
	v_add_co_u32_e32 v0, vcc, v0, v16
	v_addc_co_u32_e32 v1, vcc, v1, v17, vcc
	v_cmp_gt_i64_e32 vcc, v[0:1], v[18:19]
	v_not_b32_e32 v3, v16
	v_cndmask_b32_e32 v1, v19, v1, vcc
	v_cndmask_b32_e32 v0, v18, v0, vcc
	v_sub_co_u32_e32 v4, vcc, v10, v26
	v_subbrev_co_u32_e32 v5, vcc, 0, v11, vcc
	v_not_b32_e32 v2, v17
	v_add_co_u32_e32 v3, vcc, v4, v3
	v_addc_co_u32_e32 v2, vcc, v5, v2, vcc
	v_add_co_u32_e32 v0, vcc, v3, v0
	v_addc_co_u32_e32 v1, vcc, v2, v1, vcc
	v_lshrrev_b64 v[2:3], 4, v[0:1]
	v_mov_b32_e32 v4, 0
	v_add_co_u32_e32 v27, vcc, 1, v2
	v_addc_co_u32_e32 v25, vcc, 0, v3, vcc
	v_cmp_lt_u64_e32 vcc, 47, v[0:1]
	v_mov_b32_e32 v5, v4
	v_mov_b32_e32 v6, v4
	;; [unrolled: 1-line block ×11, first 2 shown]
	s_and_saveexec_b64 s[10:11], vcc
	s_cbranch_execz .LBB72_25
; %bb.22:
	v_lshlrev_b64 v[0:1], 3, v[14:15]
	v_mov_b32_e32 v2, s13
	v_add_co_u32_e32 v0, vcc, s12, v0
	v_addc_co_u32_e32 v1, vcc, v2, v1, vcc
	v_add_co_u32_e32 v5, vcc, 0x100, v0
	v_mov_b32_e32 v21, v13
	v_mov_b32_e32 v23, v15
	v_and_b32_e32 v24, -4, v27
	v_addc_co_u32_e32 v6, vcc, 0, v1, vcc
	s_mov_b64 s[14:15], 0
	s_movk_i32 s18, 0x400
	v_mov_b32_e32 v20, v12
	v_mov_b32_e32 v22, v14
	;; [unrolled: 1-line block ×5, first 2 shown]
.LBB72_23:                              ; =>This Inner Loop Header: Depth=1
	global_load_dwordx2 v[44:45], v[5:6], off offset:-256
	global_load_dwordx2 v[46:47], v[5:6], off offset:-128
	global_load_dwordx2 v[48:49], v[5:6], off
	global_load_dwordx2 v[50:51], v[5:6], off offset:128
	v_mov_b32_e32 v3, s7
	global_load_dwordx4 v[28:31], v[20:21], off
	global_load_dwordx4 v[32:35], v[20:21], off offset:256
	global_load_dwordx4 v[36:39], v[20:21], off offset:512
	;; [unrolled: 1-line block ×3, first 2 shown]
	v_add_co_u32_e64 v22, s[2:3], 64, v22
	v_addc_co_u32_e64 v23, s[2:3], 0, v23, s[2:3]
	v_add_co_u32_e64 v24, s[2:3], -4, v24
	v_addc_co_u32_e64 v25, s[2:3], -1, v25, s[2:3]
	v_cmp_eq_u64_e64 s[2:3], 0, v[24:25]
	s_or_b64 s[14:15], s[2:3], s[14:15]
	s_waitcnt vmcnt(7)
	v_sub_co_u32_e32 v44, vcc, v44, v10
	v_subb_co_u32_e32 v45, vcc, v45, v11, vcc
	s_waitcnt vmcnt(6)
	v_sub_co_u32_e32 v46, vcc, v46, v10
	v_subb_co_u32_e32 v47, vcc, v47, v11, vcc
	;; [unrolled: 3-line block ×3, first 2 shown]
	s_waitcnt vmcnt(4)
	v_sub_co_u32_e32 v50, vcc, v50, v10
	v_lshlrev_b64 v[44:45], 2, v[44:45]
	v_subb_co_u32_e32 v51, vcc, v51, v11, vcc
	v_lshlrev_b64 v[46:47], 2, v[46:47]
	v_add_co_u32_e32 v44, vcc, s6, v44
	v_addc_co_u32_e32 v45, vcc, v3, v45, vcc
	v_lshlrev_b64 v[48:49], 2, v[48:49]
	v_add_co_u32_e32 v46, vcc, s6, v46
	v_addc_co_u32_e32 v47, vcc, v3, v47, vcc
	;; [unrolled: 3-line block ×3, first 2 shown]
	v_add_co_u32_e32 v50, vcc, s6, v50
	v_addc_co_u32_e32 v51, vcc, v3, v51, vcc
	global_load_dword v3, v[44:45], off
	global_load_dword v7, v[46:47], off
	;; [unrolled: 1-line block ×4, first 2 shown]
	s_waitcnt vmcnt(7)
	v_lshrrev_b16_e32 v44, 8, v31
	v_ashrrev_i32_e32 v45, 24, v31
	v_bfe_i32 v46, v31, 0, 8
	v_bfe_i32 v31, v31, 16, 8
	s_waitcnt vmcnt(6)
	v_lshrrev_b16_e32 v47, 8, v35
	s_waitcnt vmcnt(5)
	v_bfe_i32 v48, v39, 8, 8
	v_add_co_u32_e32 v20, vcc, s18, v20
	v_addc_co_u32_e32 v21, vcc, 0, v21, vcc
	v_add_co_u32_e32 v5, vcc, 0x200, v5
	v_addc_co_u32_e32 v6, vcc, 0, v6, vcc
	s_waitcnt vmcnt(3)
	v_lshrrev_b16_e32 v49, 8, v3
	v_ashrrev_i32_e32 v50, 24, v3
	v_bfe_i32 v51, v3, 0, 8
	v_bfe_i32 v54, v3, 16, 8
	v_dot4_i32_i8 v0, v3, v28, v0
	v_dot4_i32_i8 v1, v3, v29, v1
	;; [unrolled: 1-line block ×3, first 2 shown]
	s_waitcnt vmcnt(2)
	v_lshrrev_b16_e32 v3, 8, v7
	v_mul_i32_i24_sdwa v29, sext(v35), sext(v7) dst_sel:DWORD dst_unused:UNUSED_PAD src0_sel:BYTE_2 src1_sel:BYTE_2
	v_mul_i32_i24_sdwa v30, sext(v35), sext(v7) dst_sel:DWORD dst_unused:UNUSED_PAD src0_sel:BYTE_3 src1_sel:BYTE_3
	v_mul_i32_i24_sdwa v28, sext(v35), sext(v7) dst_sel:DWORD dst_unused:UNUSED_PAD src0_sel:BYTE_0 src1_sel:BYTE_0
	v_mul_i32_i24_sdwa v44, sext(v44), sext(v49) dst_sel:DWORD dst_unused:UNUSED_PAD src0_sel:BYTE_0 src1_sel:BYTE_0
	v_dot4_i32_i8 v0, v7, v32, v0
	v_dot4_i32_i8 v1, v7, v33, v1
	;; [unrolled: 1-line block ×3, first 2 shown]
	v_mul_i32_i24_sdwa v3, sext(v47), sext(v3) dst_sel:DWORD dst_unused:UNUSED_PAD src0_sel:BYTE_0 src1_sel:BYTE_0
	v_mad_i32_i24 v7, v31, v54, v29
	v_mad_i32_i24 v29, v45, v50, v30
	s_waitcnt vmcnt(1)
	v_bfe_i32 v35, v52, 8, 8
	v_mul_i32_i24_sdwa v56, sext(v39), sext(v52) dst_sel:DWORD dst_unused:UNUSED_PAD src0_sel:BYTE_2 src1_sel:BYTE_2
	v_mad_i32_i24 v28, v46, v51, v28
	v_add3_u32 v3, v44, v3, v29
	v_mul_i32_i24_sdwa v55, sext(v52), sext(v39) dst_sel:DWORD dst_unused:UNUSED_PAD src0_sel:BYTE_0 src1_sel:BYTE_0
	v_mad_i32_i24 v30, v35, v48, v56
	v_add3_u32 v3, v28, v7, v3
	v_mul_i32_i24_sdwa v39, sext(v39), sext(v52) dst_sel:DWORD dst_unused:UNUSED_PAD src0_sel:BYTE_3 src1_sel:BYTE_3
	v_add3_u32 v3, v3, v55, v30
	v_dot4_i32_i8 v0, v52, v36, v0
	v_dot4_i32_i8 v1, v37, v52, v1
	;; [unrolled: 1-line block ×3, first 2 shown]
	v_add3_u32 v3, v3, v4, v39
	s_waitcnt vmcnt(0)
	v_dot4_i32_i8 v2, v53, v42, v2
	v_dot4_i32_i8 v1, v53, v41, v1
	;; [unrolled: 1-line block ×4, first 2 shown]
	s_andn2_b64 exec, exec, s[14:15]
	s_cbranch_execnz .LBB72_23
; %bb.24:
	s_or_b64 exec, exec, s[14:15]
	v_mov_b32_e32 v3, v4
.LBB72_25:
	s_or_b64 exec, exec, s[10:11]
	v_and_b32_e32 v5, 3, v27
	v_mov_b32_e32 v6, 0
	v_cmp_ne_u64_e32 vcc, 0, v[5:6]
	s_mov_b64 s[14:15], 0
	s_and_saveexec_b64 s[10:11], vcc
	s_cbranch_execz .LBB72_29
; %bb.26:
	v_lshlrev_b64 v[22:23], 3, v[22:23]
	v_mov_b32_e32 v4, s13
	v_add_co_u32_e32 v22, vcc, s12, v22
	v_addc_co_u32_e32 v23, vcc, v4, v23, vcc
	v_lshlrev_b32_e32 v5, 1, v5
	v_mov_b32_e32 v4, s7
	s_movk_i32 s18, 0x100
.LBB72_27:                              ; =>This Inner Loop Header: Depth=1
	global_load_dwordx2 v[24:25], v[22:23], off
	global_load_dwordx4 v[27:30], v[20:21], off
	v_add_co_u32_e64 v5, s[2:3], -2, v5
	v_addc_co_u32_e64 v6, s[2:3], -1, v6, s[2:3]
	v_cmp_eq_u64_e64 s[2:3], 0, v[5:6]
	s_or_b64 s[14:15], s[2:3], s[14:15]
	s_waitcnt vmcnt(1)
	v_sub_co_u32_e32 v24, vcc, v24, v10
	v_subb_co_u32_e32 v25, vcc, v25, v11, vcc
	v_lshlrev_b64 v[24:25], 2, v[24:25]
	v_add_co_u32_e32 v24, vcc, s6, v24
	v_addc_co_u32_e32 v25, vcc, v4, v25, vcc
	global_load_dword v7, v[24:25], off
	v_add_co_u32_e32 v20, vcc, s18, v20
	v_addc_co_u32_e32 v21, vcc, 0, v21, vcc
	v_add_co_u32_e32 v22, vcc, 0x80, v22
	v_addc_co_u32_e32 v23, vcc, 0, v23, vcc
	s_waitcnt vmcnt(0)
	v_dot4_i32_i8 v3, v7, v30, v3
	v_dot4_i32_i8 v2, v7, v29, v2
	;; [unrolled: 1-line block ×4, first 2 shown]
	s_andn2_b64 exec, exec, s[14:15]
	s_cbranch_execnz .LBB72_27
; %bb.28:
	s_or_b64 exec, exec, s[14:15]
	v_mov_b32_e32 v4, v3
.LBB72_29:
	s_or_b64 exec, exec, s[10:11]
.LBB72_30:
	s_or_b64 exec, exec, s[8:9]
	s_cbranch_execz .LBB72_32
	s_branch .LBB72_43
.LBB72_31:
                                        ; implicit-def: $vgpr4
                                        ; implicit-def: $vgpr2
.LBB72_32:
	v_mov_b32_e32 v4, 0
	v_mov_b32_e32 v2, 0
	;; [unrolled: 1-line block ×4, first 2 shown]
	s_and_saveexec_b64 s[2:3], s[0:1]
	s_cbranch_execz .LBB72_42
; %bb.33:
	v_or_b32_e32 v0, 16, v26
	v_sub_co_u32_e32 v0, vcc, v0, v10
	v_subb_co_u32_e32 v1, vcc, 0, v11, vcc
	v_add_co_u32_e32 v0, vcc, v0, v16
	v_addc_co_u32_e32 v1, vcc, v1, v17, vcc
	v_cmp_gt_i64_e32 vcc, v[0:1], v[18:19]
	v_not_b32_e32 v3, v16
	v_cndmask_b32_e32 v1, v19, v1, vcc
	v_cndmask_b32_e32 v0, v18, v0, vcc
	v_sub_co_u32_e32 v4, vcc, v10, v26
	v_subbrev_co_u32_e32 v5, vcc, 0, v11, vcc
	v_not_b32_e32 v2, v17
	v_add_co_u32_e32 v3, vcc, v4, v3
	v_addc_co_u32_e32 v2, vcc, v5, v2, vcc
	v_add_co_u32_e32 v0, vcc, v3, v0
	v_addc_co_u32_e32 v1, vcc, v2, v1, vcc
	v_lshrrev_b64 v[2:3], 4, v[0:1]
	v_mov_b32_e32 v4, 0
	v_add_co_u32_e32 v18, vcc, 1, v2
	v_addc_co_u32_e32 v17, vcc, 0, v3, vcc
	v_cmp_lt_u64_e32 vcc, 47, v[0:1]
	v_mov_b32_e32 v5, v4
	v_mov_b32_e32 v6, v4
	;; [unrolled: 1-line block ×7, first 2 shown]
	s_and_saveexec_b64 s[8:9], vcc
	s_cbranch_execz .LBB72_37
; %bb.34:
	v_lshlrev_b64 v[0:1], 3, v[14:15]
	v_mov_b32_e32 v2, s13
	v_add_co_u32_e32 v0, vcc, s12, v0
	v_addc_co_u32_e32 v1, vcc, v2, v1, vcc
	v_add_co_u32_e32 v5, vcc, 0x100, v0
	v_and_b32_e32 v16, -4, v18
	v_addc_co_u32_e32 v6, vcc, 0, v1, vcc
	s_mov_b64 s[10:11], 0
	s_mov_b32 s14, 0xc04000c
	s_mov_b32 s15, 0xc0c0c00
	;; [unrolled: 1-line block ×19, first 2 shown]
	s_movk_i32 s36, 0x400
	v_mov_b32_e32 v2, 0
	v_mov_b32_e32 v1, 0
	;; [unrolled: 1-line block ×3, first 2 shown]
.LBB72_35:                              ; =>This Inner Loop Header: Depth=1
	global_load_dwordx4 v[19:22], v[12:13], off
	global_load_dwordx2 v[23:24], v[5:6], off offset:-256
	global_load_dwordx2 v[39:40], v[5:6], off offset:-128
	global_load_dwordx2 v[41:42], v[5:6], off
	global_load_dwordx2 v[43:44], v[5:6], off offset:128
	global_load_dwordx4 v[27:30], v[12:13], off offset:256
	global_load_dwordx4 v[31:34], v[12:13], off offset:512
	;; [unrolled: 1-line block ×3, first 2 shown]
	v_add_co_u32_e32 v12, vcc, s36, v12
	s_mov_b64 s[0:1], vcc
	v_add_co_u32_e32 v14, vcc, 64, v14
	v_addc_co_u32_e32 v15, vcc, 0, v15, vcc
	v_add_co_u32_e32 v16, vcc, -4, v16
	v_addc_co_u32_e32 v17, vcc, -1, v17, vcc
	v_add_co_u32_e32 v5, vcc, 0x200, v5
	v_addc_co_u32_e32 v6, vcc, 0, v6, vcc
	v_mov_b32_e32 v3, s7
	v_addc_co_u32_e64 v13, s[0:1], 0, v13, s[0:1]
	v_cmp_eq_u64_e64 s[0:1], 0, v[16:17]
	s_or_b64 s[10:11], s[0:1], s[10:11]
	s_waitcnt vmcnt(7)
	v_perm_b32 v7, v21, v20, s14
	s_waitcnt vmcnt(6)
	v_sub_co_u32_e32 v23, vcc, v23, v10
	v_subb_co_u32_e32 v24, vcc, v24, v11, vcc
	s_waitcnt vmcnt(5)
	v_sub_co_u32_e32 v39, vcc, v39, v10
	v_subb_co_u32_e32 v40, vcc, v40, v11, vcc
	s_waitcnt vmcnt(4)
	v_sub_co_u32_e32 v41, vcc, v41, v10
	v_subb_co_u32_e32 v42, vcc, v42, v11, vcc
	s_waitcnt vmcnt(3)
	v_sub_co_u32_e32 v43, vcc, v43, v10
	v_lshlrev_b64 v[23:24], 2, v[23:24]
	v_subb_co_u32_e32 v44, vcc, v44, v11, vcc
	v_lshlrev_b64 v[39:40], 2, v[39:40]
	v_add_co_u32_e32 v23, vcc, s6, v23
	v_addc_co_u32_e32 v24, vcc, v3, v24, vcc
	v_lshlrev_b64 v[41:42], 2, v[41:42]
	v_add_co_u32_e32 v39, vcc, s6, v39
	v_addc_co_u32_e32 v40, vcc, v3, v40, vcc
	;; [unrolled: 3-line block ×3, first 2 shown]
	v_add_co_u32_e32 v43, vcc, s6, v43
	v_addc_co_u32_e32 v44, vcc, v3, v44, vcc
	global_load_dword v3, v[23:24], off
	global_load_dword v45, v[39:40], off
	;; [unrolled: 1-line block ×4, first 2 shown]
	v_perm_b32 v23, v21, v20, s19
	v_perm_b32 v39, v21, v20, s21
	;; [unrolled: 1-line block ×3, first 2 shown]
	s_waitcnt vmcnt(6)
	v_perm_b32 v21, v27, v22, s25
	v_perm_b32 v41, v27, v22, s28
	;; [unrolled: 1-line block ×8, first 2 shown]
	s_waitcnt vmcnt(5)
	v_perm_b32 v29, v31, v30, s25
	v_perm_b32 v48, v31, v30, s28
	;; [unrolled: 1-line block ×4, first 2 shown]
	v_lshrrev_b32_e32 v31, 16, v34
	s_waitcnt vmcnt(4)
	v_perm_b32 v53, v36, v35, s33
	v_perm_b32 v55, v36, v35, s30
	;; [unrolled: 1-line block ×9, first 2 shown]
	v_or_b32_e32 v35, v36, v35
	v_ashrrev_i16_e32 v36, 8, v31
	v_bfe_i32 v31, v31, 0, 8
	v_or_b32_e32 v7, v7, v25
	v_or_b32_e32 v23, v23, v24
	;; [unrolled: 1-line block ×4, first 2 shown]
	v_perm_b32 v31, v36, v31, s35
	v_perm_b32 v50, v33, v32, s26
	;; [unrolled: 1-line block ×5, first 2 shown]
	v_ashrrev_i16_e32 v33, 8, v34
	v_bfe_i32 v34, v34, 0, 8
	v_or_b32_e32 v20, v27, v21
	v_or_b32_e32 v21, v43, v41
	;; [unrolled: 1-line block ×4, first 2 shown]
	v_perm_b32 v54, v38, v37, s34
	v_perm_b32 v56, v38, v37, s31
	;; [unrolled: 1-line block ×3, first 2 shown]
	v_or_b32_e32 v27, v50, v29
	v_or_b32_e32 v28, v51, v48
	;; [unrolled: 1-line block ×4, first 2 shown]
	v_perm_b32 v32, v33, v34, s35
	v_or_b32_e32 v33, v54, v53
	v_or_b32_e32 v34, v56, v55
	;; [unrolled: 1-line block ×3, first 2 shown]
	s_waitcnt vmcnt(3)
	v_perm_b32 v36, v3, v3, s18
	s_waitcnt vmcnt(2)
	v_perm_b32 v3, v45, v3, s27
	s_waitcnt vmcnt(1)
	v_lshrrev_b32_e32 v39, 24, v46
	v_dot4_i32_i8 v0, v36, v7, v0
	v_dot4_i32_i8 v1, v23, v36, v1
	;; [unrolled: 1-line block ×4, first 2 shown]
	v_perm_b32 v38, v46, v45, s27
	v_bfe_i32 v7, v39, 0, 8
	v_dot4_i32_i8 v0, v3, v20, v0
	v_dot4_i32_i8 v1, v21, v3, v1
	;; [unrolled: 1-line block ×4, first 2 shown]
	v_pk_mul_lo_u16 v4, v7, v32 op_sel_hi:[0,1]
	v_pk_mul_lo_u16 v7, v7, v31 op_sel_hi:[0,1]
	v_dot4_i32_i8 v0, v38, v27, v0
	v_dot4_i32_i8 v1, v28, v38, v1
	;; [unrolled: 1-line block ×4, first 2 shown]
	v_add_u32_sdwa v0, v0, sext(v4) dst_sel:DWORD dst_unused:UNUSED_PAD src0_sel:DWORD src1_sel:WORD_0
	v_add_u32_sdwa v1, v1, sext(v4) dst_sel:DWORD dst_unused:UNUSED_PAD src0_sel:DWORD src1_sel:WORD_1
	v_add_u32_sdwa v2, v2, sext(v7) dst_sel:DWORD dst_unused:UNUSED_PAD src0_sel:DWORD src1_sel:WORD_0
	v_add_u32_sdwa v3, v3, sext(v7) dst_sel:DWORD dst_unused:UNUSED_PAD src0_sel:DWORD src1_sel:WORD_1
	s_waitcnt vmcnt(0)
	v_dot4_i32_i8 v4, v47, v33, v3
	v_dot4_i32_i8 v2, v47, v34, v2
	;; [unrolled: 1-line block ×4, first 2 shown]
	s_andn2_b64 exec, exec, s[10:11]
	s_cbranch_execnz .LBB72_35
; %bb.36:
	s_or_b64 exec, exec, s[10:11]
	v_mov_b32_e32 v3, v4
.LBB72_37:
	s_or_b64 exec, exec, s[8:9]
	v_and_b32_e32 v5, 3, v18
	v_mov_b32_e32 v6, 0
	v_cmp_ne_u64_e32 vcc, 0, v[5:6]
	s_mov_b64 s[10:11], 0
	s_and_saveexec_b64 s[8:9], vcc
	s_cbranch_execz .LBB72_41
; %bb.38:
	v_lshlrev_b64 v[14:15], 3, v[14:15]
	v_mov_b32_e32 v4, s13
	v_add_co_u32_e32 v14, vcc, s12, v14
	v_addc_co_u32_e32 v15, vcc, v4, v15, vcc
	v_lshlrev_b32_e32 v5, 1, v5
	v_mov_b32_e32 v4, s7
	s_mov_b32 s7, 0xc0c0703
	s_mov_b32 s12, 0x7030c0c
	;; [unrolled: 1-line block ×8, first 2 shown]
	s_movk_i32 s21, 0x100
.LBB72_39:                              ; =>This Inner Loop Header: Depth=1
	global_load_dwordx2 v[20:21], v[14:15], off
	global_load_dwordx4 v[16:19], v[12:13], off
	v_add_co_u32_e64 v5, s[0:1], -2, v5
	v_addc_co_u32_e64 v6, s[0:1], -1, v6, s[0:1]
	v_cmp_eq_u64_e64 s[0:1], 0, v[5:6]
	s_or_b64 s[10:11], s[0:1], s[10:11]
	s_waitcnt vmcnt(1)
	v_sub_co_u32_e32 v20, vcc, v20, v10
	v_subb_co_u32_e32 v21, vcc, v21, v11, vcc
	v_lshlrev_b64 v[20:21], 2, v[20:21]
	s_waitcnt vmcnt(0)
	v_perm_b32 v22, v17, v16, s13
	v_add_co_u32_e32 v20, vcc, s6, v20
	v_addc_co_u32_e32 v21, vcc, v4, v21, vcc
	global_load_dword v7, v[20:21], off
	v_add_co_u32_e32 v12, vcc, s21, v12
	v_addc_co_u32_e32 v13, vcc, 0, v13, vcc
	v_perm_b32 v20, v17, v16, s7
	v_perm_b32 v21, v19, v18, s12
	;; [unrolled: 1-line block ×7, first 2 shown]
	v_add_co_u32_e32 v14, vcc, 0x80, v14
	v_or_b32_e32 v18, v21, v20
	v_or_b32_e32 v19, v23, v22
	;; [unrolled: 1-line block ×4, first 2 shown]
	v_addc_co_u32_e32 v15, vcc, 0, v15, vcc
	s_waitcnt vmcnt(0)
	v_dot4_i32_i8 v3, v7, v18, v3
	v_dot4_i32_i8 v2, v7, v19, v2
	v_dot4_i32_i8 v1, v7, v20, v1
	v_dot4_i32_i8 v0, v7, v16, v0
	s_andn2_b64 exec, exec, s[10:11]
	s_cbranch_execnz .LBB72_39
; %bb.40:
	s_or_b64 exec, exec, s[10:11]
	v_mov_b32_e32 v4, v3
.LBB72_41:
	s_or_b64 exec, exec, s[8:9]
.LBB72_42:
	s_or_b64 exec, exec, s[2:3]
.LBB72_43:
	v_mov_b32_dpp v3, v0 row_shr:1 row_mask:0xf bank_mask:0xf
	v_mov_b32_dpp v5, v1 row_shr:1 row_mask:0xf bank_mask:0xf
	v_mov_b32_dpp v6, v2 row_shr:1 row_mask:0xf bank_mask:0xf
	v_mov_b32_dpp v7, v4 row_shr:1 row_mask:0xf bank_mask:0xf
	v_add_u32_e32 v0, v3, v0
	v_add_u32_e32 v1, v5, v1
	v_add_u32_e32 v2, v6, v2
	v_add_u32_e32 v4, v7, v4
	v_mov_b32_dpp v3, v0 row_shr:2 row_mask:0xf bank_mask:0xf
	v_mov_b32_dpp v5, v1 row_shr:2 row_mask:0xf bank_mask:0xf
	v_mov_b32_dpp v6, v2 row_shr:2 row_mask:0xf bank_mask:0xf
	v_mov_b32_dpp v7, v4 row_shr:2 row_mask:0xf bank_mask:0xf
	v_add_u32_e32 v0, v0, v3
	v_add_u32_e32 v1, v1, v5
	v_add_u32_e32 v2, v2, v6
	v_add_u32_e32 v4, v4, v7
	v_mov_b32_dpp v3, v0 row_shr:4 row_mask:0xf bank_mask:0xe
	v_mov_b32_dpp v5, v1 row_shr:4 row_mask:0xf bank_mask:0xe
	v_mov_b32_dpp v6, v2 row_shr:4 row_mask:0xf bank_mask:0xe
	v_mov_b32_dpp v7, v4 row_shr:4 row_mask:0xf bank_mask:0xe
	v_add_u32_e32 v0, v0, v3
	v_add_u32_e32 v1, v1, v5
	v_add_u32_e32 v2, v2, v6
	v_add_u32_e32 v4, v4, v7
	v_mov_b32_dpp v3, v0 row_shr:8 row_mask:0xf bank_mask:0xc
	v_mov_b32_dpp v5, v1 row_shr:8 row_mask:0xf bank_mask:0xc
	v_mov_b32_dpp v6, v2 row_shr:8 row_mask:0xf bank_mask:0xc
	v_mov_b32_dpp v7, v4 row_shr:8 row_mask:0xf bank_mask:0xc
	v_cmp_eq_u32_e32 vcc, 15, v26
	s_and_b64 exec, exec, vcc
	s_cbranch_execz .LBB72_14
; %bb.44:
	s_load_dwordx2 s[0:1], s[4:5], 0x58
	v_add_u32_e32 v0, v0, v3
	v_add_u32_e32 v1, v1, v5
	;; [unrolled: 1-line block ×4, first 2 shown]
	v_mul_lo_u32 v0, v0, s16
	v_mul_lo_u32 v1, v1, s16
	;; [unrolled: 1-line block ×4, first 2 shown]
	v_lshlrev_b64 v[4:5], 4, v[8:9]
	s_cmp_eq_u32 s17, 0
	s_cbranch_scc1 .LBB72_46
; %bb.45:
	s_waitcnt lgkmcnt(0)
	v_mov_b32_e32 v6, s1
	v_add_co_u32_e32 v14, vcc, s0, v4
	v_addc_co_u32_e32 v15, vcc, v6, v5, vcc
	global_load_dwordx4 v[6:9], v[14:15], off
	s_waitcnt vmcnt(0)
	v_mad_u64_u32 v[10:11], s[2:3], v6, s17, v[0:1]
	v_mad_u64_u32 v[16:17], s[2:3], v9, s17, v[3:4]
	v_mad_u64_u32 v[11:12], s[2:3], v7, s17, v[1:2]
	v_mad_u64_u32 v[12:13], s[2:3], v8, s17, v[2:3]
	v_mov_b32_e32 v13, v16
	global_store_dwordx4 v[14:15], v[10:13], off
	s_cbranch_execnz .LBB72_14
	s_branch .LBB72_47
.LBB72_46:
.LBB72_47:
	s_waitcnt lgkmcnt(0)
	v_mov_b32_e32 v6, s1
	v_add_co_u32_e32 v4, vcc, s0, v4
	v_addc_co_u32_e32 v5, vcc, v6, v5, vcc
	global_store_dwordx4 v[4:5], v[0:3], off
	s_endpgm
	.section	.rodata,"a",@progbits
	.p2align	6, 0x0
	.amdhsa_kernel _ZN9rocsparseL18bsrxmvn_4x4_kernelILj128ELj16EillaaiEEvT3_20rocsparse_direction_NS_24const_host_device_scalarIT1_EES1_PKS1_PKT2_SA_S7_PKT4_PKT5_S5_PT6_21rocsparse_index_base_b
		.amdhsa_group_segment_fixed_size 0
		.amdhsa_private_segment_fixed_size 0
		.amdhsa_kernarg_size 104
		.amdhsa_user_sgpr_count 6
		.amdhsa_user_sgpr_private_segment_buffer 1
		.amdhsa_user_sgpr_dispatch_ptr 0
		.amdhsa_user_sgpr_queue_ptr 0
		.amdhsa_user_sgpr_kernarg_segment_ptr 1
		.amdhsa_user_sgpr_dispatch_id 0
		.amdhsa_user_sgpr_flat_scratch_init 0
		.amdhsa_user_sgpr_private_segment_size 0
		.amdhsa_uses_dynamic_stack 0
		.amdhsa_system_sgpr_private_segment_wavefront_offset 0
		.amdhsa_system_sgpr_workgroup_id_x 1
		.amdhsa_system_sgpr_workgroup_id_y 0
		.amdhsa_system_sgpr_workgroup_id_z 0
		.amdhsa_system_sgpr_workgroup_info 0
		.amdhsa_system_vgpr_workitem_id 0
		.amdhsa_next_free_vgpr 59
		.amdhsa_next_free_sgpr 37
		.amdhsa_reserve_vcc 1
		.amdhsa_reserve_flat_scratch 0
		.amdhsa_float_round_mode_32 0
		.amdhsa_float_round_mode_16_64 0
		.amdhsa_float_denorm_mode_32 3
		.amdhsa_float_denorm_mode_16_64 3
		.amdhsa_dx10_clamp 1
		.amdhsa_ieee_mode 1
		.amdhsa_fp16_overflow 0
		.amdhsa_exception_fp_ieee_invalid_op 0
		.amdhsa_exception_fp_denorm_src 0
		.amdhsa_exception_fp_ieee_div_zero 0
		.amdhsa_exception_fp_ieee_overflow 0
		.amdhsa_exception_fp_ieee_underflow 0
		.amdhsa_exception_fp_ieee_inexact 0
		.amdhsa_exception_int_div_zero 0
	.end_amdhsa_kernel
	.section	.text._ZN9rocsparseL18bsrxmvn_4x4_kernelILj128ELj16EillaaiEEvT3_20rocsparse_direction_NS_24const_host_device_scalarIT1_EES1_PKS1_PKT2_SA_S7_PKT4_PKT5_S5_PT6_21rocsparse_index_base_b,"axG",@progbits,_ZN9rocsparseL18bsrxmvn_4x4_kernelILj128ELj16EillaaiEEvT3_20rocsparse_direction_NS_24const_host_device_scalarIT1_EES1_PKS1_PKT2_SA_S7_PKT4_PKT5_S5_PT6_21rocsparse_index_base_b,comdat
.Lfunc_end72:
	.size	_ZN9rocsparseL18bsrxmvn_4x4_kernelILj128ELj16EillaaiEEvT3_20rocsparse_direction_NS_24const_host_device_scalarIT1_EES1_PKS1_PKT2_SA_S7_PKT4_PKT5_S5_PT6_21rocsparse_index_base_b, .Lfunc_end72-_ZN9rocsparseL18bsrxmvn_4x4_kernelILj128ELj16EillaaiEEvT3_20rocsparse_direction_NS_24const_host_device_scalarIT1_EES1_PKS1_PKT2_SA_S7_PKT4_PKT5_S5_PT6_21rocsparse_index_base_b
                                        ; -- End function
	.set _ZN9rocsparseL18bsrxmvn_4x4_kernelILj128ELj16EillaaiEEvT3_20rocsparse_direction_NS_24const_host_device_scalarIT1_EES1_PKS1_PKT2_SA_S7_PKT4_PKT5_S5_PT6_21rocsparse_index_base_b.num_vgpr, 59
	.set _ZN9rocsparseL18bsrxmvn_4x4_kernelILj128ELj16EillaaiEEvT3_20rocsparse_direction_NS_24const_host_device_scalarIT1_EES1_PKS1_PKT2_SA_S7_PKT4_PKT5_S5_PT6_21rocsparse_index_base_b.num_agpr, 0
	.set _ZN9rocsparseL18bsrxmvn_4x4_kernelILj128ELj16EillaaiEEvT3_20rocsparse_direction_NS_24const_host_device_scalarIT1_EES1_PKS1_PKT2_SA_S7_PKT4_PKT5_S5_PT6_21rocsparse_index_base_b.numbered_sgpr, 37
	.set _ZN9rocsparseL18bsrxmvn_4x4_kernelILj128ELj16EillaaiEEvT3_20rocsparse_direction_NS_24const_host_device_scalarIT1_EES1_PKS1_PKT2_SA_S7_PKT4_PKT5_S5_PT6_21rocsparse_index_base_b.num_named_barrier, 0
	.set _ZN9rocsparseL18bsrxmvn_4x4_kernelILj128ELj16EillaaiEEvT3_20rocsparse_direction_NS_24const_host_device_scalarIT1_EES1_PKS1_PKT2_SA_S7_PKT4_PKT5_S5_PT6_21rocsparse_index_base_b.private_seg_size, 0
	.set _ZN9rocsparseL18bsrxmvn_4x4_kernelILj128ELj16EillaaiEEvT3_20rocsparse_direction_NS_24const_host_device_scalarIT1_EES1_PKS1_PKT2_SA_S7_PKT4_PKT5_S5_PT6_21rocsparse_index_base_b.uses_vcc, 1
	.set _ZN9rocsparseL18bsrxmvn_4x4_kernelILj128ELj16EillaaiEEvT3_20rocsparse_direction_NS_24const_host_device_scalarIT1_EES1_PKS1_PKT2_SA_S7_PKT4_PKT5_S5_PT6_21rocsparse_index_base_b.uses_flat_scratch, 0
	.set _ZN9rocsparseL18bsrxmvn_4x4_kernelILj128ELj16EillaaiEEvT3_20rocsparse_direction_NS_24const_host_device_scalarIT1_EES1_PKS1_PKT2_SA_S7_PKT4_PKT5_S5_PT6_21rocsparse_index_base_b.has_dyn_sized_stack, 0
	.set _ZN9rocsparseL18bsrxmvn_4x4_kernelILj128ELj16EillaaiEEvT3_20rocsparse_direction_NS_24const_host_device_scalarIT1_EES1_PKS1_PKT2_SA_S7_PKT4_PKT5_S5_PT6_21rocsparse_index_base_b.has_recursion, 0
	.set _ZN9rocsparseL18bsrxmvn_4x4_kernelILj128ELj16EillaaiEEvT3_20rocsparse_direction_NS_24const_host_device_scalarIT1_EES1_PKS1_PKT2_SA_S7_PKT4_PKT5_S5_PT6_21rocsparse_index_base_b.has_indirect_call, 0
	.section	.AMDGPU.csdata,"",@progbits
; Kernel info:
; codeLenInByte = 3600
; TotalNumSgprs: 41
; NumVgprs: 59
; ScratchSize: 0
; MemoryBound: 0
; FloatMode: 240
; IeeeMode: 1
; LDSByteSize: 0 bytes/workgroup (compile time only)
; SGPRBlocks: 5
; VGPRBlocks: 14
; NumSGPRsForWavesPerEU: 41
; NumVGPRsForWavesPerEU: 59
; Occupancy: 4
; WaveLimiterHint : 1
; COMPUTE_PGM_RSRC2:SCRATCH_EN: 0
; COMPUTE_PGM_RSRC2:USER_SGPR: 6
; COMPUTE_PGM_RSRC2:TRAP_HANDLER: 0
; COMPUTE_PGM_RSRC2:TGID_X_EN: 1
; COMPUTE_PGM_RSRC2:TGID_Y_EN: 0
; COMPUTE_PGM_RSRC2:TGID_Z_EN: 0
; COMPUTE_PGM_RSRC2:TIDIG_COMP_CNT: 0
	.section	.text._ZN9rocsparseL18bsrxmvn_4x4_kernelILj128ELj32EillaaiEEvT3_20rocsparse_direction_NS_24const_host_device_scalarIT1_EES1_PKS1_PKT2_SA_S7_PKT4_PKT5_S5_PT6_21rocsparse_index_base_b,"axG",@progbits,_ZN9rocsparseL18bsrxmvn_4x4_kernelILj128ELj32EillaaiEEvT3_20rocsparse_direction_NS_24const_host_device_scalarIT1_EES1_PKS1_PKT2_SA_S7_PKT4_PKT5_S5_PT6_21rocsparse_index_base_b,comdat
	.globl	_ZN9rocsparseL18bsrxmvn_4x4_kernelILj128ELj32EillaaiEEvT3_20rocsparse_direction_NS_24const_host_device_scalarIT1_EES1_PKS1_PKT2_SA_S7_PKT4_PKT5_S5_PT6_21rocsparse_index_base_b ; -- Begin function _ZN9rocsparseL18bsrxmvn_4x4_kernelILj128ELj32EillaaiEEvT3_20rocsparse_direction_NS_24const_host_device_scalarIT1_EES1_PKS1_PKT2_SA_S7_PKT4_PKT5_S5_PT6_21rocsparse_index_base_b
	.p2align	8
	.type	_ZN9rocsparseL18bsrxmvn_4x4_kernelILj128ELj32EillaaiEEvT3_20rocsparse_direction_NS_24const_host_device_scalarIT1_EES1_PKS1_PKT2_SA_S7_PKT4_PKT5_S5_PT6_21rocsparse_index_base_b,@function
_ZN9rocsparseL18bsrxmvn_4x4_kernelILj128ELj32EillaaiEEvT3_20rocsparse_direction_NS_24const_host_device_scalarIT1_EES1_PKS1_PKT2_SA_S7_PKT4_PKT5_S5_PT6_21rocsparse_index_base_b: ; @_ZN9rocsparseL18bsrxmvn_4x4_kernelILj128ELj32EillaaiEEvT3_20rocsparse_direction_NS_24const_host_device_scalarIT1_EES1_PKS1_PKT2_SA_S7_PKT4_PKT5_S5_PT6_21rocsparse_index_base_b
; %bb.0:
	s_load_dwordx2 s[8:9], s[4:5], 0x60
	s_load_dwordx4 s[0:3], s[4:5], 0x10
	s_mov_b64 s[14:15], -1
                                        ; implicit-def: $sgpr16
	s_waitcnt lgkmcnt(0)
	s_bitcmp1_b32 s9, 0
	s_cselect_b64 s[10:11], -1, 0
	s_xor_b64 s[12:13], s[10:11], -1
	s_and_b64 vcc, exec, s[12:13]
	s_cbranch_vccnz .LBB73_4
; %bb.1:
	s_load_dwordx2 s[10:11], s[4:5], 0x50
	s_andn2_b64 vcc, exec, s[14:15]
	s_cbranch_vccz .LBB73_5
.LBB73_2:
	s_and_b64 vcc, exec, s[12:13]
	s_cbranch_vccz .LBB73_6
.LBB73_3:
	s_waitcnt lgkmcnt(0)
	s_load_dword s17, s[10:11], 0x0
	s_cbranch_execz .LBB73_7
	s_branch .LBB73_8
.LBB73_4:
	s_load_dword s16, s[0:1], 0x0
	s_load_dwordx2 s[10:11], s[4:5], 0x50
	s_cbranch_execnz .LBB73_2
.LBB73_5:
	s_waitcnt lgkmcnt(0)
	s_mov_b32 s16, s0
	s_and_b64 vcc, exec, s[12:13]
	s_cbranch_vccnz .LBB73_3
.LBB73_6:
                                        ; implicit-def: $sgpr17
.LBB73_7:
	s_waitcnt lgkmcnt(0)
	s_mov_b32 s17, s10
.LBB73_8:
	s_waitcnt lgkmcnt(0)
	s_cmp_lg_u32 s16, 0
	s_cselect_b64 s[0:1], -1, 0
	s_cmp_lg_u32 s17, 1
	s_cselect_b64 s[10:11], -1, 0
	s_or_b64 s[0:1], s[0:1], s[10:11]
	s_andn2_b64 vcc, exec, s[0:1]
	s_cbranch_vccnz .LBB73_14
; %bb.9:
	s_load_dwordx2 s[10:11], s[4:5], 0x20
	v_lshrrev_b32_e32 v1, 5, v0
	v_lshl_or_b32 v1, s6, 2, v1
	v_mov_b32_e32 v2, 0
	s_mov_b64 s[0:1], 0
	s_waitcnt lgkmcnt(0)
	s_cmp_lg_u64 s[10:11], 0
	s_cbranch_scc0 .LBB73_15
; %bb.10:
	v_cmp_gt_i64_e32 vcc, s[2:3], v[1:2]
                                        ; implicit-def: $vgpr8_vgpr9
                                        ; implicit-def: $vgpr10_vgpr11
	s_and_saveexec_b64 s[2:3], vcc
	s_xor_b64 s[2:3], exec, s[2:3]
	s_cbranch_execz .LBB73_12
; %bb.11:
	v_lshlrev_b64 v[3:4], 3, v[1:2]
	v_mov_b32_e32 v5, s11
	v_add_co_u32_e32 v3, vcc, s10, v3
	v_addc_co_u32_e32 v4, vcc, v5, v4, vcc
	global_load_dwordx2 v[3:4], v[3:4], off
	s_mov_b32 s9, 0
	v_mov_b32_e32 v11, s9
	s_mov_b64 s[0:1], exec
	v_mov_b32_e32 v10, s8
	s_waitcnt vmcnt(0)
	v_subrev_co_u32_e32 v8, vcc, s8, v3
	v_subbrev_co_u32_e32 v9, vcc, 0, v4, vcc
.LBB73_12:
	s_or_b64 exec, exec, s[2:3]
.LBB73_13:
	s_and_saveexec_b64 s[2:3], s[0:1]
	s_cbranch_execnz .LBB73_19
.LBB73_14:
	s_endpgm
.LBB73_15:
                                        ; implicit-def: $vgpr8_vgpr9
                                        ; implicit-def: $vgpr10_vgpr11
	s_cbranch_execz .LBB73_13
; %bb.16:
	s_load_dwordx2 s[2:3], s[4:5], 0x0
	s_waitcnt lgkmcnt(0)
	v_cmp_gt_i64_e32 vcc, s[2:3], v[1:2]
	s_and_saveexec_b64 s[2:3], vcc
; %bb.17:
	s_mov_b32 s9, 0
	s_or_b64 s[0:1], s[0:1], exec
; %bb.18:
	s_or_b64 exec, exec, s[2:3]
	v_mov_b32_e32 v11, s9
	v_mov_b32_e32 v9, v2
	;; [unrolled: 1-line block ×4, first 2 shown]
	s_and_saveexec_b64 s[2:3], s[0:1]
	s_cbranch_execz .LBB73_14
.LBB73_19:
	s_load_dwordx8 s[8:15], s[4:5], 0x28
	v_lshlrev_b64 v[1:2], 3, v[8:9]
	v_and_b32_e32 v26, 31, v0
	s_waitcnt lgkmcnt(0)
	v_mov_b32_e32 v4, s9
	v_add_co_u32_e32 v3, vcc, s8, v1
	v_addc_co_u32_e32 v4, vcc, v4, v2, vcc
	global_load_dwordx2 v[16:17], v[3:4], off
	v_add_co_u32_e32 v3, vcc, 8, v3
	v_addc_co_u32_e32 v4, vcc, 0, v4, vcc
	v_mov_b32_e32 v5, s11
	v_add_co_u32_e32 v1, vcc, s10, v1
	s_cmp_eq_u64 s[10:11], 0
	v_addc_co_u32_e32 v2, vcc, v5, v2, vcc
	s_cselect_b64 vcc, -1, 0
	v_cndmask_b32_e32 v2, v2, v4, vcc
	v_cndmask_b32_e32 v1, v1, v3, vcc
	global_load_dwordx2 v[1:2], v[1:2], off
	s_load_dword s0, s[4:5], 0x8
	s_load_dwordx2 s[6:7], s[4:5], 0x48
	v_mov_b32_e32 v3, s15
	v_mov_b32_e32 v4, 0
	s_waitcnt lgkmcnt(0)
	s_cmp_eq_u32 s0, 1
	s_waitcnt vmcnt(1)
	v_sub_co_u32_e32 v0, vcc, v16, v10
	v_subb_co_u32_e32 v5, vcc, v17, v11, vcc
	v_add_co_u32_e32 v14, vcc, v0, v26
	v_addc_co_u32_e32 v15, vcc, 0, v5, vcc
	s_waitcnt vmcnt(0)
	v_sub_co_u32_e32 v18, vcc, v1, v10
	v_lshlrev_b64 v[0:1], 4, v[14:15]
	v_subb_co_u32_e32 v19, vcc, v2, v11, vcc
	v_cmp_lt_i64_e64 s[0:1], v[14:15], v[18:19]
	v_add_co_u32_e32 v12, vcc, s14, v0
	v_addc_co_u32_e32 v13, vcc, v3, v1, vcc
	s_cbranch_scc1 .LBB73_31
; %bb.20:
	v_mov_b32_e32 v2, 0
	v_mov_b32_e32 v1, 0
	;; [unrolled: 1-line block ×3, first 2 shown]
	s_and_saveexec_b64 s[8:9], s[0:1]
	s_cbranch_execz .LBB73_30
; %bb.21:
	v_or_b32_e32 v0, 32, v26
	v_sub_co_u32_e32 v0, vcc, v0, v10
	v_subb_co_u32_e32 v1, vcc, 0, v11, vcc
	v_add_co_u32_e32 v0, vcc, v0, v16
	v_addc_co_u32_e32 v1, vcc, v1, v17, vcc
	v_cmp_gt_i64_e32 vcc, v[0:1], v[18:19]
	v_not_b32_e32 v3, v16
	v_cndmask_b32_e32 v1, v19, v1, vcc
	v_cndmask_b32_e32 v0, v18, v0, vcc
	v_sub_co_u32_e32 v4, vcc, v10, v26
	v_subbrev_co_u32_e32 v5, vcc, 0, v11, vcc
	v_not_b32_e32 v2, v17
	v_add_co_u32_e32 v3, vcc, v4, v3
	v_addc_co_u32_e32 v2, vcc, v5, v2, vcc
	v_add_co_u32_e32 v0, vcc, v3, v0
	v_addc_co_u32_e32 v1, vcc, v2, v1, vcc
	v_lshrrev_b64 v[2:3], 5, v[0:1]
	s_mov_b64 s[2:3], 0x5f
	v_add_co_u32_e32 v27, vcc, 1, v2
	v_addc_co_u32_e32 v25, vcc, 0, v3, vcc
	v_mov_b32_e32 v4, 0
	v_cmp_lt_u64_e32 vcc, s[2:3], v[0:1]
	v_mov_b32_e32 v5, v4
	v_mov_b32_e32 v6, v4
	;; [unrolled: 1-line block ×11, first 2 shown]
	s_and_saveexec_b64 s[10:11], vcc
	s_cbranch_execz .LBB73_25
; %bb.22:
	v_lshlrev_b64 v[0:1], 3, v[14:15]
	v_mov_b32_e32 v2, s13
	v_add_co_u32_e32 v0, vcc, s12, v0
	v_addc_co_u32_e32 v1, vcc, v2, v1, vcc
	v_add_co_u32_e32 v5, vcc, 0x200, v0
	v_mov_b32_e32 v21, v13
	v_mov_b32_e32 v23, v15
	v_and_b32_e32 v24, -4, v27
	v_addc_co_u32_e32 v6, vcc, 0, v1, vcc
	s_mov_b64 s[14:15], 0
	s_movk_i32 s18, 0x800
	s_movk_i32 s19, 0x80
	v_mov_b32_e32 v20, v12
	v_mov_b32_e32 v22, v14
	;; [unrolled: 1-line block ×5, first 2 shown]
.LBB73_23:                              ; =>This Inner Loop Header: Depth=1
	global_load_dwordx2 v[44:45], v[5:6], off offset:-512
	global_load_dwordx2 v[46:47], v[5:6], off offset:-256
	global_load_dwordx2 v[48:49], v[5:6], off
	global_load_dwordx2 v[50:51], v[5:6], off offset:256
	v_mov_b32_e32 v3, s7
	global_load_dwordx4 v[28:31], v[20:21], off
	global_load_dwordx4 v[32:35], v[20:21], off offset:512
	global_load_dwordx4 v[36:39], v[20:21], off offset:1024
	;; [unrolled: 1-line block ×3, first 2 shown]
	v_add_co_u32_e64 v24, s[2:3], -4, v24
	v_addc_co_u32_e64 v25, s[2:3], -1, v25, s[2:3]
	v_cmp_eq_u64_e64 s[2:3], 0, v[24:25]
	s_or_b64 s[14:15], s[2:3], s[14:15]
	s_waitcnt vmcnt(7)
	v_sub_co_u32_e32 v44, vcc, v44, v10
	v_subb_co_u32_e32 v45, vcc, v45, v11, vcc
	s_waitcnt vmcnt(6)
	v_sub_co_u32_e32 v46, vcc, v46, v10
	v_subb_co_u32_e32 v47, vcc, v47, v11, vcc
	s_waitcnt vmcnt(5)
	v_sub_co_u32_e32 v48, vcc, v48, v10
	v_subb_co_u32_e32 v49, vcc, v49, v11, vcc
	s_waitcnt vmcnt(4)
	v_sub_co_u32_e32 v50, vcc, v50, v10
	v_lshlrev_b64 v[44:45], 2, v[44:45]
	v_subb_co_u32_e32 v51, vcc, v51, v11, vcc
	v_lshlrev_b64 v[46:47], 2, v[46:47]
	v_add_co_u32_e32 v44, vcc, s6, v44
	v_addc_co_u32_e32 v45, vcc, v3, v45, vcc
	v_lshlrev_b64 v[48:49], 2, v[48:49]
	v_add_co_u32_e32 v46, vcc, s6, v46
	v_addc_co_u32_e32 v47, vcc, v3, v47, vcc
	;; [unrolled: 3-line block ×3, first 2 shown]
	v_add_co_u32_e32 v50, vcc, s6, v50
	v_addc_co_u32_e32 v51, vcc, v3, v51, vcc
	global_load_dword v3, v[44:45], off
	global_load_dword v7, v[46:47], off
	;; [unrolled: 1-line block ×4, first 2 shown]
	s_waitcnt vmcnt(7)
	v_lshrrev_b16_e32 v44, 8, v31
	v_ashrrev_i32_e32 v45, 24, v31
	v_bfe_i32 v46, v31, 0, 8
	v_bfe_i32 v31, v31, 16, 8
	s_waitcnt vmcnt(6)
	v_lshrrev_b16_e32 v47, 8, v35
	v_add_co_u32_e32 v20, vcc, s18, v20
	v_addc_co_u32_e32 v21, vcc, 0, v21, vcc
	s_waitcnt vmcnt(5)
	v_bfe_i32 v48, v39, 8, 8
	v_add_co_u32_e32 v22, vcc, s19, v22
	v_addc_co_u32_e32 v23, vcc, 0, v23, vcc
	v_add_co_u32_e32 v5, vcc, 0x400, v5
	v_addc_co_u32_e32 v6, vcc, 0, v6, vcc
	s_waitcnt vmcnt(3)
	v_lshrrev_b16_e32 v49, 8, v3
	v_ashrrev_i32_e32 v50, 24, v3
	v_bfe_i32 v51, v3, 0, 8
	v_bfe_i32 v54, v3, 16, 8
	v_dot4_i32_i8 v0, v3, v28, v0
	v_dot4_i32_i8 v1, v3, v29, v1
	;; [unrolled: 1-line block ×3, first 2 shown]
	s_waitcnt vmcnt(2)
	v_lshrrev_b16_e32 v3, 8, v7
	v_mul_i32_i24_sdwa v29, sext(v35), sext(v7) dst_sel:DWORD dst_unused:UNUSED_PAD src0_sel:BYTE_2 src1_sel:BYTE_2
	v_mul_i32_i24_sdwa v30, sext(v35), sext(v7) dst_sel:DWORD dst_unused:UNUSED_PAD src0_sel:BYTE_3 src1_sel:BYTE_3
	v_mul_i32_i24_sdwa v28, sext(v35), sext(v7) dst_sel:DWORD dst_unused:UNUSED_PAD src0_sel:BYTE_0 src1_sel:BYTE_0
	v_mul_i32_i24_sdwa v44, sext(v44), sext(v49) dst_sel:DWORD dst_unused:UNUSED_PAD src0_sel:BYTE_0 src1_sel:BYTE_0
	v_dot4_i32_i8 v0, v7, v32, v0
	v_dot4_i32_i8 v1, v7, v33, v1
	;; [unrolled: 1-line block ×3, first 2 shown]
	v_mul_i32_i24_sdwa v3, sext(v47), sext(v3) dst_sel:DWORD dst_unused:UNUSED_PAD src0_sel:BYTE_0 src1_sel:BYTE_0
	v_mad_i32_i24 v7, v31, v54, v29
	v_mad_i32_i24 v29, v45, v50, v30
	s_waitcnt vmcnt(1)
	v_bfe_i32 v35, v52, 8, 8
	v_mul_i32_i24_sdwa v56, sext(v39), sext(v52) dst_sel:DWORD dst_unused:UNUSED_PAD src0_sel:BYTE_2 src1_sel:BYTE_2
	v_mad_i32_i24 v28, v46, v51, v28
	v_add3_u32 v3, v44, v3, v29
	v_mul_i32_i24_sdwa v55, sext(v52), sext(v39) dst_sel:DWORD dst_unused:UNUSED_PAD src0_sel:BYTE_0 src1_sel:BYTE_0
	v_mad_i32_i24 v30, v35, v48, v56
	v_add3_u32 v3, v28, v7, v3
	v_mul_i32_i24_sdwa v39, sext(v39), sext(v52) dst_sel:DWORD dst_unused:UNUSED_PAD src0_sel:BYTE_3 src1_sel:BYTE_3
	v_add3_u32 v3, v3, v55, v30
	v_dot4_i32_i8 v0, v52, v36, v0
	v_dot4_i32_i8 v1, v37, v52, v1
	;; [unrolled: 1-line block ×3, first 2 shown]
	v_add3_u32 v3, v3, v4, v39
	s_waitcnt vmcnt(0)
	v_dot4_i32_i8 v2, v53, v42, v2
	v_dot4_i32_i8 v1, v53, v41, v1
	;; [unrolled: 1-line block ×4, first 2 shown]
	s_andn2_b64 exec, exec, s[14:15]
	s_cbranch_execnz .LBB73_23
; %bb.24:
	s_or_b64 exec, exec, s[14:15]
	v_mov_b32_e32 v3, v4
.LBB73_25:
	s_or_b64 exec, exec, s[10:11]
	v_and_b32_e32 v5, 3, v27
	v_mov_b32_e32 v6, 0
	v_cmp_ne_u64_e32 vcc, 0, v[5:6]
	s_mov_b64 s[14:15], 0
	s_and_saveexec_b64 s[10:11], vcc
	s_cbranch_execz .LBB73_29
; %bb.26:
	v_lshlrev_b64 v[22:23], 3, v[22:23]
	v_mov_b32_e32 v4, s13
	v_add_co_u32_e32 v22, vcc, s12, v22
	v_addc_co_u32_e32 v23, vcc, v4, v23, vcc
	v_lshlrev_b32_e32 v5, 1, v5
	v_mov_b32_e32 v4, s7
	s_movk_i32 s18, 0x200
.LBB73_27:                              ; =>This Inner Loop Header: Depth=1
	global_load_dwordx2 v[24:25], v[22:23], off
	global_load_dwordx4 v[27:30], v[20:21], off
	v_add_co_u32_e64 v5, s[2:3], -2, v5
	v_addc_co_u32_e64 v6, s[2:3], -1, v6, s[2:3]
	v_cmp_eq_u64_e64 s[2:3], 0, v[5:6]
	s_or_b64 s[14:15], s[2:3], s[14:15]
	s_waitcnt vmcnt(1)
	v_sub_co_u32_e32 v24, vcc, v24, v10
	v_subb_co_u32_e32 v25, vcc, v25, v11, vcc
	v_lshlrev_b64 v[24:25], 2, v[24:25]
	v_add_co_u32_e32 v24, vcc, s6, v24
	v_addc_co_u32_e32 v25, vcc, v4, v25, vcc
	global_load_dword v7, v[24:25], off
	v_add_co_u32_e32 v20, vcc, s18, v20
	v_addc_co_u32_e32 v21, vcc, 0, v21, vcc
	v_add_co_u32_e32 v22, vcc, 0x100, v22
	v_addc_co_u32_e32 v23, vcc, 0, v23, vcc
	s_waitcnt vmcnt(0)
	v_dot4_i32_i8 v3, v7, v30, v3
	v_dot4_i32_i8 v2, v7, v29, v2
	;; [unrolled: 1-line block ×4, first 2 shown]
	s_andn2_b64 exec, exec, s[14:15]
	s_cbranch_execnz .LBB73_27
; %bb.28:
	s_or_b64 exec, exec, s[14:15]
	v_mov_b32_e32 v4, v3
.LBB73_29:
	s_or_b64 exec, exec, s[10:11]
.LBB73_30:
	s_or_b64 exec, exec, s[8:9]
	s_cbranch_execz .LBB73_32
	s_branch .LBB73_43
.LBB73_31:
                                        ; implicit-def: $vgpr4
                                        ; implicit-def: $vgpr2
.LBB73_32:
	v_mov_b32_e32 v4, 0
	v_mov_b32_e32 v2, 0
	;; [unrolled: 1-line block ×4, first 2 shown]
	s_and_saveexec_b64 s[8:9], s[0:1]
	s_cbranch_execz .LBB73_42
; %bb.33:
	v_or_b32_e32 v0, 32, v26
	v_sub_co_u32_e32 v0, vcc, v0, v10
	v_subb_co_u32_e32 v1, vcc, 0, v11, vcc
	v_add_co_u32_e32 v0, vcc, v0, v16
	v_addc_co_u32_e32 v1, vcc, v1, v17, vcc
	v_cmp_gt_i64_e32 vcc, v[0:1], v[18:19]
	v_not_b32_e32 v3, v16
	v_cndmask_b32_e32 v1, v19, v1, vcc
	v_cndmask_b32_e32 v0, v18, v0, vcc
	v_sub_co_u32_e32 v4, vcc, v10, v26
	v_subbrev_co_u32_e32 v5, vcc, 0, v11, vcc
	v_not_b32_e32 v2, v17
	v_add_co_u32_e32 v3, vcc, v4, v3
	v_addc_co_u32_e32 v2, vcc, v5, v2, vcc
	v_add_co_u32_e32 v0, vcc, v3, v0
	v_addc_co_u32_e32 v1, vcc, v2, v1, vcc
	v_lshrrev_b64 v[2:3], 5, v[0:1]
	s_mov_b64 s[0:1], 0x5f
	v_add_co_u32_e32 v18, vcc, 1, v2
	v_addc_co_u32_e32 v17, vcc, 0, v3, vcc
	v_mov_b32_e32 v4, 0
	v_cmp_lt_u64_e32 vcc, s[0:1], v[0:1]
	v_mov_b32_e32 v5, v4
	v_mov_b32_e32 v6, v4
	;; [unrolled: 1-line block ×7, first 2 shown]
	s_and_saveexec_b64 s[10:11], vcc
	s_cbranch_execz .LBB73_37
; %bb.34:
	v_lshlrev_b64 v[0:1], 3, v[14:15]
	v_mov_b32_e32 v2, s13
	v_add_co_u32_e32 v0, vcc, s12, v0
	v_addc_co_u32_e32 v1, vcc, v2, v1, vcc
	v_add_co_u32_e32 v5, vcc, 0x200, v0
	v_and_b32_e32 v16, -4, v18
	v_addc_co_u32_e32 v6, vcc, 0, v1, vcc
	s_mov_b64 s[14:15], 0
	s_mov_b32 s18, 0xc04000c
	s_mov_b32 s19, 0xc0c0c00
	;; [unrolled: 1-line block ×19, first 2 shown]
	s_movk_i32 s38, 0x800
	s_movk_i32 s39, 0x80
	v_mov_b32_e32 v2, 0
	v_mov_b32_e32 v1, 0
	;; [unrolled: 1-line block ×3, first 2 shown]
.LBB73_35:                              ; =>This Inner Loop Header: Depth=1
	global_load_dwordx4 v[19:22], v[12:13], off
	global_load_dwordx2 v[23:24], v[5:6], off offset:-512
	global_load_dwordx2 v[39:40], v[5:6], off offset:-256
	global_load_dwordx2 v[41:42], v[5:6], off
	global_load_dwordx2 v[43:44], v[5:6], off offset:256
	global_load_dwordx4 v[27:30], v[12:13], off offset:512
	global_load_dwordx4 v[31:34], v[12:13], off offset:1024
	;; [unrolled: 1-line block ×3, first 2 shown]
	v_add_co_u32_e32 v12, vcc, s38, v12
	s_mov_b64 s[0:1], vcc
	v_add_co_u32_e32 v16, vcc, -4, v16
	v_addc_co_u32_e32 v17, vcc, -1, v17, vcc
	v_add_co_u32_e32 v14, vcc, s39, v14
	s_mov_b64 s[2:3], vcc
	v_addc_co_u32_e64 v13, vcc, 0, v13, s[0:1]
	v_add_co_u32_e32 v5, vcc, 0x400, v5
	v_addc_co_u32_e32 v6, vcc, 0, v6, vcc
	v_mov_b32_e32 v3, s7
	v_cmp_eq_u64_e64 s[0:1], 0, v[16:17]
	v_addc_co_u32_e64 v15, s[2:3], 0, v15, s[2:3]
	s_or_b64 s[14:15], s[0:1], s[14:15]
	s_waitcnt vmcnt(7)
	v_perm_b32 v7, v21, v20, s18
	s_waitcnt vmcnt(6)
	v_sub_co_u32_e32 v23, vcc, v23, v10
	v_subb_co_u32_e32 v24, vcc, v24, v11, vcc
	s_waitcnt vmcnt(5)
	v_sub_co_u32_e32 v39, vcc, v39, v10
	v_subb_co_u32_e32 v40, vcc, v40, v11, vcc
	;; [unrolled: 3-line block ×3, first 2 shown]
	s_waitcnt vmcnt(3)
	v_sub_co_u32_e32 v43, vcc, v43, v10
	v_lshlrev_b64 v[23:24], 2, v[23:24]
	v_subb_co_u32_e32 v44, vcc, v44, v11, vcc
	v_lshlrev_b64 v[39:40], 2, v[39:40]
	v_add_co_u32_e32 v23, vcc, s6, v23
	v_addc_co_u32_e32 v24, vcc, v3, v24, vcc
	v_lshlrev_b64 v[41:42], 2, v[41:42]
	v_add_co_u32_e32 v39, vcc, s6, v39
	v_addc_co_u32_e32 v40, vcc, v3, v40, vcc
	v_lshlrev_b64 v[43:44], 2, v[43:44]
	v_add_co_u32_e32 v41, vcc, s6, v41
	v_addc_co_u32_e32 v42, vcc, v3, v42, vcc
	v_add_co_u32_e32 v43, vcc, s6, v43
	v_addc_co_u32_e32 v44, vcc, v3, v44, vcc
	global_load_dword v3, v[23:24], off
	global_load_dword v45, v[39:40], off
	;; [unrolled: 1-line block ×4, first 2 shown]
	v_perm_b32 v23, v21, v20, s21
	v_perm_b32 v39, v21, v20, s23
	v_perm_b32 v20, v21, v20, s25
	s_waitcnt vmcnt(6)
	v_perm_b32 v21, v27, v22, s27
	v_perm_b32 v41, v27, v22, s30
	;; [unrolled: 1-line block ×8, first 2 shown]
	s_waitcnt vmcnt(5)
	v_perm_b32 v29, v31, v30, s27
	v_perm_b32 v48, v31, v30, s30
	;; [unrolled: 1-line block ×4, first 2 shown]
	v_lshrrev_b32_e32 v31, 16, v34
	s_waitcnt vmcnt(4)
	v_perm_b32 v53, v36, v35, s35
	v_perm_b32 v55, v36, v35, s33
	v_perm_b32 v57, v36, v35, s30
	v_perm_b32 v35, v36, v35, s27
	v_perm_b32 v36, v38, v37, s28
	v_perm_b32 v25, v19, v19, s19
	v_perm_b32 v24, v19, v19, s22
	v_perm_b32 v40, v19, v19, s24
	v_perm_b32 v19, v19, v19, s26
	v_or_b32_e32 v35, v36, v35
	v_ashrrev_i16_e32 v36, 8, v31
	v_bfe_i32 v31, v31, 0, 8
	v_or_b32_e32 v7, v7, v25
	v_or_b32_e32 v23, v23, v24
	;; [unrolled: 1-line block ×4, first 2 shown]
	v_perm_b32 v31, v36, v31, s37
	v_perm_b32 v50, v33, v32, s28
	;; [unrolled: 1-line block ×5, first 2 shown]
	v_ashrrev_i16_e32 v33, 8, v34
	v_bfe_i32 v34, v34, 0, 8
	v_or_b32_e32 v20, v27, v21
	v_or_b32_e32 v21, v43, v41
	;; [unrolled: 1-line block ×4, first 2 shown]
	v_perm_b32 v54, v38, v37, s36
	v_perm_b32 v56, v38, v37, s34
	;; [unrolled: 1-line block ×3, first 2 shown]
	v_or_b32_e32 v27, v50, v29
	v_or_b32_e32 v28, v51, v48
	;; [unrolled: 1-line block ×4, first 2 shown]
	v_perm_b32 v32, v33, v34, s37
	v_or_b32_e32 v33, v54, v53
	v_or_b32_e32 v34, v56, v55
	;; [unrolled: 1-line block ×3, first 2 shown]
	s_waitcnt vmcnt(3)
	v_perm_b32 v36, v3, v3, s20
	s_waitcnt vmcnt(2)
	v_perm_b32 v3, v45, v3, s29
	s_waitcnt vmcnt(1)
	v_lshrrev_b32_e32 v39, 24, v46
	v_dot4_i32_i8 v0, v36, v7, v0
	v_dot4_i32_i8 v1, v23, v36, v1
	;; [unrolled: 1-line block ×4, first 2 shown]
	v_perm_b32 v38, v46, v45, s29
	v_bfe_i32 v7, v39, 0, 8
	v_dot4_i32_i8 v0, v3, v20, v0
	v_dot4_i32_i8 v1, v21, v3, v1
	;; [unrolled: 1-line block ×4, first 2 shown]
	v_pk_mul_lo_u16 v4, v7, v32 op_sel_hi:[0,1]
	v_pk_mul_lo_u16 v7, v7, v31 op_sel_hi:[0,1]
	v_dot4_i32_i8 v0, v38, v27, v0
	v_dot4_i32_i8 v1, v28, v38, v1
	;; [unrolled: 1-line block ×4, first 2 shown]
	v_add_u32_sdwa v0, v0, sext(v4) dst_sel:DWORD dst_unused:UNUSED_PAD src0_sel:DWORD src1_sel:WORD_0
	v_add_u32_sdwa v1, v1, sext(v4) dst_sel:DWORD dst_unused:UNUSED_PAD src0_sel:DWORD src1_sel:WORD_1
	v_add_u32_sdwa v2, v2, sext(v7) dst_sel:DWORD dst_unused:UNUSED_PAD src0_sel:DWORD src1_sel:WORD_0
	v_add_u32_sdwa v3, v3, sext(v7) dst_sel:DWORD dst_unused:UNUSED_PAD src0_sel:DWORD src1_sel:WORD_1
	s_waitcnt vmcnt(0)
	v_dot4_i32_i8 v4, v47, v33, v3
	v_dot4_i32_i8 v2, v47, v34, v2
	;; [unrolled: 1-line block ×4, first 2 shown]
	s_andn2_b64 exec, exec, s[14:15]
	s_cbranch_execnz .LBB73_35
; %bb.36:
	s_or_b64 exec, exec, s[14:15]
	v_mov_b32_e32 v3, v4
.LBB73_37:
	s_or_b64 exec, exec, s[10:11]
	v_and_b32_e32 v5, 3, v18
	v_mov_b32_e32 v6, 0
	v_cmp_ne_u64_e32 vcc, 0, v[5:6]
	s_mov_b64 s[10:11], 0
	s_and_saveexec_b64 s[2:3], vcc
	s_cbranch_execz .LBB73_41
; %bb.38:
	v_lshlrev_b64 v[14:15], 3, v[14:15]
	v_mov_b32_e32 v4, s13
	v_add_co_u32_e32 v14, vcc, s12, v14
	v_addc_co_u32_e32 v15, vcc, v4, v15, vcc
	v_lshlrev_b32_e32 v5, 1, v5
	v_mov_b32_e32 v4, s7
	s_mov_b32 s7, 0xc0c0703
	s_mov_b32 s12, 0x7030c0c
	;; [unrolled: 1-line block ×8, first 2 shown]
	s_movk_i32 s21, 0x200
.LBB73_39:                              ; =>This Inner Loop Header: Depth=1
	global_load_dwordx2 v[20:21], v[14:15], off
	global_load_dwordx4 v[16:19], v[12:13], off
	v_add_co_u32_e64 v5, s[0:1], -2, v5
	v_addc_co_u32_e64 v6, s[0:1], -1, v6, s[0:1]
	v_cmp_eq_u64_e64 s[0:1], 0, v[5:6]
	s_or_b64 s[10:11], s[0:1], s[10:11]
	s_waitcnt vmcnt(1)
	v_sub_co_u32_e32 v20, vcc, v20, v10
	v_subb_co_u32_e32 v21, vcc, v21, v11, vcc
	v_lshlrev_b64 v[20:21], 2, v[20:21]
	s_waitcnt vmcnt(0)
	v_perm_b32 v22, v17, v16, s13
	v_add_co_u32_e32 v20, vcc, s6, v20
	v_addc_co_u32_e32 v21, vcc, v4, v21, vcc
	global_load_dword v7, v[20:21], off
	v_add_co_u32_e32 v12, vcc, s21, v12
	v_addc_co_u32_e32 v13, vcc, 0, v13, vcc
	v_perm_b32 v20, v17, v16, s7
	v_perm_b32 v21, v19, v18, s12
	;; [unrolled: 1-line block ×7, first 2 shown]
	v_add_co_u32_e32 v14, vcc, 0x100, v14
	v_or_b32_e32 v18, v21, v20
	v_or_b32_e32 v19, v23, v22
	;; [unrolled: 1-line block ×4, first 2 shown]
	v_addc_co_u32_e32 v15, vcc, 0, v15, vcc
	s_waitcnt vmcnt(0)
	v_dot4_i32_i8 v3, v7, v18, v3
	v_dot4_i32_i8 v2, v7, v19, v2
	;; [unrolled: 1-line block ×4, first 2 shown]
	s_andn2_b64 exec, exec, s[10:11]
	s_cbranch_execnz .LBB73_39
; %bb.40:
	s_or_b64 exec, exec, s[10:11]
	v_mov_b32_e32 v4, v3
.LBB73_41:
	s_or_b64 exec, exec, s[2:3]
.LBB73_42:
	s_or_b64 exec, exec, s[8:9]
.LBB73_43:
	v_mov_b32_dpp v3, v0 row_shr:1 row_mask:0xf bank_mask:0xf
	v_mov_b32_dpp v5, v1 row_shr:1 row_mask:0xf bank_mask:0xf
	v_mov_b32_dpp v6, v2 row_shr:1 row_mask:0xf bank_mask:0xf
	v_mov_b32_dpp v7, v4 row_shr:1 row_mask:0xf bank_mask:0xf
	v_add_u32_e32 v0, v3, v0
	v_add_u32_e32 v1, v5, v1
	v_add_u32_e32 v2, v6, v2
	v_add_u32_e32 v4, v7, v4
	v_mov_b32_dpp v3, v0 row_shr:2 row_mask:0xf bank_mask:0xf
	v_mov_b32_dpp v5, v1 row_shr:2 row_mask:0xf bank_mask:0xf
	v_mov_b32_dpp v6, v2 row_shr:2 row_mask:0xf bank_mask:0xf
	v_mov_b32_dpp v7, v4 row_shr:2 row_mask:0xf bank_mask:0xf
	v_add_u32_e32 v0, v0, v3
	v_add_u32_e32 v1, v1, v5
	v_add_u32_e32 v2, v2, v6
	v_add_u32_e32 v4, v4, v7
	;; [unrolled: 8-line block ×4, first 2 shown]
	v_mov_b32_dpp v3, v0 row_bcast:15 row_mask:0xa bank_mask:0xf
	v_mov_b32_dpp v5, v1 row_bcast:15 row_mask:0xa bank_mask:0xf
	;; [unrolled: 1-line block ×4, first 2 shown]
	v_cmp_eq_u32_e32 vcc, 31, v26
	s_and_b64 exec, exec, vcc
	s_cbranch_execz .LBB73_14
; %bb.44:
	s_load_dwordx2 s[0:1], s[4:5], 0x58
	v_add_u32_e32 v0, v0, v3
	v_add_u32_e32 v1, v1, v5
	;; [unrolled: 1-line block ×4, first 2 shown]
	v_mul_lo_u32 v0, v0, s16
	v_mul_lo_u32 v1, v1, s16
	v_mul_lo_u32 v2, v2, s16
	v_mul_lo_u32 v3, v3, s16
	v_lshlrev_b64 v[4:5], 4, v[8:9]
	s_cmp_eq_u32 s17, 0
	s_cbranch_scc1 .LBB73_46
; %bb.45:
	s_waitcnt lgkmcnt(0)
	v_mov_b32_e32 v6, s1
	v_add_co_u32_e32 v14, vcc, s0, v4
	v_addc_co_u32_e32 v15, vcc, v6, v5, vcc
	global_load_dwordx4 v[6:9], v[14:15], off
	s_waitcnt vmcnt(0)
	v_mad_u64_u32 v[10:11], s[2:3], v6, s17, v[0:1]
	v_mad_u64_u32 v[16:17], s[2:3], v9, s17, v[3:4]
	;; [unrolled: 1-line block ×4, first 2 shown]
	v_mov_b32_e32 v13, v16
	global_store_dwordx4 v[14:15], v[10:13], off
	s_cbranch_execnz .LBB73_14
	s_branch .LBB73_47
.LBB73_46:
.LBB73_47:
	s_waitcnt lgkmcnt(0)
	v_mov_b32_e32 v6, s1
	v_add_co_u32_e32 v4, vcc, s0, v4
	v_addc_co_u32_e32 v5, vcc, v6, v5, vcc
	global_store_dwordx4 v[4:5], v[0:3], off
	s_endpgm
	.section	.rodata,"a",@progbits
	.p2align	6, 0x0
	.amdhsa_kernel _ZN9rocsparseL18bsrxmvn_4x4_kernelILj128ELj32EillaaiEEvT3_20rocsparse_direction_NS_24const_host_device_scalarIT1_EES1_PKS1_PKT2_SA_S7_PKT4_PKT5_S5_PT6_21rocsparse_index_base_b
		.amdhsa_group_segment_fixed_size 0
		.amdhsa_private_segment_fixed_size 0
		.amdhsa_kernarg_size 104
		.amdhsa_user_sgpr_count 6
		.amdhsa_user_sgpr_private_segment_buffer 1
		.amdhsa_user_sgpr_dispatch_ptr 0
		.amdhsa_user_sgpr_queue_ptr 0
		.amdhsa_user_sgpr_kernarg_segment_ptr 1
		.amdhsa_user_sgpr_dispatch_id 0
		.amdhsa_user_sgpr_flat_scratch_init 0
		.amdhsa_user_sgpr_private_segment_size 0
		.amdhsa_uses_dynamic_stack 0
		.amdhsa_system_sgpr_private_segment_wavefront_offset 0
		.amdhsa_system_sgpr_workgroup_id_x 1
		.amdhsa_system_sgpr_workgroup_id_y 0
		.amdhsa_system_sgpr_workgroup_id_z 0
		.amdhsa_system_sgpr_workgroup_info 0
		.amdhsa_system_vgpr_workitem_id 0
		.amdhsa_next_free_vgpr 59
		.amdhsa_next_free_sgpr 40
		.amdhsa_reserve_vcc 1
		.amdhsa_reserve_flat_scratch 0
		.amdhsa_float_round_mode_32 0
		.amdhsa_float_round_mode_16_64 0
		.amdhsa_float_denorm_mode_32 3
		.amdhsa_float_denorm_mode_16_64 3
		.amdhsa_dx10_clamp 1
		.amdhsa_ieee_mode 1
		.amdhsa_fp16_overflow 0
		.amdhsa_exception_fp_ieee_invalid_op 0
		.amdhsa_exception_fp_denorm_src 0
		.amdhsa_exception_fp_ieee_div_zero 0
		.amdhsa_exception_fp_ieee_overflow 0
		.amdhsa_exception_fp_ieee_underflow 0
		.amdhsa_exception_fp_ieee_inexact 0
		.amdhsa_exception_int_div_zero 0
	.end_amdhsa_kernel
	.section	.text._ZN9rocsparseL18bsrxmvn_4x4_kernelILj128ELj32EillaaiEEvT3_20rocsparse_direction_NS_24const_host_device_scalarIT1_EES1_PKS1_PKT2_SA_S7_PKT4_PKT5_S5_PT6_21rocsparse_index_base_b,"axG",@progbits,_ZN9rocsparseL18bsrxmvn_4x4_kernelILj128ELj32EillaaiEEvT3_20rocsparse_direction_NS_24const_host_device_scalarIT1_EES1_PKS1_PKT2_SA_S7_PKT4_PKT5_S5_PT6_21rocsparse_index_base_b,comdat
.Lfunc_end73:
	.size	_ZN9rocsparseL18bsrxmvn_4x4_kernelILj128ELj32EillaaiEEvT3_20rocsparse_direction_NS_24const_host_device_scalarIT1_EES1_PKS1_PKT2_SA_S7_PKT4_PKT5_S5_PT6_21rocsparse_index_base_b, .Lfunc_end73-_ZN9rocsparseL18bsrxmvn_4x4_kernelILj128ELj32EillaaiEEvT3_20rocsparse_direction_NS_24const_host_device_scalarIT1_EES1_PKS1_PKT2_SA_S7_PKT4_PKT5_S5_PT6_21rocsparse_index_base_b
                                        ; -- End function
	.set _ZN9rocsparseL18bsrxmvn_4x4_kernelILj128ELj32EillaaiEEvT3_20rocsparse_direction_NS_24const_host_device_scalarIT1_EES1_PKS1_PKT2_SA_S7_PKT4_PKT5_S5_PT6_21rocsparse_index_base_b.num_vgpr, 59
	.set _ZN9rocsparseL18bsrxmvn_4x4_kernelILj128ELj32EillaaiEEvT3_20rocsparse_direction_NS_24const_host_device_scalarIT1_EES1_PKS1_PKT2_SA_S7_PKT4_PKT5_S5_PT6_21rocsparse_index_base_b.num_agpr, 0
	.set _ZN9rocsparseL18bsrxmvn_4x4_kernelILj128ELj32EillaaiEEvT3_20rocsparse_direction_NS_24const_host_device_scalarIT1_EES1_PKS1_PKT2_SA_S7_PKT4_PKT5_S5_PT6_21rocsparse_index_base_b.numbered_sgpr, 40
	.set _ZN9rocsparseL18bsrxmvn_4x4_kernelILj128ELj32EillaaiEEvT3_20rocsparse_direction_NS_24const_host_device_scalarIT1_EES1_PKS1_PKT2_SA_S7_PKT4_PKT5_S5_PT6_21rocsparse_index_base_b.num_named_barrier, 0
	.set _ZN9rocsparseL18bsrxmvn_4x4_kernelILj128ELj32EillaaiEEvT3_20rocsparse_direction_NS_24const_host_device_scalarIT1_EES1_PKS1_PKT2_SA_S7_PKT4_PKT5_S5_PT6_21rocsparse_index_base_b.private_seg_size, 0
	.set _ZN9rocsparseL18bsrxmvn_4x4_kernelILj128ELj32EillaaiEEvT3_20rocsparse_direction_NS_24const_host_device_scalarIT1_EES1_PKS1_PKT2_SA_S7_PKT4_PKT5_S5_PT6_21rocsparse_index_base_b.uses_vcc, 1
	.set _ZN9rocsparseL18bsrxmvn_4x4_kernelILj128ELj32EillaaiEEvT3_20rocsparse_direction_NS_24const_host_device_scalarIT1_EES1_PKS1_PKT2_SA_S7_PKT4_PKT5_S5_PT6_21rocsparse_index_base_b.uses_flat_scratch, 0
	.set _ZN9rocsparseL18bsrxmvn_4x4_kernelILj128ELj32EillaaiEEvT3_20rocsparse_direction_NS_24const_host_device_scalarIT1_EES1_PKS1_PKT2_SA_S7_PKT4_PKT5_S5_PT6_21rocsparse_index_base_b.has_dyn_sized_stack, 0
	.set _ZN9rocsparseL18bsrxmvn_4x4_kernelILj128ELj32EillaaiEEvT3_20rocsparse_direction_NS_24const_host_device_scalarIT1_EES1_PKS1_PKT2_SA_S7_PKT4_PKT5_S5_PT6_21rocsparse_index_base_b.has_recursion, 0
	.set _ZN9rocsparseL18bsrxmvn_4x4_kernelILj128ELj32EillaaiEEvT3_20rocsparse_direction_NS_24const_host_device_scalarIT1_EES1_PKS1_PKT2_SA_S7_PKT4_PKT5_S5_PT6_21rocsparse_index_base_b.has_indirect_call, 0
	.section	.AMDGPU.csdata,"",@progbits
; Kernel info:
; codeLenInByte = 3672
; TotalNumSgprs: 44
; NumVgprs: 59
; ScratchSize: 0
; MemoryBound: 0
; FloatMode: 240
; IeeeMode: 1
; LDSByteSize: 0 bytes/workgroup (compile time only)
; SGPRBlocks: 5
; VGPRBlocks: 14
; NumSGPRsForWavesPerEU: 44
; NumVGPRsForWavesPerEU: 59
; Occupancy: 4
; WaveLimiterHint : 1
; COMPUTE_PGM_RSRC2:SCRATCH_EN: 0
; COMPUTE_PGM_RSRC2:USER_SGPR: 6
; COMPUTE_PGM_RSRC2:TRAP_HANDLER: 0
; COMPUTE_PGM_RSRC2:TGID_X_EN: 1
; COMPUTE_PGM_RSRC2:TGID_Y_EN: 0
; COMPUTE_PGM_RSRC2:TGID_Z_EN: 0
; COMPUTE_PGM_RSRC2:TIDIG_COMP_CNT: 0
	.section	.text._ZN9rocsparseL18bsrxmvn_4x4_kernelILj128ELj64EillaaiEEvT3_20rocsparse_direction_NS_24const_host_device_scalarIT1_EES1_PKS1_PKT2_SA_S7_PKT4_PKT5_S5_PT6_21rocsparse_index_base_b,"axG",@progbits,_ZN9rocsparseL18bsrxmvn_4x4_kernelILj128ELj64EillaaiEEvT3_20rocsparse_direction_NS_24const_host_device_scalarIT1_EES1_PKS1_PKT2_SA_S7_PKT4_PKT5_S5_PT6_21rocsparse_index_base_b,comdat
	.globl	_ZN9rocsparseL18bsrxmvn_4x4_kernelILj128ELj64EillaaiEEvT3_20rocsparse_direction_NS_24const_host_device_scalarIT1_EES1_PKS1_PKT2_SA_S7_PKT4_PKT5_S5_PT6_21rocsparse_index_base_b ; -- Begin function _ZN9rocsparseL18bsrxmvn_4x4_kernelILj128ELj64EillaaiEEvT3_20rocsparse_direction_NS_24const_host_device_scalarIT1_EES1_PKS1_PKT2_SA_S7_PKT4_PKT5_S5_PT6_21rocsparse_index_base_b
	.p2align	8
	.type	_ZN9rocsparseL18bsrxmvn_4x4_kernelILj128ELj64EillaaiEEvT3_20rocsparse_direction_NS_24const_host_device_scalarIT1_EES1_PKS1_PKT2_SA_S7_PKT4_PKT5_S5_PT6_21rocsparse_index_base_b,@function
_ZN9rocsparseL18bsrxmvn_4x4_kernelILj128ELj64EillaaiEEvT3_20rocsparse_direction_NS_24const_host_device_scalarIT1_EES1_PKS1_PKT2_SA_S7_PKT4_PKT5_S5_PT6_21rocsparse_index_base_b: ; @_ZN9rocsparseL18bsrxmvn_4x4_kernelILj128ELj64EillaaiEEvT3_20rocsparse_direction_NS_24const_host_device_scalarIT1_EES1_PKS1_PKT2_SA_S7_PKT4_PKT5_S5_PT6_21rocsparse_index_base_b
; %bb.0:
	s_load_dwordx2 s[8:9], s[4:5], 0x60
	s_load_dwordx4 s[0:3], s[4:5], 0x10
	s_mov_b64 s[14:15], -1
                                        ; implicit-def: $sgpr16
	s_waitcnt lgkmcnt(0)
	s_bitcmp1_b32 s9, 0
	s_cselect_b64 s[10:11], -1, 0
	s_xor_b64 s[12:13], s[10:11], -1
	s_and_b64 vcc, exec, s[12:13]
	s_cbranch_vccnz .LBB74_4
; %bb.1:
	s_load_dwordx2 s[10:11], s[4:5], 0x50
	s_andn2_b64 vcc, exec, s[14:15]
	s_cbranch_vccz .LBB74_5
.LBB74_2:
	s_and_b64 vcc, exec, s[12:13]
	s_cbranch_vccz .LBB74_6
.LBB74_3:
	s_waitcnt lgkmcnt(0)
	s_load_dword s17, s[10:11], 0x0
	s_cbranch_execz .LBB74_7
	s_branch .LBB74_8
.LBB74_4:
	s_load_dword s16, s[0:1], 0x0
	s_load_dwordx2 s[10:11], s[4:5], 0x50
	s_cbranch_execnz .LBB74_2
.LBB74_5:
	s_waitcnt lgkmcnt(0)
	s_mov_b32 s16, s0
	s_and_b64 vcc, exec, s[12:13]
	s_cbranch_vccnz .LBB74_3
.LBB74_6:
                                        ; implicit-def: $sgpr17
.LBB74_7:
	s_waitcnt lgkmcnt(0)
	s_mov_b32 s17, s10
.LBB74_8:
	s_waitcnt lgkmcnt(0)
	s_cmp_lg_u32 s16, 0
	s_cselect_b64 s[0:1], -1, 0
	s_cmp_lg_u32 s17, 1
	s_cselect_b64 s[10:11], -1, 0
	s_or_b64 s[0:1], s[0:1], s[10:11]
	s_andn2_b64 vcc, exec, s[0:1]
	s_cbranch_vccnz .LBB74_14
; %bb.9:
	s_load_dwordx2 s[10:11], s[4:5], 0x20
	v_lshrrev_b32_e32 v1, 6, v0
	v_lshl_or_b32 v1, s6, 1, v1
	v_mov_b32_e32 v2, 0
	s_mov_b64 s[0:1], 0
	s_waitcnt lgkmcnt(0)
	s_cmp_lg_u64 s[10:11], 0
	s_cbranch_scc0 .LBB74_15
; %bb.10:
	v_cmp_gt_i64_e32 vcc, s[2:3], v[1:2]
                                        ; implicit-def: $vgpr8_vgpr9
                                        ; implicit-def: $vgpr10_vgpr11
	s_and_saveexec_b64 s[2:3], vcc
	s_xor_b64 s[2:3], exec, s[2:3]
	s_cbranch_execz .LBB74_12
; %bb.11:
	v_lshlrev_b64 v[3:4], 3, v[1:2]
	v_mov_b32_e32 v5, s11
	v_add_co_u32_e32 v3, vcc, s10, v3
	v_addc_co_u32_e32 v4, vcc, v5, v4, vcc
	global_load_dwordx2 v[3:4], v[3:4], off
	s_mov_b32 s9, 0
	v_mov_b32_e32 v11, s9
	s_mov_b64 s[0:1], exec
	v_mov_b32_e32 v10, s8
	s_waitcnt vmcnt(0)
	v_subrev_co_u32_e32 v8, vcc, s8, v3
	v_subbrev_co_u32_e32 v9, vcc, 0, v4, vcc
.LBB74_12:
	s_or_b64 exec, exec, s[2:3]
.LBB74_13:
	s_and_saveexec_b64 s[2:3], s[0:1]
	s_cbranch_execnz .LBB74_19
.LBB74_14:
	s_endpgm
.LBB74_15:
                                        ; implicit-def: $vgpr8_vgpr9
                                        ; implicit-def: $vgpr10_vgpr11
	s_cbranch_execz .LBB74_13
; %bb.16:
	s_load_dwordx2 s[2:3], s[4:5], 0x0
	s_waitcnt lgkmcnt(0)
	v_cmp_gt_i64_e32 vcc, s[2:3], v[1:2]
	s_and_saveexec_b64 s[2:3], vcc
; %bb.17:
	s_mov_b32 s9, 0
	s_or_b64 s[0:1], s[0:1], exec
; %bb.18:
	s_or_b64 exec, exec, s[2:3]
	v_mov_b32_e32 v11, s9
	v_mov_b32_e32 v9, v2
	;; [unrolled: 1-line block ×4, first 2 shown]
	s_and_saveexec_b64 s[2:3], s[0:1]
	s_cbranch_execz .LBB74_14
.LBB74_19:
	s_load_dwordx8 s[8:15], s[4:5], 0x28
	v_lshlrev_b64 v[1:2], 3, v[8:9]
	v_and_b32_e32 v26, 63, v0
	s_waitcnt lgkmcnt(0)
	v_mov_b32_e32 v4, s9
	v_add_co_u32_e32 v3, vcc, s8, v1
	v_addc_co_u32_e32 v4, vcc, v4, v2, vcc
	global_load_dwordx2 v[16:17], v[3:4], off
	v_add_co_u32_e32 v3, vcc, 8, v3
	v_addc_co_u32_e32 v4, vcc, 0, v4, vcc
	v_mov_b32_e32 v5, s11
	v_add_co_u32_e32 v1, vcc, s10, v1
	s_cmp_eq_u64 s[10:11], 0
	v_addc_co_u32_e32 v2, vcc, v5, v2, vcc
	s_cselect_b64 vcc, -1, 0
	v_cndmask_b32_e32 v2, v2, v4, vcc
	v_cndmask_b32_e32 v1, v1, v3, vcc
	global_load_dwordx2 v[1:2], v[1:2], off
	s_load_dword s0, s[4:5], 0x8
	s_load_dwordx2 s[6:7], s[4:5], 0x48
	v_mov_b32_e32 v3, s15
	v_mov_b32_e32 v4, 0
	s_waitcnt lgkmcnt(0)
	s_cmp_eq_u32 s0, 1
	s_waitcnt vmcnt(1)
	v_sub_co_u32_e32 v0, vcc, v16, v10
	v_subb_co_u32_e32 v5, vcc, v17, v11, vcc
	v_add_co_u32_e32 v14, vcc, v0, v26
	v_addc_co_u32_e32 v15, vcc, 0, v5, vcc
	s_waitcnt vmcnt(0)
	v_sub_co_u32_e32 v18, vcc, v1, v10
	v_lshlrev_b64 v[0:1], 4, v[14:15]
	v_subb_co_u32_e32 v19, vcc, v2, v11, vcc
	v_cmp_lt_i64_e64 s[0:1], v[14:15], v[18:19]
	v_add_co_u32_e32 v12, vcc, s14, v0
	v_addc_co_u32_e32 v13, vcc, v3, v1, vcc
	s_cbranch_scc1 .LBB74_31
; %bb.20:
	v_mov_b32_e32 v2, 0
	v_mov_b32_e32 v1, 0
	;; [unrolled: 1-line block ×3, first 2 shown]
	s_and_saveexec_b64 s[8:9], s[0:1]
	s_cbranch_execz .LBB74_30
; %bb.21:
	v_or_b32_e32 v0, 64, v26
	v_sub_co_u32_e32 v0, vcc, v0, v10
	v_subb_co_u32_e32 v1, vcc, 0, v11, vcc
	v_add_co_u32_e32 v0, vcc, v0, v16
	v_addc_co_u32_e32 v1, vcc, v1, v17, vcc
	v_cmp_gt_i64_e32 vcc, v[0:1], v[18:19]
	v_not_b32_e32 v3, v16
	v_cndmask_b32_e32 v1, v19, v1, vcc
	v_cndmask_b32_e32 v0, v18, v0, vcc
	v_sub_co_u32_e32 v4, vcc, v10, v26
	v_subbrev_co_u32_e32 v5, vcc, 0, v11, vcc
	v_not_b32_e32 v2, v17
	v_add_co_u32_e32 v3, vcc, v4, v3
	v_addc_co_u32_e32 v2, vcc, v5, v2, vcc
	v_add_co_u32_e32 v0, vcc, v3, v0
	v_addc_co_u32_e32 v1, vcc, v2, v1, vcc
	v_lshrrev_b64 v[2:3], 6, v[0:1]
	s_mov_b64 s[2:3], 0xbf
	v_add_co_u32_e32 v27, vcc, 1, v2
	v_addc_co_u32_e32 v25, vcc, 0, v3, vcc
	v_mov_b32_e32 v4, 0
	v_cmp_lt_u64_e32 vcc, s[2:3], v[0:1]
	v_mov_b32_e32 v5, v4
	v_mov_b32_e32 v6, v4
	;; [unrolled: 1-line block ×11, first 2 shown]
	s_and_saveexec_b64 s[10:11], vcc
	s_cbranch_execz .LBB74_25
; %bb.22:
	v_lshlrev_b64 v[0:1], 3, v[14:15]
	v_mov_b32_e32 v2, s13
	v_add_co_u32_e32 v0, vcc, s12, v0
	v_addc_co_u32_e32 v1, vcc, v2, v1, vcc
	v_add_co_u32_e32 v5, vcc, 0x400, v0
	v_mov_b32_e32 v21, v13
	v_mov_b32_e32 v23, v15
	v_and_b32_e32 v24, -4, v27
	v_addc_co_u32_e32 v6, vcc, 0, v1, vcc
	s_mov_b64 s[14:15], 0
	s_movk_i32 s18, 0x1000
	s_movk_i32 s19, 0x100
	v_mov_b32_e32 v20, v12
	v_mov_b32_e32 v22, v14
	;; [unrolled: 1-line block ×5, first 2 shown]
.LBB74_23:                              ; =>This Inner Loop Header: Depth=1
	global_load_dwordx2 v[44:45], v[5:6], off offset:-1024
	global_load_dwordx2 v[46:47], v[5:6], off offset:-512
	global_load_dwordx2 v[48:49], v[5:6], off
	global_load_dwordx2 v[50:51], v[5:6], off offset:512
	v_mov_b32_e32 v3, s7
	global_load_dwordx4 v[28:31], v[20:21], off
	global_load_dwordx4 v[32:35], v[20:21], off offset:1024
	global_load_dwordx4 v[36:39], v[20:21], off offset:2048
	;; [unrolled: 1-line block ×3, first 2 shown]
	v_add_co_u32_e64 v24, s[2:3], -4, v24
	v_addc_co_u32_e64 v25, s[2:3], -1, v25, s[2:3]
	v_cmp_eq_u64_e64 s[2:3], 0, v[24:25]
	s_or_b64 s[14:15], s[2:3], s[14:15]
	s_waitcnt vmcnt(7)
	v_sub_co_u32_e32 v44, vcc, v44, v10
	v_subb_co_u32_e32 v45, vcc, v45, v11, vcc
	s_waitcnt vmcnt(6)
	v_sub_co_u32_e32 v46, vcc, v46, v10
	v_subb_co_u32_e32 v47, vcc, v47, v11, vcc
	;; [unrolled: 3-line block ×3, first 2 shown]
	s_waitcnt vmcnt(4)
	v_sub_co_u32_e32 v50, vcc, v50, v10
	v_lshlrev_b64 v[44:45], 2, v[44:45]
	v_subb_co_u32_e32 v51, vcc, v51, v11, vcc
	v_lshlrev_b64 v[46:47], 2, v[46:47]
	v_add_co_u32_e32 v44, vcc, s6, v44
	v_addc_co_u32_e32 v45, vcc, v3, v45, vcc
	v_lshlrev_b64 v[48:49], 2, v[48:49]
	v_add_co_u32_e32 v46, vcc, s6, v46
	v_addc_co_u32_e32 v47, vcc, v3, v47, vcc
	;; [unrolled: 3-line block ×3, first 2 shown]
	v_add_co_u32_e32 v50, vcc, s6, v50
	v_addc_co_u32_e32 v51, vcc, v3, v51, vcc
	global_load_dword v3, v[44:45], off
	global_load_dword v7, v[46:47], off
	;; [unrolled: 1-line block ×4, first 2 shown]
	s_waitcnt vmcnt(7)
	v_lshrrev_b16_e32 v44, 8, v31
	v_ashrrev_i32_e32 v45, 24, v31
	v_bfe_i32 v46, v31, 0, 8
	v_bfe_i32 v31, v31, 16, 8
	s_waitcnt vmcnt(6)
	v_lshrrev_b16_e32 v47, 8, v35
	v_add_co_u32_e32 v20, vcc, s18, v20
	v_addc_co_u32_e32 v21, vcc, 0, v21, vcc
	s_waitcnt vmcnt(5)
	v_bfe_i32 v48, v39, 8, 8
	v_add_co_u32_e32 v22, vcc, s19, v22
	v_addc_co_u32_e32 v23, vcc, 0, v23, vcc
	v_add_co_u32_e32 v5, vcc, 0x800, v5
	v_addc_co_u32_e32 v6, vcc, 0, v6, vcc
	s_waitcnt vmcnt(3)
	v_lshrrev_b16_e32 v49, 8, v3
	v_ashrrev_i32_e32 v50, 24, v3
	v_bfe_i32 v51, v3, 0, 8
	v_bfe_i32 v54, v3, 16, 8
	v_dot4_i32_i8 v0, v3, v28, v0
	v_dot4_i32_i8 v1, v3, v29, v1
	;; [unrolled: 1-line block ×3, first 2 shown]
	s_waitcnt vmcnt(2)
	v_lshrrev_b16_e32 v3, 8, v7
	v_mul_i32_i24_sdwa v29, sext(v35), sext(v7) dst_sel:DWORD dst_unused:UNUSED_PAD src0_sel:BYTE_2 src1_sel:BYTE_2
	v_mul_i32_i24_sdwa v30, sext(v35), sext(v7) dst_sel:DWORD dst_unused:UNUSED_PAD src0_sel:BYTE_3 src1_sel:BYTE_3
	v_mul_i32_i24_sdwa v28, sext(v35), sext(v7) dst_sel:DWORD dst_unused:UNUSED_PAD src0_sel:BYTE_0 src1_sel:BYTE_0
	v_mul_i32_i24_sdwa v44, sext(v44), sext(v49) dst_sel:DWORD dst_unused:UNUSED_PAD src0_sel:BYTE_0 src1_sel:BYTE_0
	v_dot4_i32_i8 v0, v7, v32, v0
	v_dot4_i32_i8 v1, v7, v33, v1
	v_dot4_i32_i8 v2, v7, v34, v2
	v_mul_i32_i24_sdwa v3, sext(v47), sext(v3) dst_sel:DWORD dst_unused:UNUSED_PAD src0_sel:BYTE_0 src1_sel:BYTE_0
	v_mad_i32_i24 v7, v31, v54, v29
	v_mad_i32_i24 v29, v45, v50, v30
	s_waitcnt vmcnt(1)
	v_bfe_i32 v35, v52, 8, 8
	v_mul_i32_i24_sdwa v56, sext(v39), sext(v52) dst_sel:DWORD dst_unused:UNUSED_PAD src0_sel:BYTE_2 src1_sel:BYTE_2
	v_mad_i32_i24 v28, v46, v51, v28
	v_add3_u32 v3, v44, v3, v29
	v_mul_i32_i24_sdwa v55, sext(v52), sext(v39) dst_sel:DWORD dst_unused:UNUSED_PAD src0_sel:BYTE_0 src1_sel:BYTE_0
	v_mad_i32_i24 v30, v35, v48, v56
	v_add3_u32 v3, v28, v7, v3
	v_mul_i32_i24_sdwa v39, sext(v39), sext(v52) dst_sel:DWORD dst_unused:UNUSED_PAD src0_sel:BYTE_3 src1_sel:BYTE_3
	v_add3_u32 v3, v3, v55, v30
	v_dot4_i32_i8 v0, v52, v36, v0
	v_dot4_i32_i8 v1, v37, v52, v1
	;; [unrolled: 1-line block ×3, first 2 shown]
	v_add3_u32 v3, v3, v4, v39
	s_waitcnt vmcnt(0)
	v_dot4_i32_i8 v2, v53, v42, v2
	v_dot4_i32_i8 v1, v53, v41, v1
	;; [unrolled: 1-line block ×4, first 2 shown]
	s_andn2_b64 exec, exec, s[14:15]
	s_cbranch_execnz .LBB74_23
; %bb.24:
	s_or_b64 exec, exec, s[14:15]
	v_mov_b32_e32 v3, v4
.LBB74_25:
	s_or_b64 exec, exec, s[10:11]
	v_and_b32_e32 v5, 3, v27
	v_mov_b32_e32 v6, 0
	v_cmp_ne_u64_e32 vcc, 0, v[5:6]
	s_mov_b64 s[14:15], 0
	s_and_saveexec_b64 s[10:11], vcc
	s_cbranch_execz .LBB74_29
; %bb.26:
	v_lshlrev_b64 v[22:23], 3, v[22:23]
	v_mov_b32_e32 v4, s13
	v_add_co_u32_e32 v22, vcc, s12, v22
	v_addc_co_u32_e32 v23, vcc, v4, v23, vcc
	v_lshlrev_b32_e32 v5, 1, v5
	v_mov_b32_e32 v4, s7
	s_movk_i32 s18, 0x400
.LBB74_27:                              ; =>This Inner Loop Header: Depth=1
	global_load_dwordx2 v[24:25], v[22:23], off
	global_load_dwordx4 v[27:30], v[20:21], off
	v_add_co_u32_e64 v5, s[2:3], -2, v5
	v_addc_co_u32_e64 v6, s[2:3], -1, v6, s[2:3]
	v_cmp_eq_u64_e64 s[2:3], 0, v[5:6]
	s_or_b64 s[14:15], s[2:3], s[14:15]
	s_waitcnt vmcnt(1)
	v_sub_co_u32_e32 v24, vcc, v24, v10
	v_subb_co_u32_e32 v25, vcc, v25, v11, vcc
	v_lshlrev_b64 v[24:25], 2, v[24:25]
	v_add_co_u32_e32 v24, vcc, s6, v24
	v_addc_co_u32_e32 v25, vcc, v4, v25, vcc
	global_load_dword v7, v[24:25], off
	v_add_co_u32_e32 v20, vcc, s18, v20
	v_addc_co_u32_e32 v21, vcc, 0, v21, vcc
	v_add_co_u32_e32 v22, vcc, 0x200, v22
	v_addc_co_u32_e32 v23, vcc, 0, v23, vcc
	s_waitcnt vmcnt(0)
	v_dot4_i32_i8 v3, v7, v30, v3
	v_dot4_i32_i8 v2, v7, v29, v2
	;; [unrolled: 1-line block ×4, first 2 shown]
	s_andn2_b64 exec, exec, s[14:15]
	s_cbranch_execnz .LBB74_27
; %bb.28:
	s_or_b64 exec, exec, s[14:15]
	v_mov_b32_e32 v4, v3
.LBB74_29:
	s_or_b64 exec, exec, s[10:11]
.LBB74_30:
	s_or_b64 exec, exec, s[8:9]
	s_cbranch_execz .LBB74_32
	s_branch .LBB74_43
.LBB74_31:
                                        ; implicit-def: $vgpr4
                                        ; implicit-def: $vgpr2
.LBB74_32:
	v_mov_b32_e32 v4, 0
	v_mov_b32_e32 v2, 0
	;; [unrolled: 1-line block ×4, first 2 shown]
	s_and_saveexec_b64 s[8:9], s[0:1]
	s_cbranch_execz .LBB74_42
; %bb.33:
	v_or_b32_e32 v0, 64, v26
	v_sub_co_u32_e32 v0, vcc, v0, v10
	v_subb_co_u32_e32 v1, vcc, 0, v11, vcc
	v_add_co_u32_e32 v0, vcc, v0, v16
	v_addc_co_u32_e32 v1, vcc, v1, v17, vcc
	v_cmp_gt_i64_e32 vcc, v[0:1], v[18:19]
	v_not_b32_e32 v3, v16
	v_cndmask_b32_e32 v1, v19, v1, vcc
	v_cndmask_b32_e32 v0, v18, v0, vcc
	v_sub_co_u32_e32 v4, vcc, v10, v26
	v_subbrev_co_u32_e32 v5, vcc, 0, v11, vcc
	v_not_b32_e32 v2, v17
	v_add_co_u32_e32 v3, vcc, v4, v3
	v_addc_co_u32_e32 v2, vcc, v5, v2, vcc
	v_add_co_u32_e32 v0, vcc, v3, v0
	v_addc_co_u32_e32 v1, vcc, v2, v1, vcc
	v_lshrrev_b64 v[2:3], 6, v[0:1]
	s_mov_b64 s[0:1], 0xbf
	v_add_co_u32_e32 v18, vcc, 1, v2
	v_addc_co_u32_e32 v17, vcc, 0, v3, vcc
	v_mov_b32_e32 v4, 0
	v_cmp_lt_u64_e32 vcc, s[0:1], v[0:1]
	v_mov_b32_e32 v5, v4
	v_mov_b32_e32 v6, v4
	;; [unrolled: 1-line block ×7, first 2 shown]
	s_and_saveexec_b64 s[10:11], vcc
	s_cbranch_execz .LBB74_37
; %bb.34:
	v_lshlrev_b64 v[0:1], 3, v[14:15]
	v_mov_b32_e32 v2, s13
	v_add_co_u32_e32 v0, vcc, s12, v0
	v_addc_co_u32_e32 v1, vcc, v2, v1, vcc
	v_add_co_u32_e32 v5, vcc, 0x400, v0
	v_and_b32_e32 v16, -4, v18
	v_addc_co_u32_e32 v6, vcc, 0, v1, vcc
	s_mov_b64 s[14:15], 0
	s_mov_b32 s18, 0xc04000c
	s_mov_b32 s19, 0xc0c0c00
	;; [unrolled: 1-line block ×19, first 2 shown]
	s_movk_i32 s38, 0x1000
	s_movk_i32 s39, 0x100
	v_mov_b32_e32 v2, 0
	v_mov_b32_e32 v1, 0
	;; [unrolled: 1-line block ×3, first 2 shown]
.LBB74_35:                              ; =>This Inner Loop Header: Depth=1
	global_load_dwordx4 v[19:22], v[12:13], off
	global_load_dwordx2 v[23:24], v[5:6], off offset:-1024
	global_load_dwordx2 v[39:40], v[5:6], off offset:-512
	global_load_dwordx2 v[41:42], v[5:6], off
	global_load_dwordx2 v[43:44], v[5:6], off offset:512
	global_load_dwordx4 v[27:30], v[12:13], off offset:1024
	global_load_dwordx4 v[31:34], v[12:13], off offset:2048
	;; [unrolled: 1-line block ×3, first 2 shown]
	v_add_co_u32_e32 v12, vcc, s38, v12
	s_mov_b64 s[0:1], vcc
	v_add_co_u32_e32 v16, vcc, -4, v16
	v_addc_co_u32_e32 v17, vcc, -1, v17, vcc
	v_add_co_u32_e32 v14, vcc, s39, v14
	s_mov_b64 s[2:3], vcc
	v_addc_co_u32_e64 v13, vcc, 0, v13, s[0:1]
	v_add_co_u32_e32 v5, vcc, 0x800, v5
	v_addc_co_u32_e32 v6, vcc, 0, v6, vcc
	v_mov_b32_e32 v3, s7
	v_cmp_eq_u64_e64 s[0:1], 0, v[16:17]
	v_addc_co_u32_e64 v15, s[2:3], 0, v15, s[2:3]
	s_or_b64 s[14:15], s[0:1], s[14:15]
	s_waitcnt vmcnt(7)
	v_perm_b32 v7, v21, v20, s18
	s_waitcnt vmcnt(6)
	v_sub_co_u32_e32 v23, vcc, v23, v10
	v_subb_co_u32_e32 v24, vcc, v24, v11, vcc
	s_waitcnt vmcnt(5)
	v_sub_co_u32_e32 v39, vcc, v39, v10
	v_subb_co_u32_e32 v40, vcc, v40, v11, vcc
	;; [unrolled: 3-line block ×3, first 2 shown]
	s_waitcnt vmcnt(3)
	v_sub_co_u32_e32 v43, vcc, v43, v10
	v_lshlrev_b64 v[23:24], 2, v[23:24]
	v_subb_co_u32_e32 v44, vcc, v44, v11, vcc
	v_lshlrev_b64 v[39:40], 2, v[39:40]
	v_add_co_u32_e32 v23, vcc, s6, v23
	v_addc_co_u32_e32 v24, vcc, v3, v24, vcc
	v_lshlrev_b64 v[41:42], 2, v[41:42]
	v_add_co_u32_e32 v39, vcc, s6, v39
	v_addc_co_u32_e32 v40, vcc, v3, v40, vcc
	;; [unrolled: 3-line block ×3, first 2 shown]
	v_add_co_u32_e32 v43, vcc, s6, v43
	v_addc_co_u32_e32 v44, vcc, v3, v44, vcc
	global_load_dword v3, v[23:24], off
	global_load_dword v45, v[39:40], off
	;; [unrolled: 1-line block ×4, first 2 shown]
	v_perm_b32 v23, v21, v20, s21
	v_perm_b32 v39, v21, v20, s23
	;; [unrolled: 1-line block ×3, first 2 shown]
	s_waitcnt vmcnt(6)
	v_perm_b32 v21, v27, v22, s27
	v_perm_b32 v41, v27, v22, s30
	;; [unrolled: 1-line block ×8, first 2 shown]
	s_waitcnt vmcnt(5)
	v_perm_b32 v29, v31, v30, s27
	v_perm_b32 v48, v31, v30, s30
	;; [unrolled: 1-line block ×4, first 2 shown]
	v_lshrrev_b32_e32 v31, 16, v34
	s_waitcnt vmcnt(4)
	v_perm_b32 v53, v36, v35, s35
	v_perm_b32 v55, v36, v35, s33
	;; [unrolled: 1-line block ×9, first 2 shown]
	v_or_b32_e32 v35, v36, v35
	v_ashrrev_i16_e32 v36, 8, v31
	v_bfe_i32 v31, v31, 0, 8
	v_or_b32_e32 v7, v7, v25
	v_or_b32_e32 v23, v23, v24
	v_or_b32_e32 v24, v39, v40
	v_or_b32_e32 v19, v20, v19
	v_perm_b32 v31, v36, v31, s37
	v_perm_b32 v50, v33, v32, s28
	;; [unrolled: 1-line block ×5, first 2 shown]
	v_ashrrev_i16_e32 v33, 8, v34
	v_bfe_i32 v34, v34, 0, 8
	v_or_b32_e32 v20, v27, v21
	v_or_b32_e32 v21, v43, v41
	;; [unrolled: 1-line block ×4, first 2 shown]
	v_perm_b32 v54, v38, v37, s36
	v_perm_b32 v56, v38, v37, s34
	;; [unrolled: 1-line block ×3, first 2 shown]
	v_or_b32_e32 v27, v50, v29
	v_or_b32_e32 v28, v51, v48
	;; [unrolled: 1-line block ×4, first 2 shown]
	v_perm_b32 v32, v33, v34, s37
	v_or_b32_e32 v33, v54, v53
	v_or_b32_e32 v34, v56, v55
	;; [unrolled: 1-line block ×3, first 2 shown]
	s_waitcnt vmcnt(3)
	v_perm_b32 v36, v3, v3, s20
	s_waitcnt vmcnt(2)
	v_perm_b32 v3, v45, v3, s29
	s_waitcnt vmcnt(1)
	v_lshrrev_b32_e32 v39, 24, v46
	v_dot4_i32_i8 v0, v36, v7, v0
	v_dot4_i32_i8 v1, v23, v36, v1
	;; [unrolled: 1-line block ×4, first 2 shown]
	v_perm_b32 v38, v46, v45, s29
	v_bfe_i32 v7, v39, 0, 8
	v_dot4_i32_i8 v0, v3, v20, v0
	v_dot4_i32_i8 v1, v21, v3, v1
	;; [unrolled: 1-line block ×4, first 2 shown]
	v_pk_mul_lo_u16 v4, v7, v32 op_sel_hi:[0,1]
	v_pk_mul_lo_u16 v7, v7, v31 op_sel_hi:[0,1]
	v_dot4_i32_i8 v0, v38, v27, v0
	v_dot4_i32_i8 v1, v28, v38, v1
	;; [unrolled: 1-line block ×4, first 2 shown]
	v_add_u32_sdwa v0, v0, sext(v4) dst_sel:DWORD dst_unused:UNUSED_PAD src0_sel:DWORD src1_sel:WORD_0
	v_add_u32_sdwa v1, v1, sext(v4) dst_sel:DWORD dst_unused:UNUSED_PAD src0_sel:DWORD src1_sel:WORD_1
	v_add_u32_sdwa v2, v2, sext(v7) dst_sel:DWORD dst_unused:UNUSED_PAD src0_sel:DWORD src1_sel:WORD_0
	v_add_u32_sdwa v3, v3, sext(v7) dst_sel:DWORD dst_unused:UNUSED_PAD src0_sel:DWORD src1_sel:WORD_1
	s_waitcnt vmcnt(0)
	v_dot4_i32_i8 v4, v47, v33, v3
	v_dot4_i32_i8 v2, v47, v34, v2
	;; [unrolled: 1-line block ×4, first 2 shown]
	s_andn2_b64 exec, exec, s[14:15]
	s_cbranch_execnz .LBB74_35
; %bb.36:
	s_or_b64 exec, exec, s[14:15]
	v_mov_b32_e32 v3, v4
.LBB74_37:
	s_or_b64 exec, exec, s[10:11]
	v_and_b32_e32 v5, 3, v18
	v_mov_b32_e32 v6, 0
	v_cmp_ne_u64_e32 vcc, 0, v[5:6]
	s_mov_b64 s[10:11], 0
	s_and_saveexec_b64 s[2:3], vcc
	s_cbranch_execz .LBB74_41
; %bb.38:
	v_lshlrev_b64 v[14:15], 3, v[14:15]
	v_mov_b32_e32 v4, s13
	v_add_co_u32_e32 v14, vcc, s12, v14
	v_addc_co_u32_e32 v15, vcc, v4, v15, vcc
	v_lshlrev_b32_e32 v5, 1, v5
	v_mov_b32_e32 v4, s7
	s_mov_b32 s7, 0xc0c0703
	s_mov_b32 s12, 0x7030c0c
	;; [unrolled: 1-line block ×8, first 2 shown]
	s_movk_i32 s21, 0x400
.LBB74_39:                              ; =>This Inner Loop Header: Depth=1
	global_load_dwordx2 v[20:21], v[14:15], off
	global_load_dwordx4 v[16:19], v[12:13], off
	v_add_co_u32_e64 v5, s[0:1], -2, v5
	v_addc_co_u32_e64 v6, s[0:1], -1, v6, s[0:1]
	v_cmp_eq_u64_e64 s[0:1], 0, v[5:6]
	s_or_b64 s[10:11], s[0:1], s[10:11]
	s_waitcnt vmcnt(1)
	v_sub_co_u32_e32 v20, vcc, v20, v10
	v_subb_co_u32_e32 v21, vcc, v21, v11, vcc
	v_lshlrev_b64 v[20:21], 2, v[20:21]
	s_waitcnt vmcnt(0)
	v_perm_b32 v22, v17, v16, s13
	v_add_co_u32_e32 v20, vcc, s6, v20
	v_addc_co_u32_e32 v21, vcc, v4, v21, vcc
	global_load_dword v7, v[20:21], off
	v_add_co_u32_e32 v12, vcc, s21, v12
	v_addc_co_u32_e32 v13, vcc, 0, v13, vcc
	v_perm_b32 v20, v17, v16, s7
	v_perm_b32 v21, v19, v18, s12
	;; [unrolled: 1-line block ×7, first 2 shown]
	v_add_co_u32_e32 v14, vcc, 0x200, v14
	v_or_b32_e32 v18, v21, v20
	v_or_b32_e32 v19, v23, v22
	;; [unrolled: 1-line block ×4, first 2 shown]
	v_addc_co_u32_e32 v15, vcc, 0, v15, vcc
	s_waitcnt vmcnt(0)
	v_dot4_i32_i8 v3, v7, v18, v3
	v_dot4_i32_i8 v2, v7, v19, v2
	;; [unrolled: 1-line block ×4, first 2 shown]
	s_andn2_b64 exec, exec, s[10:11]
	s_cbranch_execnz .LBB74_39
; %bb.40:
	s_or_b64 exec, exec, s[10:11]
	v_mov_b32_e32 v4, v3
.LBB74_41:
	s_or_b64 exec, exec, s[2:3]
.LBB74_42:
	s_or_b64 exec, exec, s[8:9]
.LBB74_43:
	v_mov_b32_dpp v3, v0 row_shr:1 row_mask:0xf bank_mask:0xf
	v_mov_b32_dpp v5, v1 row_shr:1 row_mask:0xf bank_mask:0xf
	v_mov_b32_dpp v6, v2 row_shr:1 row_mask:0xf bank_mask:0xf
	v_mov_b32_dpp v7, v4 row_shr:1 row_mask:0xf bank_mask:0xf
	v_add_u32_e32 v0, v3, v0
	v_add_u32_e32 v1, v5, v1
	v_add_u32_e32 v2, v6, v2
	v_add_u32_e32 v4, v7, v4
	v_mov_b32_dpp v3, v0 row_shr:2 row_mask:0xf bank_mask:0xf
	v_mov_b32_dpp v5, v1 row_shr:2 row_mask:0xf bank_mask:0xf
	v_mov_b32_dpp v6, v2 row_shr:2 row_mask:0xf bank_mask:0xf
	v_mov_b32_dpp v7, v4 row_shr:2 row_mask:0xf bank_mask:0xf
	v_add_u32_e32 v0, v0, v3
	v_add_u32_e32 v1, v1, v5
	v_add_u32_e32 v2, v2, v6
	v_add_u32_e32 v4, v4, v7
	;; [unrolled: 8-line block ×4, first 2 shown]
	v_mov_b32_dpp v3, v0 row_bcast:15 row_mask:0xa bank_mask:0xf
	v_mov_b32_dpp v5, v1 row_bcast:15 row_mask:0xa bank_mask:0xf
	;; [unrolled: 1-line block ×4, first 2 shown]
	v_add_u32_e32 v0, v0, v3
	v_add_u32_e32 v1, v1, v5
	v_add_u32_e32 v2, v2, v6
	v_add_u32_e32 v4, v4, v7
	v_mov_b32_dpp v3, v0 row_bcast:31 row_mask:0xc bank_mask:0xf
	v_mov_b32_dpp v5, v1 row_bcast:31 row_mask:0xc bank_mask:0xf
	;; [unrolled: 1-line block ×4, first 2 shown]
	v_cmp_eq_u32_e32 vcc, 63, v26
	s_and_b64 exec, exec, vcc
	s_cbranch_execz .LBB74_14
; %bb.44:
	s_load_dwordx2 s[0:1], s[4:5], 0x58
	v_add_u32_e32 v0, v0, v3
	v_add_u32_e32 v1, v1, v5
	;; [unrolled: 1-line block ×4, first 2 shown]
	v_mul_lo_u32 v0, v0, s16
	v_mul_lo_u32 v1, v1, s16
	;; [unrolled: 1-line block ×4, first 2 shown]
	v_lshlrev_b64 v[4:5], 4, v[8:9]
	s_cmp_eq_u32 s17, 0
	s_cbranch_scc1 .LBB74_46
; %bb.45:
	s_waitcnt lgkmcnt(0)
	v_mov_b32_e32 v6, s1
	v_add_co_u32_e32 v14, vcc, s0, v4
	v_addc_co_u32_e32 v15, vcc, v6, v5, vcc
	global_load_dwordx4 v[6:9], v[14:15], off
	s_waitcnt vmcnt(0)
	v_mad_u64_u32 v[10:11], s[2:3], v6, s17, v[0:1]
	v_mad_u64_u32 v[16:17], s[2:3], v9, s17, v[3:4]
	;; [unrolled: 1-line block ×4, first 2 shown]
	v_mov_b32_e32 v13, v16
	global_store_dwordx4 v[14:15], v[10:13], off
	s_cbranch_execnz .LBB74_14
	s_branch .LBB74_47
.LBB74_46:
.LBB74_47:
	s_waitcnt lgkmcnt(0)
	v_mov_b32_e32 v6, s1
	v_add_co_u32_e32 v4, vcc, s0, v4
	v_addc_co_u32_e32 v5, vcc, v6, v5, vcc
	global_store_dwordx4 v[4:5], v[0:3], off
	s_endpgm
	.section	.rodata,"a",@progbits
	.p2align	6, 0x0
	.amdhsa_kernel _ZN9rocsparseL18bsrxmvn_4x4_kernelILj128ELj64EillaaiEEvT3_20rocsparse_direction_NS_24const_host_device_scalarIT1_EES1_PKS1_PKT2_SA_S7_PKT4_PKT5_S5_PT6_21rocsparse_index_base_b
		.amdhsa_group_segment_fixed_size 0
		.amdhsa_private_segment_fixed_size 0
		.amdhsa_kernarg_size 104
		.amdhsa_user_sgpr_count 6
		.amdhsa_user_sgpr_private_segment_buffer 1
		.amdhsa_user_sgpr_dispatch_ptr 0
		.amdhsa_user_sgpr_queue_ptr 0
		.amdhsa_user_sgpr_kernarg_segment_ptr 1
		.amdhsa_user_sgpr_dispatch_id 0
		.amdhsa_user_sgpr_flat_scratch_init 0
		.amdhsa_user_sgpr_private_segment_size 0
		.amdhsa_uses_dynamic_stack 0
		.amdhsa_system_sgpr_private_segment_wavefront_offset 0
		.amdhsa_system_sgpr_workgroup_id_x 1
		.amdhsa_system_sgpr_workgroup_id_y 0
		.amdhsa_system_sgpr_workgroup_id_z 0
		.amdhsa_system_sgpr_workgroup_info 0
		.amdhsa_system_vgpr_workitem_id 0
		.amdhsa_next_free_vgpr 59
		.amdhsa_next_free_sgpr 40
		.amdhsa_reserve_vcc 1
		.amdhsa_reserve_flat_scratch 0
		.amdhsa_float_round_mode_32 0
		.amdhsa_float_round_mode_16_64 0
		.amdhsa_float_denorm_mode_32 3
		.amdhsa_float_denorm_mode_16_64 3
		.amdhsa_dx10_clamp 1
		.amdhsa_ieee_mode 1
		.amdhsa_fp16_overflow 0
		.amdhsa_exception_fp_ieee_invalid_op 0
		.amdhsa_exception_fp_denorm_src 0
		.amdhsa_exception_fp_ieee_div_zero 0
		.amdhsa_exception_fp_ieee_overflow 0
		.amdhsa_exception_fp_ieee_underflow 0
		.amdhsa_exception_fp_ieee_inexact 0
		.amdhsa_exception_int_div_zero 0
	.end_amdhsa_kernel
	.section	.text._ZN9rocsparseL18bsrxmvn_4x4_kernelILj128ELj64EillaaiEEvT3_20rocsparse_direction_NS_24const_host_device_scalarIT1_EES1_PKS1_PKT2_SA_S7_PKT4_PKT5_S5_PT6_21rocsparse_index_base_b,"axG",@progbits,_ZN9rocsparseL18bsrxmvn_4x4_kernelILj128ELj64EillaaiEEvT3_20rocsparse_direction_NS_24const_host_device_scalarIT1_EES1_PKS1_PKT2_SA_S7_PKT4_PKT5_S5_PT6_21rocsparse_index_base_b,comdat
.Lfunc_end74:
	.size	_ZN9rocsparseL18bsrxmvn_4x4_kernelILj128ELj64EillaaiEEvT3_20rocsparse_direction_NS_24const_host_device_scalarIT1_EES1_PKS1_PKT2_SA_S7_PKT4_PKT5_S5_PT6_21rocsparse_index_base_b, .Lfunc_end74-_ZN9rocsparseL18bsrxmvn_4x4_kernelILj128ELj64EillaaiEEvT3_20rocsparse_direction_NS_24const_host_device_scalarIT1_EES1_PKS1_PKT2_SA_S7_PKT4_PKT5_S5_PT6_21rocsparse_index_base_b
                                        ; -- End function
	.set _ZN9rocsparseL18bsrxmvn_4x4_kernelILj128ELj64EillaaiEEvT3_20rocsparse_direction_NS_24const_host_device_scalarIT1_EES1_PKS1_PKT2_SA_S7_PKT4_PKT5_S5_PT6_21rocsparse_index_base_b.num_vgpr, 59
	.set _ZN9rocsparseL18bsrxmvn_4x4_kernelILj128ELj64EillaaiEEvT3_20rocsparse_direction_NS_24const_host_device_scalarIT1_EES1_PKS1_PKT2_SA_S7_PKT4_PKT5_S5_PT6_21rocsparse_index_base_b.num_agpr, 0
	.set _ZN9rocsparseL18bsrxmvn_4x4_kernelILj128ELj64EillaaiEEvT3_20rocsparse_direction_NS_24const_host_device_scalarIT1_EES1_PKS1_PKT2_SA_S7_PKT4_PKT5_S5_PT6_21rocsparse_index_base_b.numbered_sgpr, 40
	.set _ZN9rocsparseL18bsrxmvn_4x4_kernelILj128ELj64EillaaiEEvT3_20rocsparse_direction_NS_24const_host_device_scalarIT1_EES1_PKS1_PKT2_SA_S7_PKT4_PKT5_S5_PT6_21rocsparse_index_base_b.num_named_barrier, 0
	.set _ZN9rocsparseL18bsrxmvn_4x4_kernelILj128ELj64EillaaiEEvT3_20rocsparse_direction_NS_24const_host_device_scalarIT1_EES1_PKS1_PKT2_SA_S7_PKT4_PKT5_S5_PT6_21rocsparse_index_base_b.private_seg_size, 0
	.set _ZN9rocsparseL18bsrxmvn_4x4_kernelILj128ELj64EillaaiEEvT3_20rocsparse_direction_NS_24const_host_device_scalarIT1_EES1_PKS1_PKT2_SA_S7_PKT4_PKT5_S5_PT6_21rocsparse_index_base_b.uses_vcc, 1
	.set _ZN9rocsparseL18bsrxmvn_4x4_kernelILj128ELj64EillaaiEEvT3_20rocsparse_direction_NS_24const_host_device_scalarIT1_EES1_PKS1_PKT2_SA_S7_PKT4_PKT5_S5_PT6_21rocsparse_index_base_b.uses_flat_scratch, 0
	.set _ZN9rocsparseL18bsrxmvn_4x4_kernelILj128ELj64EillaaiEEvT3_20rocsparse_direction_NS_24const_host_device_scalarIT1_EES1_PKS1_PKT2_SA_S7_PKT4_PKT5_S5_PT6_21rocsparse_index_base_b.has_dyn_sized_stack, 0
	.set _ZN9rocsparseL18bsrxmvn_4x4_kernelILj128ELj64EillaaiEEvT3_20rocsparse_direction_NS_24const_host_device_scalarIT1_EES1_PKS1_PKT2_SA_S7_PKT4_PKT5_S5_PT6_21rocsparse_index_base_b.has_recursion, 0
	.set _ZN9rocsparseL18bsrxmvn_4x4_kernelILj128ELj64EillaaiEEvT3_20rocsparse_direction_NS_24const_host_device_scalarIT1_EES1_PKS1_PKT2_SA_S7_PKT4_PKT5_S5_PT6_21rocsparse_index_base_b.has_indirect_call, 0
	.section	.AMDGPU.csdata,"",@progbits
; Kernel info:
; codeLenInByte = 3720
; TotalNumSgprs: 44
; NumVgprs: 59
; ScratchSize: 0
; MemoryBound: 0
; FloatMode: 240
; IeeeMode: 1
; LDSByteSize: 0 bytes/workgroup (compile time only)
; SGPRBlocks: 5
; VGPRBlocks: 14
; NumSGPRsForWavesPerEU: 44
; NumVGPRsForWavesPerEU: 59
; Occupancy: 4
; WaveLimiterHint : 1
; COMPUTE_PGM_RSRC2:SCRATCH_EN: 0
; COMPUTE_PGM_RSRC2:USER_SGPR: 6
; COMPUTE_PGM_RSRC2:TRAP_HANDLER: 0
; COMPUTE_PGM_RSRC2:TGID_X_EN: 1
; COMPUTE_PGM_RSRC2:TGID_Y_EN: 0
; COMPUTE_PGM_RSRC2:TGID_Z_EN: 0
; COMPUTE_PGM_RSRC2:TIDIG_COMP_CNT: 0
	.section	.text._ZN9rocsparseL18bsrxmvn_4x4_kernelILj128ELj4EfiiaafEEvT3_20rocsparse_direction_NS_24const_host_device_scalarIT1_EES1_PKS1_PKT2_SA_S7_PKT4_PKT5_S5_PT6_21rocsparse_index_base_b,"axG",@progbits,_ZN9rocsparseL18bsrxmvn_4x4_kernelILj128ELj4EfiiaafEEvT3_20rocsparse_direction_NS_24const_host_device_scalarIT1_EES1_PKS1_PKT2_SA_S7_PKT4_PKT5_S5_PT6_21rocsparse_index_base_b,comdat
	.globl	_ZN9rocsparseL18bsrxmvn_4x4_kernelILj128ELj4EfiiaafEEvT3_20rocsparse_direction_NS_24const_host_device_scalarIT1_EES1_PKS1_PKT2_SA_S7_PKT4_PKT5_S5_PT6_21rocsparse_index_base_b ; -- Begin function _ZN9rocsparseL18bsrxmvn_4x4_kernelILj128ELj4EfiiaafEEvT3_20rocsparse_direction_NS_24const_host_device_scalarIT1_EES1_PKS1_PKT2_SA_S7_PKT4_PKT5_S5_PT6_21rocsparse_index_base_b
	.p2align	8
	.type	_ZN9rocsparseL18bsrxmvn_4x4_kernelILj128ELj4EfiiaafEEvT3_20rocsparse_direction_NS_24const_host_device_scalarIT1_EES1_PKS1_PKT2_SA_S7_PKT4_PKT5_S5_PT6_21rocsparse_index_base_b,@function
_ZN9rocsparseL18bsrxmvn_4x4_kernelILj128ELj4EfiiaafEEvT3_20rocsparse_direction_NS_24const_host_device_scalarIT1_EES1_PKS1_PKT2_SA_S7_PKT4_PKT5_S5_PT6_21rocsparse_index_base_b: ; @_ZN9rocsparseL18bsrxmvn_4x4_kernelILj128ELj4EfiiaafEEvT3_20rocsparse_direction_NS_24const_host_device_scalarIT1_EES1_PKS1_PKT2_SA_S7_PKT4_PKT5_S5_PT6_21rocsparse_index_base_b
; %bb.0:
	s_load_dwordx2 s[20:21], s[4:5], 0x58
	s_load_dwordx2 s[18:19], s[4:5], 0x8
	;; [unrolled: 1-line block ×3, first 2 shown]
	s_waitcnt lgkmcnt(0)
	s_bitcmp1_b32 s21, 0
	s_cselect_b64 s[2:3], -1, 0
	s_xor_b64 s[0:1], s[2:3], -1
	s_and_b64 vcc, exec, s[2:3]
	s_cbranch_vccnz .LBB75_2
; %bb.1:
	s_load_dword s18, s[18:19], 0x0
.LBB75_2:
	s_andn2_b64 vcc, exec, s[0:1]
	s_cbranch_vccnz .LBB75_4
; %bb.3:
	s_load_dword s16, s[16:17], 0x0
.LBB75_4:
	s_waitcnt lgkmcnt(0)
	v_cmp_neq_f32_e64 s[0:1], s18, 0
	v_cmp_neq_f32_e64 s[2:3], s16, 1.0
	s_or_b64 s[0:1], s[0:1], s[2:3]
	s_andn2_b64 vcc, exec, s[0:1]
	s_cbranch_vccnz .LBB75_10
; %bb.5:
	s_load_dwordx2 s[8:9], s[4:5], 0x18
	s_load_dwordx2 s[0:1], s[4:5], 0x0
	v_lshrrev_b32_e32 v1, 2, v0
	v_lshl_or_b32 v4, s6, 5, v1
	s_mov_b64 s[2:3], 0
	s_waitcnt lgkmcnt(0)
	s_cmp_lg_u64 s[8:9], 0
	s_cbranch_scc0 .LBB75_11
; %bb.6:
	s_load_dword s6, s[4:5], 0x10
                                        ; implicit-def: $vgpr1
	s_waitcnt lgkmcnt(0)
	v_cmp_gt_i32_e32 vcc, s6, v4
	s_and_saveexec_b64 s[6:7], vcc
	s_xor_b64 s[6:7], exec, s[6:7]
	s_cbranch_execz .LBB75_8
; %bb.7:
	v_ashrrev_i32_e32 v5, 31, v4
	v_lshlrev_b64 v[1:2], 2, v[4:5]
	v_mov_b32_e32 v3, s9
	v_add_co_u32_e32 v1, vcc, s8, v1
	v_addc_co_u32_e32 v2, vcc, v3, v2, vcc
	global_load_dword v1, v[1:2], off
	s_mov_b64 s[2:3], exec
	s_waitcnt vmcnt(0)
	v_subrev_u32_e32 v1, s20, v1
.LBB75_8:
	s_or_b64 exec, exec, s[6:7]
	s_branch .LBB75_12
.LBB75_9:
	v_cmp_gt_i32_e32 vcc, s0, v4
	s_andn2_b64 s[2:3], s[2:3], exec
	s_and_b64 s[6:7], vcc, exec
	s_or_b64 s[2:3], s[2:3], s[6:7]
	s_and_saveexec_b64 s[6:7], s[2:3]
	s_cbranch_execnz .LBB75_13
.LBB75_10:
	s_endpgm
.LBB75_11:
                                        ; implicit-def: $vgpr1
	s_cbranch_execnz .LBB75_9
.LBB75_12:
	v_mov_b32_e32 v4, v1
	s_and_saveexec_b64 s[6:7], s[2:3]
	s_cbranch_execz .LBB75_10
.LBB75_13:
	s_load_dwordx8 s[8:15], s[4:5], 0x20
	v_ashrrev_i32_e32 v5, 31, v4
	v_lshlrev_b64 v[1:2], 2, v[4:5]
	v_and_b32_e32 v9, 3, v0
	s_load_dwordx2 s[6:7], s[4:5], 0x40
	s_waitcnt lgkmcnt(0)
	v_mov_b32_e32 v3, s9
	v_add_co_u32_e32 v5, vcc, s8, v1
	v_addc_co_u32_e32 v6, vcc, v3, v2, vcc
	v_add_co_u32_e32 v3, vcc, 4, v5
	global_load_dword v15, v[5:6], off
	v_addc_co_u32_e32 v5, vcc, 0, v6, vcc
	v_mov_b32_e32 v6, s11
	v_add_co_u32_e32 v1, vcc, s10, v1
	s_cmp_eq_u64 s[10:11], 0
	v_addc_co_u32_e32 v2, vcc, v6, v2, vcc
	s_cselect_b64 vcc, -1, 0
	v_cndmask_b32_e32 v2, v2, v5, vcc
	v_cndmask_b32_e32 v1, v1, v3, vcc
	global_load_dword v1, v[1:2], off
	v_mov_b32_e32 v5, s15
	s_cmp_eq_u32 s1, 1
	s_waitcnt vmcnt(1)
	v_subrev_u32_e32 v0, s20, v15
	v_add_u32_e32 v0, v0, v9
	s_waitcnt vmcnt(0)
	v_subrev_u32_e32 v10, s20, v1
	v_ashrrev_i32_e32 v1, 31, v0
	v_lshlrev_b64 v[2:3], 4, v[0:1]
	v_cmp_lt_i32_e64 s[0:1], v0, v10
	v_add_co_u32_e32 v2, vcc, s14, v2
	v_addc_co_u32_e32 v3, vcc, v5, v3, vcc
	s_cbranch_scc1 .LBB75_25
; %bb.14:
	v_mov_b32_e32 v11, 0
	v_mov_b32_e32 v12, 0
	v_mov_b32_e32 v14, 0
	v_mov_b32_e32 v13, 0
	s_and_saveexec_b64 s[8:9], s[0:1]
	s_cbranch_execz .LBB75_24
; %bb.15:
	v_add_u32_e32 v1, v15, v9
	v_subrev_u32_e32 v1, s20, v1
	v_add_u32_e32 v1, 4, v1
	v_max_i32_e32 v1, v1, v10
	v_not_b32_e32 v5, v15
	v_add3_u32 v1, s20, v1, v5
	v_sub_u32_e32 v1, v1, v9
	v_and_b32_e32 v5, 12, v1
	v_mov_b32_e32 v8, v3
	v_cmp_ne_u32_e32 vcc, 12, v5
	v_mov_b32_e32 v13, 0
	v_mov_b32_e32 v14, 0
	;; [unrolled: 1-line block ×6, first 2 shown]
	s_and_saveexec_b64 s[10:11], vcc
	s_cbranch_execz .LBB75_19
; %bb.16:
	v_lshrrev_b32_e32 v5, 2, v1
	v_add_u32_e32 v5, 1, v5
	v_and_b32_e32 v5, 3, v5
	v_mov_b32_e32 v8, v3
	v_sub_u32_e32 v16, 0, v5
	v_mov_b32_e32 v11, 0
	s_mov_b64 s[14:15], 0
	v_mov_b32_e32 v17, s13
	v_mov_b32_e32 v18, s7
	v_mov_b32_e32 v7, v2
	v_mov_b32_e32 v5, v0
	v_mov_b32_e32 v12, 0
	v_mov_b32_e32 v14, 0
	v_mov_b32_e32 v13, 0
.LBB75_17:                              ; =>This Inner Loop Header: Depth=1
	v_ashrrev_i32_e32 v6, 31, v5
	v_lshlrev_b64 v[19:20], 2, v[5:6]
	v_add_u32_e32 v5, 4, v5
	v_add_co_u32_e32 v23, vcc, s12, v19
	v_addc_co_u32_e32 v24, vcc, v17, v20, vcc
	global_load_dword v6, v[23:24], off
	global_load_dwordx4 v[19:22], v[7:8], off
	v_add_co_u32_e64 v7, s[2:3], 64, v7
	v_addc_co_u32_e64 v8, s[2:3], 0, v8, s[2:3]
	s_waitcnt vmcnt(1)
	v_subrev_u32_e32 v6, s20, v6
	v_lshlrev_b32_e32 v6, 2, v6
	v_ashrrev_i32_e32 v24, 31, v6
	v_add_co_u32_e32 v23, vcc, s6, v6
	v_addc_co_u32_e32 v24, vcc, v18, v24, vcc
	global_load_dword v6, v[23:24], off
	s_waitcnt vmcnt(1)
	v_cvt_f32_i32_sdwa v23, sext(v19) dst_sel:DWORD dst_unused:UNUSED_PAD src0_sel:BYTE_0
	v_cvt_f32_i32_sdwa v26, sext(v20) dst_sel:DWORD dst_unused:UNUSED_PAD src0_sel:BYTE_0
	;; [unrolled: 1-line block ×4, first 2 shown]
	v_cvt_f32_i32_sdwa v24, sext(v19) dst_sel:DWORD dst_unused:UNUSED_PAD src0_sel:BYTE_1
	v_cvt_f32_i32_sdwa v27, sext(v20) dst_sel:DWORD dst_unused:UNUSED_PAD src0_sel:BYTE_1
	;; [unrolled: 1-line block ×4, first 2 shown]
	v_cvt_f32_i32_sdwa v25, sext(v19) dst_sel:DWORD dst_unused:UNUSED_PAD src0_sel:BYTE_2
	v_cvt_f32_i32_sdwa v28, sext(v20) dst_sel:DWORD dst_unused:UNUSED_PAD src0_sel:BYTE_2
	;; [unrolled: 1-line block ×4, first 2 shown]
	v_cvt_f32_i32_sdwa v19, sext(v19) dst_sel:DWORD dst_unused:UNUSED_PAD src0_sel:BYTE_3
	v_cvt_f32_i32_sdwa v20, sext(v20) dst_sel:DWORD dst_unused:UNUSED_PAD src0_sel:BYTE_3
	;; [unrolled: 1-line block ×4, first 2 shown]
	v_add_co_u32_e32 v16, vcc, 1, v16
	s_or_b64 s[14:15], vcc, s[14:15]
	s_waitcnt vmcnt(0)
	v_cvt_f32_i32_sdwa v35, sext(v6) dst_sel:DWORD dst_unused:UNUSED_PAD src0_sel:BYTE_0
	v_cvt_f32_i32_sdwa v36, sext(v6) dst_sel:DWORD dst_unused:UNUSED_PAD src0_sel:BYTE_1
	v_cvt_f32_i32_sdwa v37, sext(v6) dst_sel:DWORD dst_unused:UNUSED_PAD src0_sel:BYTE_2
	v_cvt_f32_i32_sdwa v6, sext(v6) dst_sel:DWORD dst_unused:UNUSED_PAD src0_sel:BYTE_3
	v_fmac_f32_e32 v13, v23, v35
	v_fmac_f32_e32 v14, v26, v35
	;; [unrolled: 1-line block ×16, first 2 shown]
	s_andn2_b64 exec, exec, s[14:15]
	s_cbranch_execnz .LBB75_17
; %bb.18:
	s_or_b64 exec, exec, s[14:15]
.LBB75_19:
	s_or_b64 exec, exec, s[10:11]
	v_cmp_lt_u32_e32 vcc, 11, v1
	s_and_saveexec_b64 s[2:3], vcc
	s_cbranch_execz .LBB75_23
; %bb.20:
	s_mov_b64 s[10:11], 0
	v_mov_b32_e32 v1, s13
	v_mov_b32_e32 v16, s7
.LBB75_21:                              ; =>This Inner Loop Header: Depth=1
	v_ashrrev_i32_e32 v6, 31, v5
	v_lshlrev_b64 v[17:18], 2, v[5:6]
	v_add_u32_e32 v5, 16, v5
	v_add_co_u32_e32 v21, vcc, s12, v17
	v_addc_co_u32_e32 v22, vcc, v1, v18, vcc
	global_load_dword v6, v[21:22], off
	global_load_dwordx4 v[17:20], v[7:8], off
	s_waitcnt vmcnt(1)
	v_subrev_u32_e32 v6, s20, v6
	v_lshlrev_b32_e32 v6, 2, v6
	v_ashrrev_i32_e32 v24, 31, v6
	v_add_co_u32_e32 v23, vcc, s6, v6
	v_addc_co_u32_e32 v24, vcc, v16, v24, vcc
	global_load_dword v6, v[23:24], off
	s_waitcnt vmcnt(1)
	v_cvt_f32_i32_sdwa v25, sext(v17) dst_sel:DWORD dst_unused:UNUSED_PAD src0_sel:BYTE_0
	v_cvt_f32_i32_sdwa v24, sext(v17) dst_sel:DWORD dst_unused:UNUSED_PAD src0_sel:BYTE_1
	s_waitcnt vmcnt(0)
	v_cvt_f32_i32_sdwa v23, sext(v6) dst_sel:DWORD dst_unused:UNUSED_PAD src0_sel:BYTE_0
	v_cvt_f32_i32_sdwa v26, sext(v6) dst_sel:DWORD dst_unused:UNUSED_PAD src0_sel:BYTE_2
	v_fmac_f32_e32 v13, v25, v23
	v_cvt_f32_i32_sdwa v25, sext(v6) dst_sel:DWORD dst_unused:UNUSED_PAD src0_sel:BYTE_1
	v_cvt_f32_i32_sdwa v6, sext(v6) dst_sel:DWORD dst_unused:UNUSED_PAD src0_sel:BYTE_3
	v_fmac_f32_e32 v13, v24, v25
	v_cvt_f32_i32_sdwa v24, sext(v17) dst_sel:DWORD dst_unused:UNUSED_PAD src0_sel:BYTE_2
	v_cvt_f32_i32_sdwa v17, sext(v17) dst_sel:DWORD dst_unused:UNUSED_PAD src0_sel:BYTE_3
	v_fmac_f32_e32 v13, v24, v26
	v_fmac_f32_e32 v13, v17, v6
	v_cvt_f32_i32_sdwa v17, sext(v18) dst_sel:DWORD dst_unused:UNUSED_PAD src0_sel:BYTE_0
	v_fmac_f32_e32 v14, v17, v23
	v_cvt_f32_i32_sdwa v17, sext(v18) dst_sel:DWORD dst_unused:UNUSED_PAD src0_sel:BYTE_1
	v_fmac_f32_e32 v14, v17, v25
	v_cvt_f32_i32_sdwa v17, sext(v18) dst_sel:DWORD dst_unused:UNUSED_PAD src0_sel:BYTE_2
	v_fmac_f32_e32 v14, v17, v26
	v_cvt_f32_i32_sdwa v17, sext(v18) dst_sel:DWORD dst_unused:UNUSED_PAD src0_sel:BYTE_3
	v_fmac_f32_e32 v14, v17, v6
	v_cvt_f32_i32_sdwa v17, sext(v19) dst_sel:DWORD dst_unused:UNUSED_PAD src0_sel:BYTE_0
	v_fmac_f32_e32 v12, v17, v23
	v_cvt_f32_i32_sdwa v17, sext(v19) dst_sel:DWORD dst_unused:UNUSED_PAD src0_sel:BYTE_1
	v_fmac_f32_e32 v12, v17, v25
	v_cvt_f32_i32_sdwa v17, sext(v19) dst_sel:DWORD dst_unused:UNUSED_PAD src0_sel:BYTE_2
	v_fmac_f32_e32 v12, v17, v26
	v_cvt_f32_i32_sdwa v17, sext(v19) dst_sel:DWORD dst_unused:UNUSED_PAD src0_sel:BYTE_3
	v_fmac_f32_e32 v12, v17, v6
	v_cvt_f32_i32_sdwa v17, sext(v20) dst_sel:DWORD dst_unused:UNUSED_PAD src0_sel:BYTE_0
	v_fmac_f32_e32 v11, v17, v23
	v_cvt_f32_i32_sdwa v17, sext(v20) dst_sel:DWORD dst_unused:UNUSED_PAD src0_sel:BYTE_1
	v_fmac_f32_e32 v11, v17, v25
	v_cvt_f32_i32_sdwa v17, sext(v20) dst_sel:DWORD dst_unused:UNUSED_PAD src0_sel:BYTE_2
	v_fmac_f32_e32 v11, v17, v26
	v_cvt_f32_i32_sdwa v17, sext(v20) dst_sel:DWORD dst_unused:UNUSED_PAD src0_sel:BYTE_3
	v_fmac_f32_e32 v11, v17, v6
	global_load_dword v6, v[21:22], off offset:16
	global_load_dwordx4 v[17:20], v[7:8], off offset:64
	s_waitcnt vmcnt(1)
	v_subrev_u32_e32 v6, s20, v6
	v_lshlrev_b32_e32 v6, 2, v6
	v_ashrrev_i32_e32 v24, 31, v6
	v_add_co_u32_e32 v23, vcc, s6, v6
	v_addc_co_u32_e32 v24, vcc, v16, v24, vcc
	global_load_dword v6, v[23:24], off
	s_waitcnt vmcnt(1)
	v_cvt_f32_i32_sdwa v25, sext(v17) dst_sel:DWORD dst_unused:UNUSED_PAD src0_sel:BYTE_0
	v_cvt_f32_i32_sdwa v24, sext(v17) dst_sel:DWORD dst_unused:UNUSED_PAD src0_sel:BYTE_1
	s_waitcnt vmcnt(0)
	v_cvt_f32_i32_sdwa v23, sext(v6) dst_sel:DWORD dst_unused:UNUSED_PAD src0_sel:BYTE_0
	v_cvt_f32_i32_sdwa v26, sext(v6) dst_sel:DWORD dst_unused:UNUSED_PAD src0_sel:BYTE_2
	v_fmac_f32_e32 v13, v25, v23
	v_cvt_f32_i32_sdwa v25, sext(v6) dst_sel:DWORD dst_unused:UNUSED_PAD src0_sel:BYTE_1
	v_cvt_f32_i32_sdwa v6, sext(v6) dst_sel:DWORD dst_unused:UNUSED_PAD src0_sel:BYTE_3
	v_fmac_f32_e32 v13, v24, v25
	v_cvt_f32_i32_sdwa v24, sext(v17) dst_sel:DWORD dst_unused:UNUSED_PAD src0_sel:BYTE_2
	v_cvt_f32_i32_sdwa v17, sext(v17) dst_sel:DWORD dst_unused:UNUSED_PAD src0_sel:BYTE_3
	v_fmac_f32_e32 v13, v24, v26
	v_fmac_f32_e32 v13, v17, v6
	v_cvt_f32_i32_sdwa v17, sext(v18) dst_sel:DWORD dst_unused:UNUSED_PAD src0_sel:BYTE_0
	v_fmac_f32_e32 v14, v17, v23
	v_cvt_f32_i32_sdwa v17, sext(v18) dst_sel:DWORD dst_unused:UNUSED_PAD src0_sel:BYTE_1
	v_fmac_f32_e32 v14, v17, v25
	v_cvt_f32_i32_sdwa v17, sext(v18) dst_sel:DWORD dst_unused:UNUSED_PAD src0_sel:BYTE_2
	v_fmac_f32_e32 v14, v17, v26
	v_cvt_f32_i32_sdwa v17, sext(v18) dst_sel:DWORD dst_unused:UNUSED_PAD src0_sel:BYTE_3
	v_fmac_f32_e32 v14, v17, v6
	v_cvt_f32_i32_sdwa v17, sext(v19) dst_sel:DWORD dst_unused:UNUSED_PAD src0_sel:BYTE_0
	v_fmac_f32_e32 v12, v17, v23
	v_cvt_f32_i32_sdwa v17, sext(v19) dst_sel:DWORD dst_unused:UNUSED_PAD src0_sel:BYTE_1
	v_fmac_f32_e32 v12, v17, v25
	v_cvt_f32_i32_sdwa v17, sext(v19) dst_sel:DWORD dst_unused:UNUSED_PAD src0_sel:BYTE_2
	v_fmac_f32_e32 v12, v17, v26
	v_cvt_f32_i32_sdwa v17, sext(v19) dst_sel:DWORD dst_unused:UNUSED_PAD src0_sel:BYTE_3
	v_fmac_f32_e32 v12, v17, v6
	v_cvt_f32_i32_sdwa v17, sext(v20) dst_sel:DWORD dst_unused:UNUSED_PAD src0_sel:BYTE_0
	v_fmac_f32_e32 v11, v17, v23
	v_cvt_f32_i32_sdwa v17, sext(v20) dst_sel:DWORD dst_unused:UNUSED_PAD src0_sel:BYTE_1
	v_fmac_f32_e32 v11, v17, v25
	v_cvt_f32_i32_sdwa v17, sext(v20) dst_sel:DWORD dst_unused:UNUSED_PAD src0_sel:BYTE_2
	v_fmac_f32_e32 v11, v17, v26
	v_cvt_f32_i32_sdwa v17, sext(v20) dst_sel:DWORD dst_unused:UNUSED_PAD src0_sel:BYTE_3
	v_fmac_f32_e32 v11, v17, v6
	global_load_dword v6, v[21:22], off offset:32
	global_load_dwordx4 v[17:20], v[7:8], off offset:128
	;; [unrolled: 47-line block ×3, first 2 shown]
	s_waitcnt vmcnt(1)
	v_subrev_u32_e32 v6, s20, v6
	v_lshlrev_b32_e32 v6, 2, v6
	v_ashrrev_i32_e32 v22, 31, v6
	v_add_co_u32_e32 v21, vcc, s6, v6
	v_addc_co_u32_e32 v22, vcc, v16, v22, vcc
	global_load_dword v6, v[21:22], off
	s_waitcnt vmcnt(1)
	v_cvt_f32_i32_sdwa v23, sext(v17) dst_sel:DWORD dst_unused:UNUSED_PAD src0_sel:BYTE_0
	v_cvt_f32_i32_sdwa v22, sext(v17) dst_sel:DWORD dst_unused:UNUSED_PAD src0_sel:BYTE_1
	v_add_co_u32_e32 v7, vcc, 0x100, v7
	v_addc_co_u32_e32 v8, vcc, 0, v8, vcc
	v_cmp_ge_i32_e32 vcc, v5, v10
	s_or_b64 s[10:11], vcc, s[10:11]
	s_waitcnt vmcnt(0)
	v_cvt_f32_i32_sdwa v21, sext(v6) dst_sel:DWORD dst_unused:UNUSED_PAD src0_sel:BYTE_0
	v_cvt_f32_i32_sdwa v24, sext(v6) dst_sel:DWORD dst_unused:UNUSED_PAD src0_sel:BYTE_2
	v_fmac_f32_e32 v13, v23, v21
	v_cvt_f32_i32_sdwa v23, sext(v6) dst_sel:DWORD dst_unused:UNUSED_PAD src0_sel:BYTE_1
	v_cvt_f32_i32_sdwa v6, sext(v6) dst_sel:DWORD dst_unused:UNUSED_PAD src0_sel:BYTE_3
	v_fmac_f32_e32 v13, v22, v23
	v_cvt_f32_i32_sdwa v22, sext(v17) dst_sel:DWORD dst_unused:UNUSED_PAD src0_sel:BYTE_2
	v_cvt_f32_i32_sdwa v17, sext(v17) dst_sel:DWORD dst_unused:UNUSED_PAD src0_sel:BYTE_3
	v_fmac_f32_e32 v13, v22, v24
	v_fmac_f32_e32 v13, v17, v6
	v_cvt_f32_i32_sdwa v17, sext(v18) dst_sel:DWORD dst_unused:UNUSED_PAD src0_sel:BYTE_0
	v_fmac_f32_e32 v14, v17, v21
	v_cvt_f32_i32_sdwa v17, sext(v18) dst_sel:DWORD dst_unused:UNUSED_PAD src0_sel:BYTE_1
	v_fmac_f32_e32 v14, v17, v23
	v_cvt_f32_i32_sdwa v17, sext(v18) dst_sel:DWORD dst_unused:UNUSED_PAD src0_sel:BYTE_2
	v_fmac_f32_e32 v14, v17, v24
	v_cvt_f32_i32_sdwa v17, sext(v18) dst_sel:DWORD dst_unused:UNUSED_PAD src0_sel:BYTE_3
	v_fmac_f32_e32 v14, v17, v6
	v_cvt_f32_i32_sdwa v17, sext(v19) dst_sel:DWORD dst_unused:UNUSED_PAD src0_sel:BYTE_0
	v_fmac_f32_e32 v12, v17, v21
	v_cvt_f32_i32_sdwa v17, sext(v19) dst_sel:DWORD dst_unused:UNUSED_PAD src0_sel:BYTE_1
	v_fmac_f32_e32 v12, v17, v23
	v_cvt_f32_i32_sdwa v17, sext(v19) dst_sel:DWORD dst_unused:UNUSED_PAD src0_sel:BYTE_2
	v_fmac_f32_e32 v12, v17, v24
	v_cvt_f32_i32_sdwa v17, sext(v19) dst_sel:DWORD dst_unused:UNUSED_PAD src0_sel:BYTE_3
	;; [unrolled: 8-line block ×3, first 2 shown]
	v_fmac_f32_e32 v11, v17, v6
	s_andn2_b64 exec, exec, s[10:11]
	s_cbranch_execnz .LBB75_21
; %bb.22:
	s_or_b64 exec, exec, s[10:11]
.LBB75_23:
	s_or_b64 exec, exec, s[2:3]
.LBB75_24:
	s_or_b64 exec, exec, s[8:9]
	s_cbranch_execz .LBB75_26
	s_branch .LBB75_37
.LBB75_25:
                                        ; implicit-def: $vgpr11
                                        ; implicit-def: $vgpr12
                                        ; implicit-def: $vgpr14
                                        ; implicit-def: $vgpr13
.LBB75_26:
	v_mov_b32_e32 v11, 0
	v_mov_b32_e32 v12, 0
	;; [unrolled: 1-line block ×4, first 2 shown]
	s_and_saveexec_b64 s[2:3], s[0:1]
	s_cbranch_execz .LBB75_36
; %bb.27:
	v_add_u32_e32 v1, v15, v9
	v_subrev_u32_e32 v1, s20, v1
	v_add_u32_e32 v1, 4, v1
	v_max_i32_e32 v1, v1, v10
	v_not_b32_e32 v5, v15
	v_add3_u32 v1, s20, v1, v5
	v_sub_u32_e32 v5, v1, v9
	v_and_b32_e32 v1, 12, v5
	v_cmp_ne_u32_e32 vcc, 12, v1
	v_mov_b32_e32 v13, 0
	v_mov_b32_e32 v14, 0
	;; [unrolled: 1-line block ×4, first 2 shown]
	s_and_saveexec_b64 s[0:1], vcc
	s_cbranch_execz .LBB75_31
; %bb.28:
	v_lshrrev_b32_e32 v1, 2, v5
	v_add_u32_e32 v1, 1, v1
	v_and_b32_e32 v1, 3, v1
	v_sub_u32_e32 v6, 0, v1
	v_mov_b32_e32 v11, 0
	s_mov_b64 s[8:9], 0
	v_mov_b32_e32 v7, s13
	v_mov_b32_e32 v8, s7
	;; [unrolled: 1-line block ×5, first 2 shown]
.LBB75_29:                              ; =>This Inner Loop Header: Depth=1
	v_ashrrev_i32_e32 v1, 31, v0
	v_lshlrev_b64 v[15:16], 2, v[0:1]
	v_add_u32_e32 v0, 4, v0
	v_add_co_u32_e32 v19, vcc, s12, v15
	v_addc_co_u32_e32 v20, vcc, v7, v16, vcc
	global_load_dword v1, v[19:20], off
	global_load_dwordx4 v[15:18], v[2:3], off
	s_waitcnt vmcnt(1)
	v_subrev_u32_e32 v1, s20, v1
	v_lshlrev_b32_e32 v1, 2, v1
	v_ashrrev_i32_e32 v20, 31, v1
	v_add_co_u32_e32 v19, vcc, s6, v1
	v_addc_co_u32_e32 v20, vcc, v8, v20, vcc
	global_load_dword v1, v[19:20], off
	s_waitcnt vmcnt(1)
	v_cvt_f32_i32_sdwa v19, sext(v15) dst_sel:DWORD dst_unused:UNUSED_PAD src0_sel:BYTE_0
	v_cvt_f32_i32_sdwa v20, sext(v15) dst_sel:DWORD dst_unused:UNUSED_PAD src0_sel:BYTE_1
	v_cvt_f32_i32_sdwa v21, sext(v15) dst_sel:DWORD dst_unused:UNUSED_PAD src0_sel:BYTE_2
	v_cvt_f32_i32_sdwa v15, sext(v15) dst_sel:DWORD dst_unused:UNUSED_PAD src0_sel:BYTE_3
	v_cvt_f32_i32_sdwa v22, sext(v16) dst_sel:DWORD dst_unused:UNUSED_PAD src0_sel:BYTE_0
	v_cvt_f32_i32_sdwa v23, sext(v16) dst_sel:DWORD dst_unused:UNUSED_PAD src0_sel:BYTE_1
	v_cvt_f32_i32_sdwa v24, sext(v16) dst_sel:DWORD dst_unused:UNUSED_PAD src0_sel:BYTE_2
	v_cvt_f32_i32_sdwa v16, sext(v16) dst_sel:DWORD dst_unused:UNUSED_PAD src0_sel:BYTE_3
	;; [unrolled: 4-line block ×4, first 2 shown]
	v_add_co_u32_e32 v2, vcc, 64, v2
	v_addc_co_u32_e32 v3, vcc, 0, v3, vcc
	v_add_co_u32_e32 v6, vcc, 1, v6
	s_or_b64 s[8:9], vcc, s[8:9]
	s_waitcnt vmcnt(0)
	v_cvt_f32_i32_sdwa v31, sext(v1) dst_sel:DWORD dst_unused:UNUSED_PAD src0_sel:BYTE_0
	v_cvt_f32_i32_sdwa v32, sext(v1) dst_sel:DWORD dst_unused:UNUSED_PAD src0_sel:BYTE_1
	v_cvt_f32_i32_sdwa v33, sext(v1) dst_sel:DWORD dst_unused:UNUSED_PAD src0_sel:BYTE_2
	v_cvt_f32_i32_sdwa v1, sext(v1) dst_sel:DWORD dst_unused:UNUSED_PAD src0_sel:BYTE_3
	v_fmac_f32_e32 v13, v19, v31
	v_fmac_f32_e32 v14, v20, v31
	;; [unrolled: 1-line block ×16, first 2 shown]
	s_andn2_b64 exec, exec, s[8:9]
	s_cbranch_execnz .LBB75_29
; %bb.30:
	s_or_b64 exec, exec, s[8:9]
.LBB75_31:
	s_or_b64 exec, exec, s[0:1]
	v_cmp_lt_u32_e32 vcc, 11, v5
	s_and_saveexec_b64 s[0:1], vcc
	s_cbranch_execz .LBB75_35
; %bb.32:
	s_mov_b64 s[8:9], 0
	v_mov_b32_e32 v5, s13
	v_mov_b32_e32 v6, s7
.LBB75_33:                              ; =>This Inner Loop Header: Depth=1
	v_ashrrev_i32_e32 v1, 31, v0
	v_lshlrev_b64 v[7:8], 2, v[0:1]
	global_load_dwordx4 v[15:18], v[2:3], off
	v_add_co_u32_e32 v7, vcc, s12, v7
	v_addc_co_u32_e32 v8, vcc, v5, v8, vcc
	global_load_dword v1, v[7:8], off
	v_add_u32_e32 v0, 16, v0
	s_waitcnt vmcnt(1)
	v_cvt_f32_i32_sdwa v21, sext(v15) dst_sel:DWORD dst_unused:UNUSED_PAD src0_sel:BYTE_0
	s_waitcnt vmcnt(0)
	v_subrev_u32_e32 v1, s20, v1
	v_lshlrev_b32_e32 v1, 2, v1
	v_ashrrev_i32_e32 v20, 31, v1
	v_add_co_u32_e32 v19, vcc, s6, v1
	v_addc_co_u32_e32 v20, vcc, v6, v20, vcc
	global_load_dword v1, v[19:20], off
	v_cvt_f32_i32_sdwa v20, sext(v15) dst_sel:DWORD dst_unused:UNUSED_PAD src0_sel:BYTE_1
	s_waitcnt vmcnt(0)
	v_cvt_f32_i32_sdwa v19, sext(v1) dst_sel:DWORD dst_unused:UNUSED_PAD src0_sel:BYTE_0
	v_fmac_f32_e32 v14, v20, v19
	v_cvt_f32_i32_sdwa v20, sext(v15) dst_sel:DWORD dst_unused:UNUSED_PAD src0_sel:BYTE_2
	v_cvt_f32_i32_sdwa v15, sext(v15) dst_sel:DWORD dst_unused:UNUSED_PAD src0_sel:BYTE_3
	v_fmac_f32_e32 v13, v21, v19
	v_fmac_f32_e32 v12, v20, v19
	v_fmac_f32_e32 v11, v15, v19
	v_cvt_f32_i32_sdwa v15, sext(v16) dst_sel:DWORD dst_unused:UNUSED_PAD src0_sel:BYTE_0
	v_cvt_f32_i32_sdwa v19, sext(v1) dst_sel:DWORD dst_unused:UNUSED_PAD src0_sel:BYTE_1
	v_fmac_f32_e32 v13, v15, v19
	v_cvt_f32_i32_sdwa v15, sext(v16) dst_sel:DWORD dst_unused:UNUSED_PAD src0_sel:BYTE_1
	v_fmac_f32_e32 v14, v15, v19
	v_cvt_f32_i32_sdwa v15, sext(v16) dst_sel:DWORD dst_unused:UNUSED_PAD src0_sel:BYTE_2
	v_fmac_f32_e32 v12, v15, v19
	v_cvt_f32_i32_sdwa v15, sext(v16) dst_sel:DWORD dst_unused:UNUSED_PAD src0_sel:BYTE_3
	v_cvt_f32_i32_sdwa v16, sext(v1) dst_sel:DWORD dst_unused:UNUSED_PAD src0_sel:BYTE_2
	v_cvt_f32_i32_sdwa v1, sext(v1) dst_sel:DWORD dst_unused:UNUSED_PAD src0_sel:BYTE_3
	v_fmac_f32_e32 v11, v15, v19
	v_cvt_f32_i32_sdwa v15, sext(v17) dst_sel:DWORD dst_unused:UNUSED_PAD src0_sel:BYTE_0
	v_fmac_f32_e32 v13, v15, v16
	v_cvt_f32_i32_sdwa v15, sext(v17) dst_sel:DWORD dst_unused:UNUSED_PAD src0_sel:BYTE_1
	v_fmac_f32_e32 v14, v15, v16
	v_cvt_f32_i32_sdwa v15, sext(v17) dst_sel:DWORD dst_unused:UNUSED_PAD src0_sel:BYTE_2
	v_fmac_f32_e32 v12, v15, v16
	v_cvt_f32_i32_sdwa v15, sext(v17) dst_sel:DWORD dst_unused:UNUSED_PAD src0_sel:BYTE_3
	v_fmac_f32_e32 v11, v15, v16
	v_cvt_f32_i32_sdwa v15, sext(v18) dst_sel:DWORD dst_unused:UNUSED_PAD src0_sel:BYTE_0
	v_fmac_f32_e32 v13, v15, v1
	v_cvt_f32_i32_sdwa v15, sext(v18) dst_sel:DWORD dst_unused:UNUSED_PAD src0_sel:BYTE_1
	v_fmac_f32_e32 v14, v15, v1
	v_cvt_f32_i32_sdwa v15, sext(v18) dst_sel:DWORD dst_unused:UNUSED_PAD src0_sel:BYTE_2
	v_fmac_f32_e32 v12, v15, v1
	v_cvt_f32_i32_sdwa v15, sext(v18) dst_sel:DWORD dst_unused:UNUSED_PAD src0_sel:BYTE_3
	v_fmac_f32_e32 v11, v15, v1
	global_load_dword v1, v[7:8], off offset:16
	global_load_dwordx4 v[15:18], v[2:3], off offset:64
	s_waitcnt vmcnt(1)
	v_subrev_u32_e32 v1, s20, v1
	v_lshlrev_b32_e32 v1, 2, v1
	v_ashrrev_i32_e32 v20, 31, v1
	v_add_co_u32_e32 v19, vcc, s6, v1
	v_addc_co_u32_e32 v20, vcc, v6, v20, vcc
	global_load_dword v1, v[19:20], off
	s_waitcnt vmcnt(1)
	v_cvt_f32_i32_sdwa v20, sext(v15) dst_sel:DWORD dst_unused:UNUSED_PAD src0_sel:BYTE_1
	v_cvt_f32_i32_sdwa v21, sext(v15) dst_sel:DWORD dst_unused:UNUSED_PAD src0_sel:BYTE_0
	s_waitcnt vmcnt(0)
	v_cvt_f32_i32_sdwa v19, sext(v1) dst_sel:DWORD dst_unused:UNUSED_PAD src0_sel:BYTE_0
	v_fmac_f32_e32 v14, v20, v19
	v_cvt_f32_i32_sdwa v20, sext(v15) dst_sel:DWORD dst_unused:UNUSED_PAD src0_sel:BYTE_2
	v_cvt_f32_i32_sdwa v15, sext(v15) dst_sel:DWORD dst_unused:UNUSED_PAD src0_sel:BYTE_3
	v_fmac_f32_e32 v13, v21, v19
	v_fmac_f32_e32 v12, v20, v19
	v_fmac_f32_e32 v11, v15, v19
	v_cvt_f32_i32_sdwa v15, sext(v16) dst_sel:DWORD dst_unused:UNUSED_PAD src0_sel:BYTE_0
	v_cvt_f32_i32_sdwa v19, sext(v1) dst_sel:DWORD dst_unused:UNUSED_PAD src0_sel:BYTE_1
	v_fmac_f32_e32 v13, v15, v19
	v_cvt_f32_i32_sdwa v15, sext(v16) dst_sel:DWORD dst_unused:UNUSED_PAD src0_sel:BYTE_1
	v_fmac_f32_e32 v14, v15, v19
	v_cvt_f32_i32_sdwa v15, sext(v16) dst_sel:DWORD dst_unused:UNUSED_PAD src0_sel:BYTE_2
	v_fmac_f32_e32 v12, v15, v19
	v_cvt_f32_i32_sdwa v15, sext(v16) dst_sel:DWORD dst_unused:UNUSED_PAD src0_sel:BYTE_3
	v_cvt_f32_i32_sdwa v16, sext(v1) dst_sel:DWORD dst_unused:UNUSED_PAD src0_sel:BYTE_2
	v_cvt_f32_i32_sdwa v1, sext(v1) dst_sel:DWORD dst_unused:UNUSED_PAD src0_sel:BYTE_3
	v_fmac_f32_e32 v11, v15, v19
	v_cvt_f32_i32_sdwa v15, sext(v17) dst_sel:DWORD dst_unused:UNUSED_PAD src0_sel:BYTE_0
	v_fmac_f32_e32 v13, v15, v16
	v_cvt_f32_i32_sdwa v15, sext(v17) dst_sel:DWORD dst_unused:UNUSED_PAD src0_sel:BYTE_1
	v_fmac_f32_e32 v14, v15, v16
	v_cvt_f32_i32_sdwa v15, sext(v17) dst_sel:DWORD dst_unused:UNUSED_PAD src0_sel:BYTE_2
	v_fmac_f32_e32 v12, v15, v16
	v_cvt_f32_i32_sdwa v15, sext(v17) dst_sel:DWORD dst_unused:UNUSED_PAD src0_sel:BYTE_3
	v_fmac_f32_e32 v11, v15, v16
	v_cvt_f32_i32_sdwa v15, sext(v18) dst_sel:DWORD dst_unused:UNUSED_PAD src0_sel:BYTE_0
	v_fmac_f32_e32 v13, v15, v1
	v_cvt_f32_i32_sdwa v15, sext(v18) dst_sel:DWORD dst_unused:UNUSED_PAD src0_sel:BYTE_1
	v_fmac_f32_e32 v14, v15, v1
	v_cvt_f32_i32_sdwa v15, sext(v18) dst_sel:DWORD dst_unused:UNUSED_PAD src0_sel:BYTE_2
	v_fmac_f32_e32 v12, v15, v1
	v_cvt_f32_i32_sdwa v15, sext(v18) dst_sel:DWORD dst_unused:UNUSED_PAD src0_sel:BYTE_3
	v_fmac_f32_e32 v11, v15, v1
	global_load_dword v1, v[7:8], off offset:32
	global_load_dwordx4 v[15:18], v[2:3], off offset:128
	s_waitcnt vmcnt(1)
	v_subrev_u32_e32 v1, s20, v1
	v_lshlrev_b32_e32 v1, 2, v1
	v_ashrrev_i32_e32 v20, 31, v1
	v_add_co_u32_e32 v19, vcc, s6, v1
	v_addc_co_u32_e32 v20, vcc, v6, v20, vcc
	global_load_dword v1, v[19:20], off
	s_waitcnt vmcnt(1)
	v_cvt_f32_i32_sdwa v20, sext(v15) dst_sel:DWORD dst_unused:UNUSED_PAD src0_sel:BYTE_1
	v_cvt_f32_i32_sdwa v21, sext(v15) dst_sel:DWORD dst_unused:UNUSED_PAD src0_sel:BYTE_0
	s_waitcnt vmcnt(0)
	v_cvt_f32_i32_sdwa v19, sext(v1) dst_sel:DWORD dst_unused:UNUSED_PAD src0_sel:BYTE_0
	v_fmac_f32_e32 v14, v20, v19
	v_cvt_f32_i32_sdwa v20, sext(v15) dst_sel:DWORD dst_unused:UNUSED_PAD src0_sel:BYTE_2
	v_cvt_f32_i32_sdwa v15, sext(v15) dst_sel:DWORD dst_unused:UNUSED_PAD src0_sel:BYTE_3
	v_fmac_f32_e32 v13, v21, v19
	v_fmac_f32_e32 v12, v20, v19
	v_fmac_f32_e32 v11, v15, v19
	v_cvt_f32_i32_sdwa v15, sext(v16) dst_sel:DWORD dst_unused:UNUSED_PAD src0_sel:BYTE_0
	v_cvt_f32_i32_sdwa v19, sext(v1) dst_sel:DWORD dst_unused:UNUSED_PAD src0_sel:BYTE_1
	v_fmac_f32_e32 v13, v15, v19
	v_cvt_f32_i32_sdwa v15, sext(v16) dst_sel:DWORD dst_unused:UNUSED_PAD src0_sel:BYTE_1
	v_fmac_f32_e32 v14, v15, v19
	v_cvt_f32_i32_sdwa v15, sext(v16) dst_sel:DWORD dst_unused:UNUSED_PAD src0_sel:BYTE_2
	v_fmac_f32_e32 v12, v15, v19
	v_cvt_f32_i32_sdwa v15, sext(v16) dst_sel:DWORD dst_unused:UNUSED_PAD src0_sel:BYTE_3
	v_cvt_f32_i32_sdwa v16, sext(v1) dst_sel:DWORD dst_unused:UNUSED_PAD src0_sel:BYTE_2
	v_cvt_f32_i32_sdwa v1, sext(v1) dst_sel:DWORD dst_unused:UNUSED_PAD src0_sel:BYTE_3
	v_fmac_f32_e32 v11, v15, v19
	v_cvt_f32_i32_sdwa v15, sext(v17) dst_sel:DWORD dst_unused:UNUSED_PAD src0_sel:BYTE_0
	v_fmac_f32_e32 v13, v15, v16
	v_cvt_f32_i32_sdwa v15, sext(v17) dst_sel:DWORD dst_unused:UNUSED_PAD src0_sel:BYTE_1
	v_fmac_f32_e32 v14, v15, v16
	v_cvt_f32_i32_sdwa v15, sext(v17) dst_sel:DWORD dst_unused:UNUSED_PAD src0_sel:BYTE_2
	v_fmac_f32_e32 v12, v15, v16
	v_cvt_f32_i32_sdwa v15, sext(v17) dst_sel:DWORD dst_unused:UNUSED_PAD src0_sel:BYTE_3
	v_fmac_f32_e32 v11, v15, v16
	v_cvt_f32_i32_sdwa v15, sext(v18) dst_sel:DWORD dst_unused:UNUSED_PAD src0_sel:BYTE_0
	v_fmac_f32_e32 v13, v15, v1
	v_cvt_f32_i32_sdwa v15, sext(v18) dst_sel:DWORD dst_unused:UNUSED_PAD src0_sel:BYTE_1
	v_fmac_f32_e32 v14, v15, v1
	v_cvt_f32_i32_sdwa v15, sext(v18) dst_sel:DWORD dst_unused:UNUSED_PAD src0_sel:BYTE_2
	v_fmac_f32_e32 v12, v15, v1
	v_cvt_f32_i32_sdwa v15, sext(v18) dst_sel:DWORD dst_unused:UNUSED_PAD src0_sel:BYTE_3
	v_fmac_f32_e32 v11, v15, v1
	global_load_dword v1, v[7:8], off offset:48
	global_load_dwordx4 v[15:18], v[2:3], off offset:192
	s_waitcnt vmcnt(1)
	v_subrev_u32_e32 v1, s20, v1
	v_lshlrev_b32_e32 v1, 2, v1
	v_ashrrev_i32_e32 v8, 31, v1
	v_add_co_u32_e32 v7, vcc, s6, v1
	v_addc_co_u32_e32 v8, vcc, v6, v8, vcc
	global_load_dword v1, v[7:8], off
	s_waitcnt vmcnt(1)
	v_cvt_f32_i32_sdwa v8, sext(v15) dst_sel:DWORD dst_unused:UNUSED_PAD src0_sel:BYTE_1
	v_cvt_f32_i32_sdwa v19, sext(v15) dst_sel:DWORD dst_unused:UNUSED_PAD src0_sel:BYTE_0
	v_add_co_u32_e32 v2, vcc, 0x100, v2
	v_addc_co_u32_e32 v3, vcc, 0, v3, vcc
	v_cmp_ge_i32_e32 vcc, v0, v10
	s_or_b64 s[8:9], vcc, s[8:9]
	s_waitcnt vmcnt(0)
	v_cvt_f32_i32_sdwa v7, sext(v1) dst_sel:DWORD dst_unused:UNUSED_PAD src0_sel:BYTE_0
	v_fmac_f32_e32 v14, v8, v7
	v_cvt_f32_i32_sdwa v8, sext(v15) dst_sel:DWORD dst_unused:UNUSED_PAD src0_sel:BYTE_2
	v_fmac_f32_e32 v13, v19, v7
	v_fmac_f32_e32 v12, v8, v7
	v_cvt_f32_i32_sdwa v8, sext(v15) dst_sel:DWORD dst_unused:UNUSED_PAD src0_sel:BYTE_3
	v_fmac_f32_e32 v11, v8, v7
	v_cvt_f32_i32_sdwa v7, sext(v16) dst_sel:DWORD dst_unused:UNUSED_PAD src0_sel:BYTE_0
	v_cvt_f32_i32_sdwa v8, sext(v1) dst_sel:DWORD dst_unused:UNUSED_PAD src0_sel:BYTE_1
	v_fmac_f32_e32 v13, v7, v8
	v_cvt_f32_i32_sdwa v7, sext(v16) dst_sel:DWORD dst_unused:UNUSED_PAD src0_sel:BYTE_1
	v_fmac_f32_e32 v14, v7, v8
	v_cvt_f32_i32_sdwa v7, sext(v16) dst_sel:DWORD dst_unused:UNUSED_PAD src0_sel:BYTE_2
	v_fmac_f32_e32 v12, v7, v8
	v_cvt_f32_i32_sdwa v7, sext(v16) dst_sel:DWORD dst_unused:UNUSED_PAD src0_sel:BYTE_3
	v_fmac_f32_e32 v11, v7, v8
	v_cvt_f32_i32_sdwa v7, sext(v17) dst_sel:DWORD dst_unused:UNUSED_PAD src0_sel:BYTE_0
	v_cvt_f32_i32_sdwa v8, sext(v1) dst_sel:DWORD dst_unused:UNUSED_PAD src0_sel:BYTE_2
	v_cvt_f32_i32_sdwa v1, sext(v1) dst_sel:DWORD dst_unused:UNUSED_PAD src0_sel:BYTE_3
	v_fmac_f32_e32 v13, v7, v8
	v_cvt_f32_i32_sdwa v7, sext(v17) dst_sel:DWORD dst_unused:UNUSED_PAD src0_sel:BYTE_1
	v_fmac_f32_e32 v14, v7, v8
	v_cvt_f32_i32_sdwa v7, sext(v17) dst_sel:DWORD dst_unused:UNUSED_PAD src0_sel:BYTE_2
	v_fmac_f32_e32 v12, v7, v8
	v_cvt_f32_i32_sdwa v7, sext(v17) dst_sel:DWORD dst_unused:UNUSED_PAD src0_sel:BYTE_3
	v_fmac_f32_e32 v11, v7, v8
	v_cvt_f32_i32_sdwa v7, sext(v18) dst_sel:DWORD dst_unused:UNUSED_PAD src0_sel:BYTE_0
	v_fmac_f32_e32 v13, v7, v1
	v_cvt_f32_i32_sdwa v7, sext(v18) dst_sel:DWORD dst_unused:UNUSED_PAD src0_sel:BYTE_1
	v_fmac_f32_e32 v14, v7, v1
	v_cvt_f32_i32_sdwa v7, sext(v18) dst_sel:DWORD dst_unused:UNUSED_PAD src0_sel:BYTE_2
	v_fmac_f32_e32 v12, v7, v1
	v_cvt_f32_i32_sdwa v7, sext(v18) dst_sel:DWORD dst_unused:UNUSED_PAD src0_sel:BYTE_3
	v_fmac_f32_e32 v11, v7, v1
	s_andn2_b64 exec, exec, s[8:9]
	s_cbranch_execnz .LBB75_33
; %bb.34:
	s_or_b64 exec, exec, s[8:9]
.LBB75_35:
	s_or_b64 exec, exec, s[0:1]
.LBB75_36:
	s_or_b64 exec, exec, s[2:3]
.LBB75_37:
	v_mov_b32_dpp v0, v13 row_shr:1 row_mask:0xf bank_mask:0xf
	v_mov_b32_dpp v2, v14 row_shr:1 row_mask:0xf bank_mask:0xf
	v_mov_b32_dpp v5, v12 row_shr:1 row_mask:0xf bank_mask:0xf
	v_mov_b32_dpp v7, v11 row_shr:1 row_mask:0xf bank_mask:0xf
	v_add_f32_e32 v0, v13, v0
	v_add_f32_e32 v2, v14, v2
	;; [unrolled: 1-line block ×4, first 2 shown]
	v_mov_b32_dpp v1, v0 row_shr:2 row_mask:0xf bank_mask:0xf
	v_mov_b32_dpp v3, v2 row_shr:2 row_mask:0xf bank_mask:0xf
	v_mov_b32_dpp v6, v5 row_shr:2 row_mask:0xf bank_mask:0xf
	v_mov_b32_dpp v8, v7 row_shr:2 row_mask:0xf bank_mask:0xf
	v_cmp_eq_u32_e32 vcc, 3, v9
	s_and_b64 exec, exec, vcc
	s_cbranch_execz .LBB75_10
; %bb.38:
	s_load_dwordx2 s[0:1], s[4:5], 0x50
	v_add_f32_e32 v0, v0, v1
	v_add_f32_e32 v1, v2, v3
	;; [unrolled: 1-line block ×4, first 2 shown]
	v_cmp_eq_f32_e64 s[2:3], s16, 0
	s_and_b64 vcc, exec, s[2:3]
	v_mul_f32_e32 v0, s18, v0
	v_mul_f32_e32 v1, s18, v1
	;; [unrolled: 1-line block ×4, first 2 shown]
	v_lshlrev_b32_e32 v4, 2, v4
	s_cbranch_vccz .LBB75_40
; %bb.39:
	v_ashrrev_i32_e32 v5, 31, v4
	v_lshlrev_b64 v[5:6], 2, v[4:5]
	s_waitcnt lgkmcnt(0)
	v_mov_b32_e32 v7, s1
	v_add_co_u32_e32 v5, vcc, s0, v5
	v_addc_co_u32_e32 v6, vcc, v7, v6, vcc
	global_store_dwordx4 v[5:6], v[0:3], off
	s_cbranch_execnz .LBB75_10
	s_branch .LBB75_41
.LBB75_40:
.LBB75_41:
	v_ashrrev_i32_e32 v5, 31, v4
	v_lshlrev_b64 v[4:5], 2, v[4:5]
	s_waitcnt lgkmcnt(0)
	v_mov_b32_e32 v6, s1
	v_add_co_u32_e32 v8, vcc, s0, v4
	v_addc_co_u32_e32 v9, vcc, v6, v5, vcc
	global_load_dwordx4 v[4:7], v[8:9], off
	s_waitcnt vmcnt(0)
	v_fmac_f32_e32 v0, s16, v4
	v_fmac_f32_e32 v1, s16, v5
	;; [unrolled: 1-line block ×4, first 2 shown]
	global_store_dwordx4 v[8:9], v[0:3], off
	s_endpgm
	.section	.rodata,"a",@progbits
	.p2align	6, 0x0
	.amdhsa_kernel _ZN9rocsparseL18bsrxmvn_4x4_kernelILj128ELj4EfiiaafEEvT3_20rocsparse_direction_NS_24const_host_device_scalarIT1_EES1_PKS1_PKT2_SA_S7_PKT4_PKT5_S5_PT6_21rocsparse_index_base_b
		.amdhsa_group_segment_fixed_size 0
		.amdhsa_private_segment_fixed_size 0
		.amdhsa_kernarg_size 96
		.amdhsa_user_sgpr_count 6
		.amdhsa_user_sgpr_private_segment_buffer 1
		.amdhsa_user_sgpr_dispatch_ptr 0
		.amdhsa_user_sgpr_queue_ptr 0
		.amdhsa_user_sgpr_kernarg_segment_ptr 1
		.amdhsa_user_sgpr_dispatch_id 0
		.amdhsa_user_sgpr_flat_scratch_init 0
		.amdhsa_user_sgpr_private_segment_size 0
		.amdhsa_uses_dynamic_stack 0
		.amdhsa_system_sgpr_private_segment_wavefront_offset 0
		.amdhsa_system_sgpr_workgroup_id_x 1
		.amdhsa_system_sgpr_workgroup_id_y 0
		.amdhsa_system_sgpr_workgroup_id_z 0
		.amdhsa_system_sgpr_workgroup_info 0
		.amdhsa_system_vgpr_workitem_id 0
		.amdhsa_next_free_vgpr 38
		.amdhsa_next_free_sgpr 22
		.amdhsa_reserve_vcc 1
		.amdhsa_reserve_flat_scratch 0
		.amdhsa_float_round_mode_32 0
		.amdhsa_float_round_mode_16_64 0
		.amdhsa_float_denorm_mode_32 3
		.amdhsa_float_denorm_mode_16_64 3
		.amdhsa_dx10_clamp 1
		.amdhsa_ieee_mode 1
		.amdhsa_fp16_overflow 0
		.amdhsa_exception_fp_ieee_invalid_op 0
		.amdhsa_exception_fp_denorm_src 0
		.amdhsa_exception_fp_ieee_div_zero 0
		.amdhsa_exception_fp_ieee_overflow 0
		.amdhsa_exception_fp_ieee_underflow 0
		.amdhsa_exception_fp_ieee_inexact 0
		.amdhsa_exception_int_div_zero 0
	.end_amdhsa_kernel
	.section	.text._ZN9rocsparseL18bsrxmvn_4x4_kernelILj128ELj4EfiiaafEEvT3_20rocsparse_direction_NS_24const_host_device_scalarIT1_EES1_PKS1_PKT2_SA_S7_PKT4_PKT5_S5_PT6_21rocsparse_index_base_b,"axG",@progbits,_ZN9rocsparseL18bsrxmvn_4x4_kernelILj128ELj4EfiiaafEEvT3_20rocsparse_direction_NS_24const_host_device_scalarIT1_EES1_PKS1_PKT2_SA_S7_PKT4_PKT5_S5_PT6_21rocsparse_index_base_b,comdat
.Lfunc_end75:
	.size	_ZN9rocsparseL18bsrxmvn_4x4_kernelILj128ELj4EfiiaafEEvT3_20rocsparse_direction_NS_24const_host_device_scalarIT1_EES1_PKS1_PKT2_SA_S7_PKT4_PKT5_S5_PT6_21rocsparse_index_base_b, .Lfunc_end75-_ZN9rocsparseL18bsrxmvn_4x4_kernelILj128ELj4EfiiaafEEvT3_20rocsparse_direction_NS_24const_host_device_scalarIT1_EES1_PKS1_PKT2_SA_S7_PKT4_PKT5_S5_PT6_21rocsparse_index_base_b
                                        ; -- End function
	.set _ZN9rocsparseL18bsrxmvn_4x4_kernelILj128ELj4EfiiaafEEvT3_20rocsparse_direction_NS_24const_host_device_scalarIT1_EES1_PKS1_PKT2_SA_S7_PKT4_PKT5_S5_PT6_21rocsparse_index_base_b.num_vgpr, 38
	.set _ZN9rocsparseL18bsrxmvn_4x4_kernelILj128ELj4EfiiaafEEvT3_20rocsparse_direction_NS_24const_host_device_scalarIT1_EES1_PKS1_PKT2_SA_S7_PKT4_PKT5_S5_PT6_21rocsparse_index_base_b.num_agpr, 0
	.set _ZN9rocsparseL18bsrxmvn_4x4_kernelILj128ELj4EfiiaafEEvT3_20rocsparse_direction_NS_24const_host_device_scalarIT1_EES1_PKS1_PKT2_SA_S7_PKT4_PKT5_S5_PT6_21rocsparse_index_base_b.numbered_sgpr, 22
	.set _ZN9rocsparseL18bsrxmvn_4x4_kernelILj128ELj4EfiiaafEEvT3_20rocsparse_direction_NS_24const_host_device_scalarIT1_EES1_PKS1_PKT2_SA_S7_PKT4_PKT5_S5_PT6_21rocsparse_index_base_b.num_named_barrier, 0
	.set _ZN9rocsparseL18bsrxmvn_4x4_kernelILj128ELj4EfiiaafEEvT3_20rocsparse_direction_NS_24const_host_device_scalarIT1_EES1_PKS1_PKT2_SA_S7_PKT4_PKT5_S5_PT6_21rocsparse_index_base_b.private_seg_size, 0
	.set _ZN9rocsparseL18bsrxmvn_4x4_kernelILj128ELj4EfiiaafEEvT3_20rocsparse_direction_NS_24const_host_device_scalarIT1_EES1_PKS1_PKT2_SA_S7_PKT4_PKT5_S5_PT6_21rocsparse_index_base_b.uses_vcc, 1
	.set _ZN9rocsparseL18bsrxmvn_4x4_kernelILj128ELj4EfiiaafEEvT3_20rocsparse_direction_NS_24const_host_device_scalarIT1_EES1_PKS1_PKT2_SA_S7_PKT4_PKT5_S5_PT6_21rocsparse_index_base_b.uses_flat_scratch, 0
	.set _ZN9rocsparseL18bsrxmvn_4x4_kernelILj128ELj4EfiiaafEEvT3_20rocsparse_direction_NS_24const_host_device_scalarIT1_EES1_PKS1_PKT2_SA_S7_PKT4_PKT5_S5_PT6_21rocsparse_index_base_b.has_dyn_sized_stack, 0
	.set _ZN9rocsparseL18bsrxmvn_4x4_kernelILj128ELj4EfiiaafEEvT3_20rocsparse_direction_NS_24const_host_device_scalarIT1_EES1_PKS1_PKT2_SA_S7_PKT4_PKT5_S5_PT6_21rocsparse_index_base_b.has_recursion, 0
	.set _ZN9rocsparseL18bsrxmvn_4x4_kernelILj128ELj4EfiiaafEEvT3_20rocsparse_direction_NS_24const_host_device_scalarIT1_EES1_PKS1_PKT2_SA_S7_PKT4_PKT5_S5_PT6_21rocsparse_index_base_b.has_indirect_call, 0
	.section	.AMDGPU.csdata,"",@progbits
; Kernel info:
; codeLenInByte = 4088
; TotalNumSgprs: 26
; NumVgprs: 38
; ScratchSize: 0
; MemoryBound: 0
; FloatMode: 240
; IeeeMode: 1
; LDSByteSize: 0 bytes/workgroup (compile time only)
; SGPRBlocks: 3
; VGPRBlocks: 9
; NumSGPRsForWavesPerEU: 26
; NumVGPRsForWavesPerEU: 38
; Occupancy: 6
; WaveLimiterHint : 1
; COMPUTE_PGM_RSRC2:SCRATCH_EN: 0
; COMPUTE_PGM_RSRC2:USER_SGPR: 6
; COMPUTE_PGM_RSRC2:TRAP_HANDLER: 0
; COMPUTE_PGM_RSRC2:TGID_X_EN: 1
; COMPUTE_PGM_RSRC2:TGID_Y_EN: 0
; COMPUTE_PGM_RSRC2:TGID_Z_EN: 0
; COMPUTE_PGM_RSRC2:TIDIG_COMP_CNT: 0
	.section	.text._ZN9rocsparseL18bsrxmvn_4x4_kernelILj128ELj8EfiiaafEEvT3_20rocsparse_direction_NS_24const_host_device_scalarIT1_EES1_PKS1_PKT2_SA_S7_PKT4_PKT5_S5_PT6_21rocsparse_index_base_b,"axG",@progbits,_ZN9rocsparseL18bsrxmvn_4x4_kernelILj128ELj8EfiiaafEEvT3_20rocsparse_direction_NS_24const_host_device_scalarIT1_EES1_PKS1_PKT2_SA_S7_PKT4_PKT5_S5_PT6_21rocsparse_index_base_b,comdat
	.globl	_ZN9rocsparseL18bsrxmvn_4x4_kernelILj128ELj8EfiiaafEEvT3_20rocsparse_direction_NS_24const_host_device_scalarIT1_EES1_PKS1_PKT2_SA_S7_PKT4_PKT5_S5_PT6_21rocsparse_index_base_b ; -- Begin function _ZN9rocsparseL18bsrxmvn_4x4_kernelILj128ELj8EfiiaafEEvT3_20rocsparse_direction_NS_24const_host_device_scalarIT1_EES1_PKS1_PKT2_SA_S7_PKT4_PKT5_S5_PT6_21rocsparse_index_base_b
	.p2align	8
	.type	_ZN9rocsparseL18bsrxmvn_4x4_kernelILj128ELj8EfiiaafEEvT3_20rocsparse_direction_NS_24const_host_device_scalarIT1_EES1_PKS1_PKT2_SA_S7_PKT4_PKT5_S5_PT6_21rocsparse_index_base_b,@function
_ZN9rocsparseL18bsrxmvn_4x4_kernelILj128ELj8EfiiaafEEvT3_20rocsparse_direction_NS_24const_host_device_scalarIT1_EES1_PKS1_PKT2_SA_S7_PKT4_PKT5_S5_PT6_21rocsparse_index_base_b: ; @_ZN9rocsparseL18bsrxmvn_4x4_kernelILj128ELj8EfiiaafEEvT3_20rocsparse_direction_NS_24const_host_device_scalarIT1_EES1_PKS1_PKT2_SA_S7_PKT4_PKT5_S5_PT6_21rocsparse_index_base_b
; %bb.0:
	s_load_dwordx2 s[20:21], s[4:5], 0x58
	s_load_dwordx2 s[18:19], s[4:5], 0x8
	;; [unrolled: 1-line block ×3, first 2 shown]
	s_waitcnt lgkmcnt(0)
	s_bitcmp1_b32 s21, 0
	s_cselect_b64 s[2:3], -1, 0
	s_xor_b64 s[0:1], s[2:3], -1
	s_and_b64 vcc, exec, s[2:3]
	s_cbranch_vccnz .LBB76_2
; %bb.1:
	s_load_dword s18, s[18:19], 0x0
.LBB76_2:
	s_andn2_b64 vcc, exec, s[0:1]
	s_cbranch_vccnz .LBB76_4
; %bb.3:
	s_load_dword s16, s[16:17], 0x0
.LBB76_4:
	s_waitcnt lgkmcnt(0)
	v_cmp_neq_f32_e64 s[0:1], s18, 0
	v_cmp_neq_f32_e64 s[2:3], s16, 1.0
	s_or_b64 s[0:1], s[0:1], s[2:3]
	s_andn2_b64 vcc, exec, s[0:1]
	s_cbranch_vccnz .LBB76_10
; %bb.5:
	s_load_dwordx2 s[8:9], s[4:5], 0x18
	s_load_dwordx2 s[0:1], s[4:5], 0x0
	v_lshrrev_b32_e32 v1, 3, v0
	v_lshl_or_b32 v4, s6, 4, v1
	s_mov_b64 s[2:3], 0
	s_waitcnt lgkmcnt(0)
	s_cmp_lg_u64 s[8:9], 0
	s_cbranch_scc0 .LBB76_11
; %bb.6:
	s_load_dword s6, s[4:5], 0x10
                                        ; implicit-def: $vgpr1
	s_waitcnt lgkmcnt(0)
	v_cmp_gt_i32_e32 vcc, s6, v4
	s_and_saveexec_b64 s[6:7], vcc
	s_xor_b64 s[6:7], exec, s[6:7]
	s_cbranch_execz .LBB76_8
; %bb.7:
	v_ashrrev_i32_e32 v5, 31, v4
	v_lshlrev_b64 v[1:2], 2, v[4:5]
	v_mov_b32_e32 v3, s9
	v_add_co_u32_e32 v1, vcc, s8, v1
	v_addc_co_u32_e32 v2, vcc, v3, v2, vcc
	global_load_dword v1, v[1:2], off
	s_mov_b64 s[2:3], exec
	s_waitcnt vmcnt(0)
	v_subrev_u32_e32 v1, s20, v1
.LBB76_8:
	s_or_b64 exec, exec, s[6:7]
	s_branch .LBB76_12
.LBB76_9:
	v_cmp_gt_i32_e32 vcc, s0, v4
	s_andn2_b64 s[2:3], s[2:3], exec
	s_and_b64 s[6:7], vcc, exec
	s_or_b64 s[2:3], s[2:3], s[6:7]
	s_and_saveexec_b64 s[6:7], s[2:3]
	s_cbranch_execnz .LBB76_13
.LBB76_10:
	s_endpgm
.LBB76_11:
                                        ; implicit-def: $vgpr1
	s_cbranch_execnz .LBB76_9
.LBB76_12:
	v_mov_b32_e32 v4, v1
	s_and_saveexec_b64 s[6:7], s[2:3]
	s_cbranch_execz .LBB76_10
.LBB76_13:
	s_load_dwordx8 s[8:15], s[4:5], 0x20
	v_ashrrev_i32_e32 v5, 31, v4
	v_lshlrev_b64 v[1:2], 2, v[4:5]
	v_and_b32_e32 v9, 7, v0
	s_load_dwordx2 s[6:7], s[4:5], 0x40
	s_waitcnt lgkmcnt(0)
	v_mov_b32_e32 v3, s9
	v_add_co_u32_e32 v5, vcc, s8, v1
	v_addc_co_u32_e32 v6, vcc, v3, v2, vcc
	v_add_co_u32_e32 v3, vcc, 4, v5
	global_load_dword v15, v[5:6], off
	v_addc_co_u32_e32 v5, vcc, 0, v6, vcc
	v_mov_b32_e32 v6, s11
	v_add_co_u32_e32 v1, vcc, s10, v1
	s_cmp_eq_u64 s[10:11], 0
	v_addc_co_u32_e32 v2, vcc, v6, v2, vcc
	s_cselect_b64 vcc, -1, 0
	v_cndmask_b32_e32 v2, v2, v5, vcc
	v_cndmask_b32_e32 v1, v1, v3, vcc
	global_load_dword v1, v[1:2], off
	v_mov_b32_e32 v5, s15
	s_cmp_eq_u32 s1, 1
	s_waitcnt vmcnt(1)
	v_subrev_u32_e32 v0, s20, v15
	v_add_u32_e32 v0, v0, v9
	s_waitcnt vmcnt(0)
	v_subrev_u32_e32 v10, s20, v1
	v_ashrrev_i32_e32 v1, 31, v0
	v_lshlrev_b64 v[2:3], 4, v[0:1]
	v_cmp_lt_i32_e64 s[0:1], v0, v10
	v_add_co_u32_e32 v2, vcc, s14, v2
	v_addc_co_u32_e32 v3, vcc, v5, v3, vcc
	s_cbranch_scc1 .LBB76_25
; %bb.14:
	v_mov_b32_e32 v11, 0
	v_mov_b32_e32 v12, 0
	;; [unrolled: 1-line block ×4, first 2 shown]
	s_and_saveexec_b64 s[8:9], s[0:1]
	s_cbranch_execz .LBB76_24
; %bb.15:
	v_add_u32_e32 v1, v15, v9
	v_subrev_u32_e32 v1, s20, v1
	v_add_u32_e32 v1, 8, v1
	v_max_i32_e32 v1, v1, v10
	v_not_b32_e32 v5, v15
	v_add3_u32 v1, s20, v1, v5
	v_sub_u32_e32 v1, v1, v9
	v_and_b32_e32 v5, 24, v1
	v_mov_b32_e32 v8, v3
	v_cmp_ne_u32_e32 vcc, 24, v5
	v_mov_b32_e32 v13, 0
	v_mov_b32_e32 v14, 0
	;; [unrolled: 1-line block ×6, first 2 shown]
	s_and_saveexec_b64 s[10:11], vcc
	s_cbranch_execz .LBB76_19
; %bb.16:
	v_lshrrev_b32_e32 v5, 3, v1
	v_add_u32_e32 v5, 1, v5
	v_and_b32_e32 v5, 3, v5
	v_mov_b32_e32 v8, v3
	v_sub_u32_e32 v16, 0, v5
	v_mov_b32_e32 v11, 0
	s_mov_b64 s[14:15], 0
	v_mov_b32_e32 v17, s13
	v_mov_b32_e32 v18, s7
	;; [unrolled: 1-line block ×7, first 2 shown]
.LBB76_17:                              ; =>This Inner Loop Header: Depth=1
	v_ashrrev_i32_e32 v6, 31, v5
	v_lshlrev_b64 v[19:20], 2, v[5:6]
	v_add_co_u32_e64 v16, s[2:3], 1, v16
	v_add_co_u32_e32 v23, vcc, s12, v19
	v_addc_co_u32_e32 v24, vcc, v17, v20, vcc
	global_load_dword v6, v[23:24], off
	global_load_dwordx4 v[19:22], v[7:8], off
	v_add_u32_e32 v5, 8, v5
	s_or_b64 s[14:15], s[2:3], s[14:15]
	s_waitcnt vmcnt(1)
	v_subrev_u32_e32 v6, s20, v6
	v_lshlrev_b32_e32 v6, 2, v6
	v_ashrrev_i32_e32 v24, 31, v6
	v_add_co_u32_e32 v23, vcc, s6, v6
	v_addc_co_u32_e32 v24, vcc, v18, v24, vcc
	global_load_dword v6, v[23:24], off
	s_waitcnt vmcnt(1)
	v_cvt_f32_i32_sdwa v23, sext(v19) dst_sel:DWORD dst_unused:UNUSED_PAD src0_sel:BYTE_0
	v_cvt_f32_i32_sdwa v26, sext(v20) dst_sel:DWORD dst_unused:UNUSED_PAD src0_sel:BYTE_0
	;; [unrolled: 1-line block ×4, first 2 shown]
	v_cvt_f32_i32_sdwa v24, sext(v19) dst_sel:DWORD dst_unused:UNUSED_PAD src0_sel:BYTE_1
	v_cvt_f32_i32_sdwa v27, sext(v20) dst_sel:DWORD dst_unused:UNUSED_PAD src0_sel:BYTE_1
	;; [unrolled: 1-line block ×4, first 2 shown]
	v_cvt_f32_i32_sdwa v25, sext(v19) dst_sel:DWORD dst_unused:UNUSED_PAD src0_sel:BYTE_2
	v_cvt_f32_i32_sdwa v28, sext(v20) dst_sel:DWORD dst_unused:UNUSED_PAD src0_sel:BYTE_2
	;; [unrolled: 1-line block ×4, first 2 shown]
	v_cvt_f32_i32_sdwa v19, sext(v19) dst_sel:DWORD dst_unused:UNUSED_PAD src0_sel:BYTE_3
	v_cvt_f32_i32_sdwa v20, sext(v20) dst_sel:DWORD dst_unused:UNUSED_PAD src0_sel:BYTE_3
	;; [unrolled: 1-line block ×4, first 2 shown]
	v_add_co_u32_e32 v7, vcc, 0x80, v7
	v_addc_co_u32_e32 v8, vcc, 0, v8, vcc
	s_waitcnt vmcnt(0)
	v_cvt_f32_i32_sdwa v35, sext(v6) dst_sel:DWORD dst_unused:UNUSED_PAD src0_sel:BYTE_0
	v_cvt_f32_i32_sdwa v36, sext(v6) dst_sel:DWORD dst_unused:UNUSED_PAD src0_sel:BYTE_1
	v_cvt_f32_i32_sdwa v37, sext(v6) dst_sel:DWORD dst_unused:UNUSED_PAD src0_sel:BYTE_2
	v_cvt_f32_i32_sdwa v6, sext(v6) dst_sel:DWORD dst_unused:UNUSED_PAD src0_sel:BYTE_3
	v_fmac_f32_e32 v13, v23, v35
	v_fmac_f32_e32 v14, v26, v35
	;; [unrolled: 1-line block ×16, first 2 shown]
	s_andn2_b64 exec, exec, s[14:15]
	s_cbranch_execnz .LBB76_17
; %bb.18:
	s_or_b64 exec, exec, s[14:15]
.LBB76_19:
	s_or_b64 exec, exec, s[10:11]
	v_cmp_lt_u32_e32 vcc, 23, v1
	s_and_saveexec_b64 s[2:3], vcc
	s_cbranch_execz .LBB76_23
; %bb.20:
	s_mov_b64 s[10:11], 0
	v_mov_b32_e32 v1, s13
	v_mov_b32_e32 v16, s7
.LBB76_21:                              ; =>This Inner Loop Header: Depth=1
	v_ashrrev_i32_e32 v6, 31, v5
	v_lshlrev_b64 v[17:18], 2, v[5:6]
	v_add_u32_e32 v5, 32, v5
	v_add_co_u32_e32 v21, vcc, s12, v17
	v_addc_co_u32_e32 v22, vcc, v1, v18, vcc
	global_load_dword v6, v[21:22], off
	global_load_dwordx4 v[17:20], v[7:8], off
	s_waitcnt vmcnt(1)
	v_subrev_u32_e32 v6, s20, v6
	v_lshlrev_b32_e32 v6, 2, v6
	v_ashrrev_i32_e32 v24, 31, v6
	v_add_co_u32_e32 v23, vcc, s6, v6
	v_addc_co_u32_e32 v24, vcc, v16, v24, vcc
	global_load_dword v6, v[23:24], off
	s_waitcnt vmcnt(1)
	v_cvt_f32_i32_sdwa v25, sext(v17) dst_sel:DWORD dst_unused:UNUSED_PAD src0_sel:BYTE_0
	v_cvt_f32_i32_sdwa v24, sext(v17) dst_sel:DWORD dst_unused:UNUSED_PAD src0_sel:BYTE_1
	s_waitcnt vmcnt(0)
	v_cvt_f32_i32_sdwa v23, sext(v6) dst_sel:DWORD dst_unused:UNUSED_PAD src0_sel:BYTE_0
	v_cvt_f32_i32_sdwa v26, sext(v6) dst_sel:DWORD dst_unused:UNUSED_PAD src0_sel:BYTE_2
	v_fmac_f32_e32 v13, v25, v23
	v_cvt_f32_i32_sdwa v25, sext(v6) dst_sel:DWORD dst_unused:UNUSED_PAD src0_sel:BYTE_1
	v_cvt_f32_i32_sdwa v6, sext(v6) dst_sel:DWORD dst_unused:UNUSED_PAD src0_sel:BYTE_3
	v_fmac_f32_e32 v13, v24, v25
	v_cvt_f32_i32_sdwa v24, sext(v17) dst_sel:DWORD dst_unused:UNUSED_PAD src0_sel:BYTE_2
	v_cvt_f32_i32_sdwa v17, sext(v17) dst_sel:DWORD dst_unused:UNUSED_PAD src0_sel:BYTE_3
	v_fmac_f32_e32 v13, v24, v26
	v_fmac_f32_e32 v13, v17, v6
	v_cvt_f32_i32_sdwa v17, sext(v18) dst_sel:DWORD dst_unused:UNUSED_PAD src0_sel:BYTE_0
	v_fmac_f32_e32 v14, v17, v23
	v_cvt_f32_i32_sdwa v17, sext(v18) dst_sel:DWORD dst_unused:UNUSED_PAD src0_sel:BYTE_1
	v_fmac_f32_e32 v14, v17, v25
	v_cvt_f32_i32_sdwa v17, sext(v18) dst_sel:DWORD dst_unused:UNUSED_PAD src0_sel:BYTE_2
	v_fmac_f32_e32 v14, v17, v26
	v_cvt_f32_i32_sdwa v17, sext(v18) dst_sel:DWORD dst_unused:UNUSED_PAD src0_sel:BYTE_3
	v_fmac_f32_e32 v14, v17, v6
	v_cvt_f32_i32_sdwa v17, sext(v19) dst_sel:DWORD dst_unused:UNUSED_PAD src0_sel:BYTE_0
	v_fmac_f32_e32 v12, v17, v23
	v_cvt_f32_i32_sdwa v17, sext(v19) dst_sel:DWORD dst_unused:UNUSED_PAD src0_sel:BYTE_1
	v_fmac_f32_e32 v12, v17, v25
	v_cvt_f32_i32_sdwa v17, sext(v19) dst_sel:DWORD dst_unused:UNUSED_PAD src0_sel:BYTE_2
	v_fmac_f32_e32 v12, v17, v26
	v_cvt_f32_i32_sdwa v17, sext(v19) dst_sel:DWORD dst_unused:UNUSED_PAD src0_sel:BYTE_3
	v_fmac_f32_e32 v12, v17, v6
	v_cvt_f32_i32_sdwa v17, sext(v20) dst_sel:DWORD dst_unused:UNUSED_PAD src0_sel:BYTE_0
	v_fmac_f32_e32 v11, v17, v23
	v_cvt_f32_i32_sdwa v17, sext(v20) dst_sel:DWORD dst_unused:UNUSED_PAD src0_sel:BYTE_1
	v_fmac_f32_e32 v11, v17, v25
	v_cvt_f32_i32_sdwa v17, sext(v20) dst_sel:DWORD dst_unused:UNUSED_PAD src0_sel:BYTE_2
	v_fmac_f32_e32 v11, v17, v26
	v_cvt_f32_i32_sdwa v17, sext(v20) dst_sel:DWORD dst_unused:UNUSED_PAD src0_sel:BYTE_3
	v_fmac_f32_e32 v11, v17, v6
	global_load_dword v6, v[21:22], off offset:32
	global_load_dwordx4 v[17:20], v[7:8], off offset:128
	s_waitcnt vmcnt(1)
	v_subrev_u32_e32 v6, s20, v6
	v_lshlrev_b32_e32 v6, 2, v6
	v_ashrrev_i32_e32 v24, 31, v6
	v_add_co_u32_e32 v23, vcc, s6, v6
	v_addc_co_u32_e32 v24, vcc, v16, v24, vcc
	global_load_dword v6, v[23:24], off
	s_waitcnt vmcnt(1)
	v_cvt_f32_i32_sdwa v25, sext(v17) dst_sel:DWORD dst_unused:UNUSED_PAD src0_sel:BYTE_0
	v_cvt_f32_i32_sdwa v24, sext(v17) dst_sel:DWORD dst_unused:UNUSED_PAD src0_sel:BYTE_1
	s_waitcnt vmcnt(0)
	v_cvt_f32_i32_sdwa v23, sext(v6) dst_sel:DWORD dst_unused:UNUSED_PAD src0_sel:BYTE_0
	v_cvt_f32_i32_sdwa v26, sext(v6) dst_sel:DWORD dst_unused:UNUSED_PAD src0_sel:BYTE_2
	v_fmac_f32_e32 v13, v25, v23
	v_cvt_f32_i32_sdwa v25, sext(v6) dst_sel:DWORD dst_unused:UNUSED_PAD src0_sel:BYTE_1
	v_cvt_f32_i32_sdwa v6, sext(v6) dst_sel:DWORD dst_unused:UNUSED_PAD src0_sel:BYTE_3
	v_fmac_f32_e32 v13, v24, v25
	v_cvt_f32_i32_sdwa v24, sext(v17) dst_sel:DWORD dst_unused:UNUSED_PAD src0_sel:BYTE_2
	v_cvt_f32_i32_sdwa v17, sext(v17) dst_sel:DWORD dst_unused:UNUSED_PAD src0_sel:BYTE_3
	v_fmac_f32_e32 v13, v24, v26
	v_fmac_f32_e32 v13, v17, v6
	v_cvt_f32_i32_sdwa v17, sext(v18) dst_sel:DWORD dst_unused:UNUSED_PAD src0_sel:BYTE_0
	v_fmac_f32_e32 v14, v17, v23
	v_cvt_f32_i32_sdwa v17, sext(v18) dst_sel:DWORD dst_unused:UNUSED_PAD src0_sel:BYTE_1
	v_fmac_f32_e32 v14, v17, v25
	v_cvt_f32_i32_sdwa v17, sext(v18) dst_sel:DWORD dst_unused:UNUSED_PAD src0_sel:BYTE_2
	v_fmac_f32_e32 v14, v17, v26
	v_cvt_f32_i32_sdwa v17, sext(v18) dst_sel:DWORD dst_unused:UNUSED_PAD src0_sel:BYTE_3
	v_fmac_f32_e32 v14, v17, v6
	v_cvt_f32_i32_sdwa v17, sext(v19) dst_sel:DWORD dst_unused:UNUSED_PAD src0_sel:BYTE_0
	v_fmac_f32_e32 v12, v17, v23
	v_cvt_f32_i32_sdwa v17, sext(v19) dst_sel:DWORD dst_unused:UNUSED_PAD src0_sel:BYTE_1
	v_fmac_f32_e32 v12, v17, v25
	v_cvt_f32_i32_sdwa v17, sext(v19) dst_sel:DWORD dst_unused:UNUSED_PAD src0_sel:BYTE_2
	v_fmac_f32_e32 v12, v17, v26
	v_cvt_f32_i32_sdwa v17, sext(v19) dst_sel:DWORD dst_unused:UNUSED_PAD src0_sel:BYTE_3
	v_fmac_f32_e32 v12, v17, v6
	v_cvt_f32_i32_sdwa v17, sext(v20) dst_sel:DWORD dst_unused:UNUSED_PAD src0_sel:BYTE_0
	v_fmac_f32_e32 v11, v17, v23
	v_cvt_f32_i32_sdwa v17, sext(v20) dst_sel:DWORD dst_unused:UNUSED_PAD src0_sel:BYTE_1
	v_fmac_f32_e32 v11, v17, v25
	v_cvt_f32_i32_sdwa v17, sext(v20) dst_sel:DWORD dst_unused:UNUSED_PAD src0_sel:BYTE_2
	v_fmac_f32_e32 v11, v17, v26
	v_cvt_f32_i32_sdwa v17, sext(v20) dst_sel:DWORD dst_unused:UNUSED_PAD src0_sel:BYTE_3
	v_fmac_f32_e32 v11, v17, v6
	global_load_dword v6, v[21:22], off offset:64
	global_load_dwordx4 v[17:20], v[7:8], off offset:256
	;; [unrolled: 47-line block ×3, first 2 shown]
	s_waitcnt vmcnt(1)
	v_subrev_u32_e32 v6, s20, v6
	v_lshlrev_b32_e32 v6, 2, v6
	v_ashrrev_i32_e32 v22, 31, v6
	v_add_co_u32_e32 v21, vcc, s6, v6
	v_addc_co_u32_e32 v22, vcc, v16, v22, vcc
	global_load_dword v6, v[21:22], off
	s_waitcnt vmcnt(1)
	v_cvt_f32_i32_sdwa v23, sext(v17) dst_sel:DWORD dst_unused:UNUSED_PAD src0_sel:BYTE_0
	v_cvt_f32_i32_sdwa v22, sext(v17) dst_sel:DWORD dst_unused:UNUSED_PAD src0_sel:BYTE_1
	v_add_co_u32_e32 v7, vcc, 0x200, v7
	v_addc_co_u32_e32 v8, vcc, 0, v8, vcc
	v_cmp_ge_i32_e32 vcc, v5, v10
	s_or_b64 s[10:11], vcc, s[10:11]
	s_waitcnt vmcnt(0)
	v_cvt_f32_i32_sdwa v21, sext(v6) dst_sel:DWORD dst_unused:UNUSED_PAD src0_sel:BYTE_0
	v_cvt_f32_i32_sdwa v24, sext(v6) dst_sel:DWORD dst_unused:UNUSED_PAD src0_sel:BYTE_2
	v_fmac_f32_e32 v13, v23, v21
	v_cvt_f32_i32_sdwa v23, sext(v6) dst_sel:DWORD dst_unused:UNUSED_PAD src0_sel:BYTE_1
	v_cvt_f32_i32_sdwa v6, sext(v6) dst_sel:DWORD dst_unused:UNUSED_PAD src0_sel:BYTE_3
	v_fmac_f32_e32 v13, v22, v23
	v_cvt_f32_i32_sdwa v22, sext(v17) dst_sel:DWORD dst_unused:UNUSED_PAD src0_sel:BYTE_2
	v_cvt_f32_i32_sdwa v17, sext(v17) dst_sel:DWORD dst_unused:UNUSED_PAD src0_sel:BYTE_3
	v_fmac_f32_e32 v13, v22, v24
	v_fmac_f32_e32 v13, v17, v6
	v_cvt_f32_i32_sdwa v17, sext(v18) dst_sel:DWORD dst_unused:UNUSED_PAD src0_sel:BYTE_0
	v_fmac_f32_e32 v14, v17, v21
	v_cvt_f32_i32_sdwa v17, sext(v18) dst_sel:DWORD dst_unused:UNUSED_PAD src0_sel:BYTE_1
	v_fmac_f32_e32 v14, v17, v23
	v_cvt_f32_i32_sdwa v17, sext(v18) dst_sel:DWORD dst_unused:UNUSED_PAD src0_sel:BYTE_2
	v_fmac_f32_e32 v14, v17, v24
	v_cvt_f32_i32_sdwa v17, sext(v18) dst_sel:DWORD dst_unused:UNUSED_PAD src0_sel:BYTE_3
	v_fmac_f32_e32 v14, v17, v6
	v_cvt_f32_i32_sdwa v17, sext(v19) dst_sel:DWORD dst_unused:UNUSED_PAD src0_sel:BYTE_0
	v_fmac_f32_e32 v12, v17, v21
	v_cvt_f32_i32_sdwa v17, sext(v19) dst_sel:DWORD dst_unused:UNUSED_PAD src0_sel:BYTE_1
	v_fmac_f32_e32 v12, v17, v23
	v_cvt_f32_i32_sdwa v17, sext(v19) dst_sel:DWORD dst_unused:UNUSED_PAD src0_sel:BYTE_2
	v_fmac_f32_e32 v12, v17, v24
	v_cvt_f32_i32_sdwa v17, sext(v19) dst_sel:DWORD dst_unused:UNUSED_PAD src0_sel:BYTE_3
	;; [unrolled: 8-line block ×3, first 2 shown]
	v_fmac_f32_e32 v11, v17, v6
	s_andn2_b64 exec, exec, s[10:11]
	s_cbranch_execnz .LBB76_21
; %bb.22:
	s_or_b64 exec, exec, s[10:11]
.LBB76_23:
	s_or_b64 exec, exec, s[2:3]
.LBB76_24:
	s_or_b64 exec, exec, s[8:9]
	s_cbranch_execz .LBB76_26
	s_branch .LBB76_37
.LBB76_25:
                                        ; implicit-def: $vgpr11
                                        ; implicit-def: $vgpr12
                                        ; implicit-def: $vgpr14
                                        ; implicit-def: $vgpr13
.LBB76_26:
	v_mov_b32_e32 v11, 0
	v_mov_b32_e32 v12, 0
	;; [unrolled: 1-line block ×4, first 2 shown]
	s_and_saveexec_b64 s[2:3], s[0:1]
	s_cbranch_execz .LBB76_36
; %bb.27:
	v_add_u32_e32 v1, v15, v9
	v_subrev_u32_e32 v1, s20, v1
	v_add_u32_e32 v1, 8, v1
	v_max_i32_e32 v1, v1, v10
	v_not_b32_e32 v5, v15
	v_add3_u32 v1, s20, v1, v5
	v_sub_u32_e32 v5, v1, v9
	v_and_b32_e32 v1, 24, v5
	v_cmp_ne_u32_e32 vcc, 24, v1
	v_mov_b32_e32 v13, 0
	v_mov_b32_e32 v14, 0
	v_mov_b32_e32 v12, 0
	v_mov_b32_e32 v11, 0
	s_and_saveexec_b64 s[8:9], vcc
	s_cbranch_execz .LBB76_31
; %bb.28:
	v_lshrrev_b32_e32 v1, 3, v5
	v_add_u32_e32 v1, 1, v1
	v_and_b32_e32 v1, 3, v1
	v_sub_u32_e32 v6, 0, v1
	v_mov_b32_e32 v11, 0
	s_mov_b64 s[10:11], 0
	v_mov_b32_e32 v7, s13
	v_mov_b32_e32 v8, s7
	;; [unrolled: 1-line block ×5, first 2 shown]
.LBB76_29:                              ; =>This Inner Loop Header: Depth=1
	v_ashrrev_i32_e32 v1, 31, v0
	v_lshlrev_b64 v[15:16], 2, v[0:1]
	v_add_co_u32_e64 v6, s[0:1], 1, v6
	v_add_co_u32_e32 v19, vcc, s12, v15
	v_addc_co_u32_e32 v20, vcc, v7, v16, vcc
	global_load_dword v1, v[19:20], off
	global_load_dwordx4 v[15:18], v[2:3], off
	v_add_u32_e32 v0, 8, v0
	s_or_b64 s[10:11], s[0:1], s[10:11]
	s_waitcnt vmcnt(1)
	v_subrev_u32_e32 v1, s20, v1
	v_lshlrev_b32_e32 v1, 2, v1
	v_ashrrev_i32_e32 v20, 31, v1
	v_add_co_u32_e32 v19, vcc, s6, v1
	v_addc_co_u32_e32 v20, vcc, v8, v20, vcc
	global_load_dword v1, v[19:20], off
	s_waitcnt vmcnt(1)
	v_cvt_f32_i32_sdwa v19, sext(v15) dst_sel:DWORD dst_unused:UNUSED_PAD src0_sel:BYTE_0
	v_cvt_f32_i32_sdwa v20, sext(v15) dst_sel:DWORD dst_unused:UNUSED_PAD src0_sel:BYTE_1
	v_cvt_f32_i32_sdwa v21, sext(v15) dst_sel:DWORD dst_unused:UNUSED_PAD src0_sel:BYTE_2
	v_cvt_f32_i32_sdwa v15, sext(v15) dst_sel:DWORD dst_unused:UNUSED_PAD src0_sel:BYTE_3
	v_cvt_f32_i32_sdwa v22, sext(v16) dst_sel:DWORD dst_unused:UNUSED_PAD src0_sel:BYTE_0
	v_cvt_f32_i32_sdwa v23, sext(v16) dst_sel:DWORD dst_unused:UNUSED_PAD src0_sel:BYTE_1
	v_cvt_f32_i32_sdwa v24, sext(v16) dst_sel:DWORD dst_unused:UNUSED_PAD src0_sel:BYTE_2
	v_cvt_f32_i32_sdwa v16, sext(v16) dst_sel:DWORD dst_unused:UNUSED_PAD src0_sel:BYTE_3
	;; [unrolled: 4-line block ×4, first 2 shown]
	v_add_co_u32_e32 v2, vcc, 0x80, v2
	v_addc_co_u32_e32 v3, vcc, 0, v3, vcc
	s_waitcnt vmcnt(0)
	v_cvt_f32_i32_sdwa v31, sext(v1) dst_sel:DWORD dst_unused:UNUSED_PAD src0_sel:BYTE_0
	v_cvt_f32_i32_sdwa v32, sext(v1) dst_sel:DWORD dst_unused:UNUSED_PAD src0_sel:BYTE_1
	v_cvt_f32_i32_sdwa v33, sext(v1) dst_sel:DWORD dst_unused:UNUSED_PAD src0_sel:BYTE_2
	v_cvt_f32_i32_sdwa v1, sext(v1) dst_sel:DWORD dst_unused:UNUSED_PAD src0_sel:BYTE_3
	v_fmac_f32_e32 v13, v19, v31
	v_fmac_f32_e32 v14, v20, v31
	;; [unrolled: 1-line block ×16, first 2 shown]
	s_andn2_b64 exec, exec, s[10:11]
	s_cbranch_execnz .LBB76_29
; %bb.30:
	s_or_b64 exec, exec, s[10:11]
.LBB76_31:
	s_or_b64 exec, exec, s[8:9]
	v_cmp_lt_u32_e32 vcc, 23, v5
	s_and_saveexec_b64 s[0:1], vcc
	s_cbranch_execz .LBB76_35
; %bb.32:
	s_mov_b64 s[8:9], 0
	v_mov_b32_e32 v5, s13
	v_mov_b32_e32 v6, s7
.LBB76_33:                              ; =>This Inner Loop Header: Depth=1
	v_ashrrev_i32_e32 v1, 31, v0
	v_lshlrev_b64 v[7:8], 2, v[0:1]
	global_load_dwordx4 v[15:18], v[2:3], off
	v_add_co_u32_e32 v7, vcc, s12, v7
	v_addc_co_u32_e32 v8, vcc, v5, v8, vcc
	global_load_dword v1, v[7:8], off
	v_add_u32_e32 v0, 32, v0
	s_waitcnt vmcnt(1)
	v_cvt_f32_i32_sdwa v21, sext(v15) dst_sel:DWORD dst_unused:UNUSED_PAD src0_sel:BYTE_0
	s_waitcnt vmcnt(0)
	v_subrev_u32_e32 v1, s20, v1
	v_lshlrev_b32_e32 v1, 2, v1
	v_ashrrev_i32_e32 v20, 31, v1
	v_add_co_u32_e32 v19, vcc, s6, v1
	v_addc_co_u32_e32 v20, vcc, v6, v20, vcc
	global_load_dword v1, v[19:20], off
	v_cvt_f32_i32_sdwa v20, sext(v15) dst_sel:DWORD dst_unused:UNUSED_PAD src0_sel:BYTE_1
	s_waitcnt vmcnt(0)
	v_cvt_f32_i32_sdwa v19, sext(v1) dst_sel:DWORD dst_unused:UNUSED_PAD src0_sel:BYTE_0
	v_fmac_f32_e32 v14, v20, v19
	v_cvt_f32_i32_sdwa v20, sext(v15) dst_sel:DWORD dst_unused:UNUSED_PAD src0_sel:BYTE_2
	v_cvt_f32_i32_sdwa v15, sext(v15) dst_sel:DWORD dst_unused:UNUSED_PAD src0_sel:BYTE_3
	v_fmac_f32_e32 v13, v21, v19
	v_fmac_f32_e32 v12, v20, v19
	v_fmac_f32_e32 v11, v15, v19
	v_cvt_f32_i32_sdwa v15, sext(v16) dst_sel:DWORD dst_unused:UNUSED_PAD src0_sel:BYTE_0
	v_cvt_f32_i32_sdwa v19, sext(v1) dst_sel:DWORD dst_unused:UNUSED_PAD src0_sel:BYTE_1
	v_fmac_f32_e32 v13, v15, v19
	v_cvt_f32_i32_sdwa v15, sext(v16) dst_sel:DWORD dst_unused:UNUSED_PAD src0_sel:BYTE_1
	v_fmac_f32_e32 v14, v15, v19
	v_cvt_f32_i32_sdwa v15, sext(v16) dst_sel:DWORD dst_unused:UNUSED_PAD src0_sel:BYTE_2
	v_fmac_f32_e32 v12, v15, v19
	v_cvt_f32_i32_sdwa v15, sext(v16) dst_sel:DWORD dst_unused:UNUSED_PAD src0_sel:BYTE_3
	v_cvt_f32_i32_sdwa v16, sext(v1) dst_sel:DWORD dst_unused:UNUSED_PAD src0_sel:BYTE_2
	v_cvt_f32_i32_sdwa v1, sext(v1) dst_sel:DWORD dst_unused:UNUSED_PAD src0_sel:BYTE_3
	v_fmac_f32_e32 v11, v15, v19
	v_cvt_f32_i32_sdwa v15, sext(v17) dst_sel:DWORD dst_unused:UNUSED_PAD src0_sel:BYTE_0
	v_fmac_f32_e32 v13, v15, v16
	v_cvt_f32_i32_sdwa v15, sext(v17) dst_sel:DWORD dst_unused:UNUSED_PAD src0_sel:BYTE_1
	v_fmac_f32_e32 v14, v15, v16
	v_cvt_f32_i32_sdwa v15, sext(v17) dst_sel:DWORD dst_unused:UNUSED_PAD src0_sel:BYTE_2
	v_fmac_f32_e32 v12, v15, v16
	v_cvt_f32_i32_sdwa v15, sext(v17) dst_sel:DWORD dst_unused:UNUSED_PAD src0_sel:BYTE_3
	v_fmac_f32_e32 v11, v15, v16
	v_cvt_f32_i32_sdwa v15, sext(v18) dst_sel:DWORD dst_unused:UNUSED_PAD src0_sel:BYTE_0
	v_fmac_f32_e32 v13, v15, v1
	v_cvt_f32_i32_sdwa v15, sext(v18) dst_sel:DWORD dst_unused:UNUSED_PAD src0_sel:BYTE_1
	v_fmac_f32_e32 v14, v15, v1
	v_cvt_f32_i32_sdwa v15, sext(v18) dst_sel:DWORD dst_unused:UNUSED_PAD src0_sel:BYTE_2
	v_fmac_f32_e32 v12, v15, v1
	v_cvt_f32_i32_sdwa v15, sext(v18) dst_sel:DWORD dst_unused:UNUSED_PAD src0_sel:BYTE_3
	v_fmac_f32_e32 v11, v15, v1
	global_load_dword v1, v[7:8], off offset:32
	global_load_dwordx4 v[15:18], v[2:3], off offset:128
	s_waitcnt vmcnt(1)
	v_subrev_u32_e32 v1, s20, v1
	v_lshlrev_b32_e32 v1, 2, v1
	v_ashrrev_i32_e32 v20, 31, v1
	v_add_co_u32_e32 v19, vcc, s6, v1
	v_addc_co_u32_e32 v20, vcc, v6, v20, vcc
	global_load_dword v1, v[19:20], off
	s_waitcnt vmcnt(1)
	v_cvt_f32_i32_sdwa v20, sext(v15) dst_sel:DWORD dst_unused:UNUSED_PAD src0_sel:BYTE_1
	v_cvt_f32_i32_sdwa v21, sext(v15) dst_sel:DWORD dst_unused:UNUSED_PAD src0_sel:BYTE_0
	s_waitcnt vmcnt(0)
	v_cvt_f32_i32_sdwa v19, sext(v1) dst_sel:DWORD dst_unused:UNUSED_PAD src0_sel:BYTE_0
	v_fmac_f32_e32 v14, v20, v19
	v_cvt_f32_i32_sdwa v20, sext(v15) dst_sel:DWORD dst_unused:UNUSED_PAD src0_sel:BYTE_2
	v_cvt_f32_i32_sdwa v15, sext(v15) dst_sel:DWORD dst_unused:UNUSED_PAD src0_sel:BYTE_3
	v_fmac_f32_e32 v13, v21, v19
	v_fmac_f32_e32 v12, v20, v19
	v_fmac_f32_e32 v11, v15, v19
	v_cvt_f32_i32_sdwa v15, sext(v16) dst_sel:DWORD dst_unused:UNUSED_PAD src0_sel:BYTE_0
	v_cvt_f32_i32_sdwa v19, sext(v1) dst_sel:DWORD dst_unused:UNUSED_PAD src0_sel:BYTE_1
	v_fmac_f32_e32 v13, v15, v19
	v_cvt_f32_i32_sdwa v15, sext(v16) dst_sel:DWORD dst_unused:UNUSED_PAD src0_sel:BYTE_1
	v_fmac_f32_e32 v14, v15, v19
	v_cvt_f32_i32_sdwa v15, sext(v16) dst_sel:DWORD dst_unused:UNUSED_PAD src0_sel:BYTE_2
	v_fmac_f32_e32 v12, v15, v19
	v_cvt_f32_i32_sdwa v15, sext(v16) dst_sel:DWORD dst_unused:UNUSED_PAD src0_sel:BYTE_3
	v_cvt_f32_i32_sdwa v16, sext(v1) dst_sel:DWORD dst_unused:UNUSED_PAD src0_sel:BYTE_2
	v_cvt_f32_i32_sdwa v1, sext(v1) dst_sel:DWORD dst_unused:UNUSED_PAD src0_sel:BYTE_3
	v_fmac_f32_e32 v11, v15, v19
	v_cvt_f32_i32_sdwa v15, sext(v17) dst_sel:DWORD dst_unused:UNUSED_PAD src0_sel:BYTE_0
	v_fmac_f32_e32 v13, v15, v16
	v_cvt_f32_i32_sdwa v15, sext(v17) dst_sel:DWORD dst_unused:UNUSED_PAD src0_sel:BYTE_1
	v_fmac_f32_e32 v14, v15, v16
	v_cvt_f32_i32_sdwa v15, sext(v17) dst_sel:DWORD dst_unused:UNUSED_PAD src0_sel:BYTE_2
	v_fmac_f32_e32 v12, v15, v16
	v_cvt_f32_i32_sdwa v15, sext(v17) dst_sel:DWORD dst_unused:UNUSED_PAD src0_sel:BYTE_3
	v_fmac_f32_e32 v11, v15, v16
	v_cvt_f32_i32_sdwa v15, sext(v18) dst_sel:DWORD dst_unused:UNUSED_PAD src0_sel:BYTE_0
	v_fmac_f32_e32 v13, v15, v1
	v_cvt_f32_i32_sdwa v15, sext(v18) dst_sel:DWORD dst_unused:UNUSED_PAD src0_sel:BYTE_1
	v_fmac_f32_e32 v14, v15, v1
	v_cvt_f32_i32_sdwa v15, sext(v18) dst_sel:DWORD dst_unused:UNUSED_PAD src0_sel:BYTE_2
	v_fmac_f32_e32 v12, v15, v1
	v_cvt_f32_i32_sdwa v15, sext(v18) dst_sel:DWORD dst_unused:UNUSED_PAD src0_sel:BYTE_3
	v_fmac_f32_e32 v11, v15, v1
	global_load_dword v1, v[7:8], off offset:64
	global_load_dwordx4 v[15:18], v[2:3], off offset:256
	s_waitcnt vmcnt(1)
	v_subrev_u32_e32 v1, s20, v1
	v_lshlrev_b32_e32 v1, 2, v1
	v_ashrrev_i32_e32 v20, 31, v1
	v_add_co_u32_e32 v19, vcc, s6, v1
	v_addc_co_u32_e32 v20, vcc, v6, v20, vcc
	global_load_dword v1, v[19:20], off
	s_waitcnt vmcnt(1)
	v_cvt_f32_i32_sdwa v20, sext(v15) dst_sel:DWORD dst_unused:UNUSED_PAD src0_sel:BYTE_1
	v_cvt_f32_i32_sdwa v21, sext(v15) dst_sel:DWORD dst_unused:UNUSED_PAD src0_sel:BYTE_0
	;; [unrolled: 47-line block ×3, first 2 shown]
	v_add_co_u32_e32 v2, vcc, 0x200, v2
	v_addc_co_u32_e32 v3, vcc, 0, v3, vcc
	v_cmp_ge_i32_e32 vcc, v0, v10
	s_or_b64 s[8:9], vcc, s[8:9]
	s_waitcnt vmcnt(0)
	v_cvt_f32_i32_sdwa v7, sext(v1) dst_sel:DWORD dst_unused:UNUSED_PAD src0_sel:BYTE_0
	v_fmac_f32_e32 v14, v8, v7
	v_cvt_f32_i32_sdwa v8, sext(v15) dst_sel:DWORD dst_unused:UNUSED_PAD src0_sel:BYTE_2
	v_fmac_f32_e32 v13, v19, v7
	v_fmac_f32_e32 v12, v8, v7
	v_cvt_f32_i32_sdwa v8, sext(v15) dst_sel:DWORD dst_unused:UNUSED_PAD src0_sel:BYTE_3
	v_fmac_f32_e32 v11, v8, v7
	v_cvt_f32_i32_sdwa v7, sext(v16) dst_sel:DWORD dst_unused:UNUSED_PAD src0_sel:BYTE_0
	v_cvt_f32_i32_sdwa v8, sext(v1) dst_sel:DWORD dst_unused:UNUSED_PAD src0_sel:BYTE_1
	v_fmac_f32_e32 v13, v7, v8
	v_cvt_f32_i32_sdwa v7, sext(v16) dst_sel:DWORD dst_unused:UNUSED_PAD src0_sel:BYTE_1
	v_fmac_f32_e32 v14, v7, v8
	v_cvt_f32_i32_sdwa v7, sext(v16) dst_sel:DWORD dst_unused:UNUSED_PAD src0_sel:BYTE_2
	v_fmac_f32_e32 v12, v7, v8
	v_cvt_f32_i32_sdwa v7, sext(v16) dst_sel:DWORD dst_unused:UNUSED_PAD src0_sel:BYTE_3
	v_fmac_f32_e32 v11, v7, v8
	v_cvt_f32_i32_sdwa v7, sext(v17) dst_sel:DWORD dst_unused:UNUSED_PAD src0_sel:BYTE_0
	v_cvt_f32_i32_sdwa v8, sext(v1) dst_sel:DWORD dst_unused:UNUSED_PAD src0_sel:BYTE_2
	v_cvt_f32_i32_sdwa v1, sext(v1) dst_sel:DWORD dst_unused:UNUSED_PAD src0_sel:BYTE_3
	v_fmac_f32_e32 v13, v7, v8
	v_cvt_f32_i32_sdwa v7, sext(v17) dst_sel:DWORD dst_unused:UNUSED_PAD src0_sel:BYTE_1
	v_fmac_f32_e32 v14, v7, v8
	v_cvt_f32_i32_sdwa v7, sext(v17) dst_sel:DWORD dst_unused:UNUSED_PAD src0_sel:BYTE_2
	v_fmac_f32_e32 v12, v7, v8
	v_cvt_f32_i32_sdwa v7, sext(v17) dst_sel:DWORD dst_unused:UNUSED_PAD src0_sel:BYTE_3
	v_fmac_f32_e32 v11, v7, v8
	v_cvt_f32_i32_sdwa v7, sext(v18) dst_sel:DWORD dst_unused:UNUSED_PAD src0_sel:BYTE_0
	v_fmac_f32_e32 v13, v7, v1
	v_cvt_f32_i32_sdwa v7, sext(v18) dst_sel:DWORD dst_unused:UNUSED_PAD src0_sel:BYTE_1
	v_fmac_f32_e32 v14, v7, v1
	v_cvt_f32_i32_sdwa v7, sext(v18) dst_sel:DWORD dst_unused:UNUSED_PAD src0_sel:BYTE_2
	v_fmac_f32_e32 v12, v7, v1
	v_cvt_f32_i32_sdwa v7, sext(v18) dst_sel:DWORD dst_unused:UNUSED_PAD src0_sel:BYTE_3
	v_fmac_f32_e32 v11, v7, v1
	s_andn2_b64 exec, exec, s[8:9]
	s_cbranch_execnz .LBB76_33
; %bb.34:
	s_or_b64 exec, exec, s[8:9]
.LBB76_35:
	s_or_b64 exec, exec, s[0:1]
.LBB76_36:
	s_or_b64 exec, exec, s[2:3]
.LBB76_37:
	v_mov_b32_dpp v0, v13 row_shr:1 row_mask:0xf bank_mask:0xf
	v_mov_b32_dpp v2, v14 row_shr:1 row_mask:0xf bank_mask:0xf
	;; [unrolled: 1-line block ×4, first 2 shown]
	v_add_f32_e32 v0, v13, v0
	v_add_f32_e32 v2, v14, v2
	;; [unrolled: 1-line block ×4, first 2 shown]
	v_mov_b32_dpp v1, v0 row_shr:2 row_mask:0xf bank_mask:0xf
	v_mov_b32_dpp v3, v2 row_shr:2 row_mask:0xf bank_mask:0xf
	;; [unrolled: 1-line block ×4, first 2 shown]
	v_add_f32_e32 v0, v0, v1
	v_add_f32_e32 v2, v2, v3
	;; [unrolled: 1-line block ×4, first 2 shown]
	v_mov_b32_dpp v1, v0 row_shr:4 row_mask:0xf bank_mask:0xe
	v_mov_b32_dpp v3, v2 row_shr:4 row_mask:0xf bank_mask:0xe
	;; [unrolled: 1-line block ×4, first 2 shown]
	v_cmp_eq_u32_e32 vcc, 7, v9
	s_and_b64 exec, exec, vcc
	s_cbranch_execz .LBB76_10
; %bb.38:
	s_load_dwordx2 s[0:1], s[4:5], 0x50
	v_add_f32_e32 v0, v0, v1
	v_add_f32_e32 v1, v2, v3
	;; [unrolled: 1-line block ×4, first 2 shown]
	v_cmp_eq_f32_e64 s[2:3], s16, 0
	s_and_b64 vcc, exec, s[2:3]
	v_mul_f32_e32 v0, s18, v0
	v_mul_f32_e32 v1, s18, v1
	;; [unrolled: 1-line block ×4, first 2 shown]
	v_lshlrev_b32_e32 v4, 2, v4
	s_cbranch_vccz .LBB76_40
; %bb.39:
	v_ashrrev_i32_e32 v5, 31, v4
	v_lshlrev_b64 v[5:6], 2, v[4:5]
	s_waitcnt lgkmcnt(0)
	v_mov_b32_e32 v7, s1
	v_add_co_u32_e32 v5, vcc, s0, v5
	v_addc_co_u32_e32 v6, vcc, v7, v6, vcc
	global_store_dwordx4 v[5:6], v[0:3], off
	s_cbranch_execnz .LBB76_10
	s_branch .LBB76_41
.LBB76_40:
.LBB76_41:
	v_ashrrev_i32_e32 v5, 31, v4
	v_lshlrev_b64 v[4:5], 2, v[4:5]
	s_waitcnt lgkmcnt(0)
	v_mov_b32_e32 v6, s1
	v_add_co_u32_e32 v8, vcc, s0, v4
	v_addc_co_u32_e32 v9, vcc, v6, v5, vcc
	global_load_dwordx4 v[4:7], v[8:9], off
	s_waitcnt vmcnt(0)
	v_fmac_f32_e32 v0, s16, v4
	v_fmac_f32_e32 v1, s16, v5
	;; [unrolled: 1-line block ×4, first 2 shown]
	global_store_dwordx4 v[8:9], v[0:3], off
	s_endpgm
	.section	.rodata,"a",@progbits
	.p2align	6, 0x0
	.amdhsa_kernel _ZN9rocsparseL18bsrxmvn_4x4_kernelILj128ELj8EfiiaafEEvT3_20rocsparse_direction_NS_24const_host_device_scalarIT1_EES1_PKS1_PKT2_SA_S7_PKT4_PKT5_S5_PT6_21rocsparse_index_base_b
		.amdhsa_group_segment_fixed_size 0
		.amdhsa_private_segment_fixed_size 0
		.amdhsa_kernarg_size 96
		.amdhsa_user_sgpr_count 6
		.amdhsa_user_sgpr_private_segment_buffer 1
		.amdhsa_user_sgpr_dispatch_ptr 0
		.amdhsa_user_sgpr_queue_ptr 0
		.amdhsa_user_sgpr_kernarg_segment_ptr 1
		.amdhsa_user_sgpr_dispatch_id 0
		.amdhsa_user_sgpr_flat_scratch_init 0
		.amdhsa_user_sgpr_private_segment_size 0
		.amdhsa_uses_dynamic_stack 0
		.amdhsa_system_sgpr_private_segment_wavefront_offset 0
		.amdhsa_system_sgpr_workgroup_id_x 1
		.amdhsa_system_sgpr_workgroup_id_y 0
		.amdhsa_system_sgpr_workgroup_id_z 0
		.amdhsa_system_sgpr_workgroup_info 0
		.amdhsa_system_vgpr_workitem_id 0
		.amdhsa_next_free_vgpr 38
		.amdhsa_next_free_sgpr 22
		.amdhsa_reserve_vcc 1
		.amdhsa_reserve_flat_scratch 0
		.amdhsa_float_round_mode_32 0
		.amdhsa_float_round_mode_16_64 0
		.amdhsa_float_denorm_mode_32 3
		.amdhsa_float_denorm_mode_16_64 3
		.amdhsa_dx10_clamp 1
		.amdhsa_ieee_mode 1
		.amdhsa_fp16_overflow 0
		.amdhsa_exception_fp_ieee_invalid_op 0
		.amdhsa_exception_fp_denorm_src 0
		.amdhsa_exception_fp_ieee_div_zero 0
		.amdhsa_exception_fp_ieee_overflow 0
		.amdhsa_exception_fp_ieee_underflow 0
		.amdhsa_exception_fp_ieee_inexact 0
		.amdhsa_exception_int_div_zero 0
	.end_amdhsa_kernel
	.section	.text._ZN9rocsparseL18bsrxmvn_4x4_kernelILj128ELj8EfiiaafEEvT3_20rocsparse_direction_NS_24const_host_device_scalarIT1_EES1_PKS1_PKT2_SA_S7_PKT4_PKT5_S5_PT6_21rocsparse_index_base_b,"axG",@progbits,_ZN9rocsparseL18bsrxmvn_4x4_kernelILj128ELj8EfiiaafEEvT3_20rocsparse_direction_NS_24const_host_device_scalarIT1_EES1_PKS1_PKT2_SA_S7_PKT4_PKT5_S5_PT6_21rocsparse_index_base_b,comdat
.Lfunc_end76:
	.size	_ZN9rocsparseL18bsrxmvn_4x4_kernelILj128ELj8EfiiaafEEvT3_20rocsparse_direction_NS_24const_host_device_scalarIT1_EES1_PKS1_PKT2_SA_S7_PKT4_PKT5_S5_PT6_21rocsparse_index_base_b, .Lfunc_end76-_ZN9rocsparseL18bsrxmvn_4x4_kernelILj128ELj8EfiiaafEEvT3_20rocsparse_direction_NS_24const_host_device_scalarIT1_EES1_PKS1_PKT2_SA_S7_PKT4_PKT5_S5_PT6_21rocsparse_index_base_b
                                        ; -- End function
	.set _ZN9rocsparseL18bsrxmvn_4x4_kernelILj128ELj8EfiiaafEEvT3_20rocsparse_direction_NS_24const_host_device_scalarIT1_EES1_PKS1_PKT2_SA_S7_PKT4_PKT5_S5_PT6_21rocsparse_index_base_b.num_vgpr, 38
	.set _ZN9rocsparseL18bsrxmvn_4x4_kernelILj128ELj8EfiiaafEEvT3_20rocsparse_direction_NS_24const_host_device_scalarIT1_EES1_PKS1_PKT2_SA_S7_PKT4_PKT5_S5_PT6_21rocsparse_index_base_b.num_agpr, 0
	.set _ZN9rocsparseL18bsrxmvn_4x4_kernelILj128ELj8EfiiaafEEvT3_20rocsparse_direction_NS_24const_host_device_scalarIT1_EES1_PKS1_PKT2_SA_S7_PKT4_PKT5_S5_PT6_21rocsparse_index_base_b.numbered_sgpr, 22
	.set _ZN9rocsparseL18bsrxmvn_4x4_kernelILj128ELj8EfiiaafEEvT3_20rocsparse_direction_NS_24const_host_device_scalarIT1_EES1_PKS1_PKT2_SA_S7_PKT4_PKT5_S5_PT6_21rocsparse_index_base_b.num_named_barrier, 0
	.set _ZN9rocsparseL18bsrxmvn_4x4_kernelILj128ELj8EfiiaafEEvT3_20rocsparse_direction_NS_24const_host_device_scalarIT1_EES1_PKS1_PKT2_SA_S7_PKT4_PKT5_S5_PT6_21rocsparse_index_base_b.private_seg_size, 0
	.set _ZN9rocsparseL18bsrxmvn_4x4_kernelILj128ELj8EfiiaafEEvT3_20rocsparse_direction_NS_24const_host_device_scalarIT1_EES1_PKS1_PKT2_SA_S7_PKT4_PKT5_S5_PT6_21rocsparse_index_base_b.uses_vcc, 1
	.set _ZN9rocsparseL18bsrxmvn_4x4_kernelILj128ELj8EfiiaafEEvT3_20rocsparse_direction_NS_24const_host_device_scalarIT1_EES1_PKS1_PKT2_SA_S7_PKT4_PKT5_S5_PT6_21rocsparse_index_base_b.uses_flat_scratch, 0
	.set _ZN9rocsparseL18bsrxmvn_4x4_kernelILj128ELj8EfiiaafEEvT3_20rocsparse_direction_NS_24const_host_device_scalarIT1_EES1_PKS1_PKT2_SA_S7_PKT4_PKT5_S5_PT6_21rocsparse_index_base_b.has_dyn_sized_stack, 0
	.set _ZN9rocsparseL18bsrxmvn_4x4_kernelILj128ELj8EfiiaafEEvT3_20rocsparse_direction_NS_24const_host_device_scalarIT1_EES1_PKS1_PKT2_SA_S7_PKT4_PKT5_S5_PT6_21rocsparse_index_base_b.has_recursion, 0
	.set _ZN9rocsparseL18bsrxmvn_4x4_kernelILj128ELj8EfiiaafEEvT3_20rocsparse_direction_NS_24const_host_device_scalarIT1_EES1_PKS1_PKT2_SA_S7_PKT4_PKT5_S5_PT6_21rocsparse_index_base_b.has_indirect_call, 0
	.section	.AMDGPU.csdata,"",@progbits
; Kernel info:
; codeLenInByte = 4144
; TotalNumSgprs: 26
; NumVgprs: 38
; ScratchSize: 0
; MemoryBound: 0
; FloatMode: 240
; IeeeMode: 1
; LDSByteSize: 0 bytes/workgroup (compile time only)
; SGPRBlocks: 3
; VGPRBlocks: 9
; NumSGPRsForWavesPerEU: 26
; NumVGPRsForWavesPerEU: 38
; Occupancy: 6
; WaveLimiterHint : 1
; COMPUTE_PGM_RSRC2:SCRATCH_EN: 0
; COMPUTE_PGM_RSRC2:USER_SGPR: 6
; COMPUTE_PGM_RSRC2:TRAP_HANDLER: 0
; COMPUTE_PGM_RSRC2:TGID_X_EN: 1
; COMPUTE_PGM_RSRC2:TGID_Y_EN: 0
; COMPUTE_PGM_RSRC2:TGID_Z_EN: 0
; COMPUTE_PGM_RSRC2:TIDIG_COMP_CNT: 0
	.section	.text._ZN9rocsparseL18bsrxmvn_4x4_kernelILj128ELj16EfiiaafEEvT3_20rocsparse_direction_NS_24const_host_device_scalarIT1_EES1_PKS1_PKT2_SA_S7_PKT4_PKT5_S5_PT6_21rocsparse_index_base_b,"axG",@progbits,_ZN9rocsparseL18bsrxmvn_4x4_kernelILj128ELj16EfiiaafEEvT3_20rocsparse_direction_NS_24const_host_device_scalarIT1_EES1_PKS1_PKT2_SA_S7_PKT4_PKT5_S5_PT6_21rocsparse_index_base_b,comdat
	.globl	_ZN9rocsparseL18bsrxmvn_4x4_kernelILj128ELj16EfiiaafEEvT3_20rocsparse_direction_NS_24const_host_device_scalarIT1_EES1_PKS1_PKT2_SA_S7_PKT4_PKT5_S5_PT6_21rocsparse_index_base_b ; -- Begin function _ZN9rocsparseL18bsrxmvn_4x4_kernelILj128ELj16EfiiaafEEvT3_20rocsparse_direction_NS_24const_host_device_scalarIT1_EES1_PKS1_PKT2_SA_S7_PKT4_PKT5_S5_PT6_21rocsparse_index_base_b
	.p2align	8
	.type	_ZN9rocsparseL18bsrxmvn_4x4_kernelILj128ELj16EfiiaafEEvT3_20rocsparse_direction_NS_24const_host_device_scalarIT1_EES1_PKS1_PKT2_SA_S7_PKT4_PKT5_S5_PT6_21rocsparse_index_base_b,@function
_ZN9rocsparseL18bsrxmvn_4x4_kernelILj128ELj16EfiiaafEEvT3_20rocsparse_direction_NS_24const_host_device_scalarIT1_EES1_PKS1_PKT2_SA_S7_PKT4_PKT5_S5_PT6_21rocsparse_index_base_b: ; @_ZN9rocsparseL18bsrxmvn_4x4_kernelILj128ELj16EfiiaafEEvT3_20rocsparse_direction_NS_24const_host_device_scalarIT1_EES1_PKS1_PKT2_SA_S7_PKT4_PKT5_S5_PT6_21rocsparse_index_base_b
; %bb.0:
	s_load_dwordx2 s[20:21], s[4:5], 0x58
	s_load_dwordx2 s[18:19], s[4:5], 0x8
	;; [unrolled: 1-line block ×3, first 2 shown]
	s_waitcnt lgkmcnt(0)
	s_bitcmp1_b32 s21, 0
	s_cselect_b64 s[2:3], -1, 0
	s_xor_b64 s[0:1], s[2:3], -1
	s_and_b64 vcc, exec, s[2:3]
	s_cbranch_vccnz .LBB77_2
; %bb.1:
	s_load_dword s18, s[18:19], 0x0
.LBB77_2:
	s_andn2_b64 vcc, exec, s[0:1]
	s_cbranch_vccnz .LBB77_4
; %bb.3:
	s_load_dword s16, s[16:17], 0x0
.LBB77_4:
	s_waitcnt lgkmcnt(0)
	v_cmp_neq_f32_e64 s[0:1], s18, 0
	v_cmp_neq_f32_e64 s[2:3], s16, 1.0
	s_or_b64 s[0:1], s[0:1], s[2:3]
	s_andn2_b64 vcc, exec, s[0:1]
	s_cbranch_vccnz .LBB77_10
; %bb.5:
	s_load_dwordx2 s[8:9], s[4:5], 0x18
	s_load_dwordx2 s[0:1], s[4:5], 0x0
	v_lshrrev_b32_e32 v1, 4, v0
	v_lshl_or_b32 v4, s6, 3, v1
	s_mov_b64 s[2:3], 0
	s_waitcnt lgkmcnt(0)
	s_cmp_lg_u64 s[8:9], 0
	s_cbranch_scc0 .LBB77_11
; %bb.6:
	s_load_dword s6, s[4:5], 0x10
                                        ; implicit-def: $vgpr1
	s_waitcnt lgkmcnt(0)
	v_cmp_gt_i32_e32 vcc, s6, v4
	s_and_saveexec_b64 s[6:7], vcc
	s_xor_b64 s[6:7], exec, s[6:7]
	s_cbranch_execz .LBB77_8
; %bb.7:
	v_ashrrev_i32_e32 v5, 31, v4
	v_lshlrev_b64 v[1:2], 2, v[4:5]
	v_mov_b32_e32 v3, s9
	v_add_co_u32_e32 v1, vcc, s8, v1
	v_addc_co_u32_e32 v2, vcc, v3, v2, vcc
	global_load_dword v1, v[1:2], off
	s_mov_b64 s[2:3], exec
	s_waitcnt vmcnt(0)
	v_subrev_u32_e32 v1, s20, v1
.LBB77_8:
	s_or_b64 exec, exec, s[6:7]
	s_branch .LBB77_12
.LBB77_9:
	v_cmp_gt_i32_e32 vcc, s0, v4
	s_andn2_b64 s[2:3], s[2:3], exec
	s_and_b64 s[6:7], vcc, exec
	s_or_b64 s[2:3], s[2:3], s[6:7]
	s_and_saveexec_b64 s[6:7], s[2:3]
	s_cbranch_execnz .LBB77_13
.LBB77_10:
	s_endpgm
.LBB77_11:
                                        ; implicit-def: $vgpr1
	s_cbranch_execnz .LBB77_9
.LBB77_12:
	v_mov_b32_e32 v4, v1
	s_and_saveexec_b64 s[6:7], s[2:3]
	s_cbranch_execz .LBB77_10
.LBB77_13:
	s_load_dwordx8 s[8:15], s[4:5], 0x20
	v_ashrrev_i32_e32 v5, 31, v4
	v_lshlrev_b64 v[1:2], 2, v[4:5]
	v_and_b32_e32 v9, 15, v0
	s_load_dwordx2 s[6:7], s[4:5], 0x40
	s_waitcnt lgkmcnt(0)
	v_mov_b32_e32 v3, s9
	v_add_co_u32_e32 v5, vcc, s8, v1
	v_addc_co_u32_e32 v6, vcc, v3, v2, vcc
	v_add_co_u32_e32 v3, vcc, 4, v5
	global_load_dword v15, v[5:6], off
	v_addc_co_u32_e32 v5, vcc, 0, v6, vcc
	v_mov_b32_e32 v6, s11
	v_add_co_u32_e32 v1, vcc, s10, v1
	s_cmp_eq_u64 s[10:11], 0
	v_addc_co_u32_e32 v2, vcc, v6, v2, vcc
	s_cselect_b64 vcc, -1, 0
	v_cndmask_b32_e32 v2, v2, v5, vcc
	v_cndmask_b32_e32 v1, v1, v3, vcc
	global_load_dword v1, v[1:2], off
	v_mov_b32_e32 v5, s15
	s_cmp_eq_u32 s1, 1
	s_waitcnt vmcnt(1)
	v_subrev_u32_e32 v0, s20, v15
	v_add_u32_e32 v0, v0, v9
	s_waitcnt vmcnt(0)
	v_subrev_u32_e32 v10, s20, v1
	v_ashrrev_i32_e32 v1, 31, v0
	v_lshlrev_b64 v[2:3], 4, v[0:1]
	v_cmp_lt_i32_e64 s[0:1], v0, v10
	v_add_co_u32_e32 v2, vcc, s14, v2
	v_addc_co_u32_e32 v3, vcc, v5, v3, vcc
	s_cbranch_scc1 .LBB77_25
; %bb.14:
	v_mov_b32_e32 v11, 0
	v_mov_b32_e32 v12, 0
	;; [unrolled: 1-line block ×4, first 2 shown]
	s_and_saveexec_b64 s[8:9], s[0:1]
	s_cbranch_execz .LBB77_24
; %bb.15:
	v_add_u32_e32 v1, v15, v9
	v_subrev_u32_e32 v1, s20, v1
	v_add_u32_e32 v1, 16, v1
	v_max_i32_e32 v1, v1, v10
	v_not_b32_e32 v5, v15
	v_add3_u32 v1, s20, v1, v5
	v_sub_u32_e32 v1, v1, v9
	v_and_b32_e32 v5, 48, v1
	v_mov_b32_e32 v8, v3
	v_cmp_ne_u32_e32 vcc, 48, v5
	v_mov_b32_e32 v14, 0
	v_mov_b32_e32 v13, 0
	;; [unrolled: 1-line block ×6, first 2 shown]
	s_and_saveexec_b64 s[10:11], vcc
	s_cbranch_execz .LBB77_19
; %bb.16:
	v_lshrrev_b32_e32 v5, 4, v1
	v_add_u32_e32 v5, 1, v5
	v_and_b32_e32 v5, 3, v5
	v_mov_b32_e32 v8, v3
	v_sub_u32_e32 v16, 0, v5
	v_mov_b32_e32 v11, 0
	s_mov_b64 s[14:15], 0
	v_mov_b32_e32 v17, s13
	v_mov_b32_e32 v18, s7
	;; [unrolled: 1-line block ×7, first 2 shown]
.LBB77_17:                              ; =>This Inner Loop Header: Depth=1
	v_ashrrev_i32_e32 v6, 31, v5
	v_lshlrev_b64 v[19:20], 2, v[5:6]
	v_add_co_u32_e64 v16, s[2:3], 1, v16
	v_add_co_u32_e32 v23, vcc, s12, v19
	v_addc_co_u32_e32 v24, vcc, v17, v20, vcc
	global_load_dword v6, v[23:24], off
	global_load_dwordx4 v[19:22], v[7:8], off
	v_add_u32_e32 v5, 16, v5
	s_or_b64 s[14:15], s[2:3], s[14:15]
	s_waitcnt vmcnt(1)
	v_subrev_u32_e32 v6, s20, v6
	v_lshlrev_b32_e32 v6, 2, v6
	v_ashrrev_i32_e32 v24, 31, v6
	v_add_co_u32_e32 v23, vcc, s6, v6
	v_addc_co_u32_e32 v24, vcc, v18, v24, vcc
	global_load_dword v6, v[23:24], off
	s_waitcnt vmcnt(1)
	v_cvt_f32_i32_sdwa v23, sext(v19) dst_sel:DWORD dst_unused:UNUSED_PAD src0_sel:BYTE_0
	v_cvt_f32_i32_sdwa v26, sext(v20) dst_sel:DWORD dst_unused:UNUSED_PAD src0_sel:BYTE_0
	;; [unrolled: 1-line block ×4, first 2 shown]
	v_cvt_f32_i32_sdwa v24, sext(v19) dst_sel:DWORD dst_unused:UNUSED_PAD src0_sel:BYTE_1
	v_cvt_f32_i32_sdwa v27, sext(v20) dst_sel:DWORD dst_unused:UNUSED_PAD src0_sel:BYTE_1
	;; [unrolled: 1-line block ×4, first 2 shown]
	v_cvt_f32_i32_sdwa v25, sext(v19) dst_sel:DWORD dst_unused:UNUSED_PAD src0_sel:BYTE_2
	v_cvt_f32_i32_sdwa v28, sext(v20) dst_sel:DWORD dst_unused:UNUSED_PAD src0_sel:BYTE_2
	;; [unrolled: 1-line block ×4, first 2 shown]
	v_cvt_f32_i32_sdwa v19, sext(v19) dst_sel:DWORD dst_unused:UNUSED_PAD src0_sel:BYTE_3
	v_cvt_f32_i32_sdwa v20, sext(v20) dst_sel:DWORD dst_unused:UNUSED_PAD src0_sel:BYTE_3
	;; [unrolled: 1-line block ×4, first 2 shown]
	v_add_co_u32_e32 v7, vcc, 0x100, v7
	v_addc_co_u32_e32 v8, vcc, 0, v8, vcc
	s_waitcnt vmcnt(0)
	v_cvt_f32_i32_sdwa v35, sext(v6) dst_sel:DWORD dst_unused:UNUSED_PAD src0_sel:BYTE_0
	v_cvt_f32_i32_sdwa v36, sext(v6) dst_sel:DWORD dst_unused:UNUSED_PAD src0_sel:BYTE_1
	v_cvt_f32_i32_sdwa v37, sext(v6) dst_sel:DWORD dst_unused:UNUSED_PAD src0_sel:BYTE_2
	v_cvt_f32_i32_sdwa v6, sext(v6) dst_sel:DWORD dst_unused:UNUSED_PAD src0_sel:BYTE_3
	v_fmac_f32_e32 v14, v23, v35
	v_fmac_f32_e32 v13, v26, v35
	;; [unrolled: 1-line block ×16, first 2 shown]
	s_andn2_b64 exec, exec, s[14:15]
	s_cbranch_execnz .LBB77_17
; %bb.18:
	s_or_b64 exec, exec, s[14:15]
.LBB77_19:
	s_or_b64 exec, exec, s[10:11]
	v_cmp_lt_u32_e32 vcc, 47, v1
	s_and_saveexec_b64 s[2:3], vcc
	s_cbranch_execz .LBB77_23
; %bb.20:
	s_mov_b64 s[10:11], 0
	v_mov_b32_e32 v1, s13
	v_mov_b32_e32 v16, s7
.LBB77_21:                              ; =>This Inner Loop Header: Depth=1
	v_ashrrev_i32_e32 v6, 31, v5
	v_lshlrev_b64 v[17:18], 2, v[5:6]
	v_add_u32_e32 v5, 64, v5
	v_add_co_u32_e32 v21, vcc, s12, v17
	v_addc_co_u32_e32 v22, vcc, v1, v18, vcc
	global_load_dword v6, v[21:22], off
	global_load_dwordx4 v[17:20], v[7:8], off
	s_waitcnt vmcnt(1)
	v_subrev_u32_e32 v6, s20, v6
	v_lshlrev_b32_e32 v6, 2, v6
	v_ashrrev_i32_e32 v24, 31, v6
	v_add_co_u32_e32 v23, vcc, s6, v6
	v_addc_co_u32_e32 v24, vcc, v16, v24, vcc
	global_load_dword v6, v[23:24], off
	s_waitcnt vmcnt(1)
	v_cvt_f32_i32_sdwa v25, sext(v17) dst_sel:DWORD dst_unused:UNUSED_PAD src0_sel:BYTE_0
	v_cvt_f32_i32_sdwa v24, sext(v17) dst_sel:DWORD dst_unused:UNUSED_PAD src0_sel:BYTE_1
	s_waitcnt vmcnt(0)
	v_cvt_f32_i32_sdwa v23, sext(v6) dst_sel:DWORD dst_unused:UNUSED_PAD src0_sel:BYTE_0
	v_cvt_f32_i32_sdwa v26, sext(v6) dst_sel:DWORD dst_unused:UNUSED_PAD src0_sel:BYTE_2
	v_fmac_f32_e32 v14, v25, v23
	v_cvt_f32_i32_sdwa v25, sext(v6) dst_sel:DWORD dst_unused:UNUSED_PAD src0_sel:BYTE_1
	v_cvt_f32_i32_sdwa v6, sext(v6) dst_sel:DWORD dst_unused:UNUSED_PAD src0_sel:BYTE_3
	v_fmac_f32_e32 v14, v24, v25
	v_cvt_f32_i32_sdwa v24, sext(v17) dst_sel:DWORD dst_unused:UNUSED_PAD src0_sel:BYTE_2
	v_cvt_f32_i32_sdwa v17, sext(v17) dst_sel:DWORD dst_unused:UNUSED_PAD src0_sel:BYTE_3
	v_fmac_f32_e32 v14, v24, v26
	v_fmac_f32_e32 v14, v17, v6
	v_cvt_f32_i32_sdwa v17, sext(v18) dst_sel:DWORD dst_unused:UNUSED_PAD src0_sel:BYTE_0
	v_fmac_f32_e32 v13, v17, v23
	v_cvt_f32_i32_sdwa v17, sext(v18) dst_sel:DWORD dst_unused:UNUSED_PAD src0_sel:BYTE_1
	v_fmac_f32_e32 v13, v17, v25
	v_cvt_f32_i32_sdwa v17, sext(v18) dst_sel:DWORD dst_unused:UNUSED_PAD src0_sel:BYTE_2
	v_fmac_f32_e32 v13, v17, v26
	v_cvt_f32_i32_sdwa v17, sext(v18) dst_sel:DWORD dst_unused:UNUSED_PAD src0_sel:BYTE_3
	v_fmac_f32_e32 v13, v17, v6
	v_cvt_f32_i32_sdwa v17, sext(v19) dst_sel:DWORD dst_unused:UNUSED_PAD src0_sel:BYTE_0
	v_fmac_f32_e32 v12, v17, v23
	v_cvt_f32_i32_sdwa v17, sext(v19) dst_sel:DWORD dst_unused:UNUSED_PAD src0_sel:BYTE_1
	v_fmac_f32_e32 v12, v17, v25
	v_cvt_f32_i32_sdwa v17, sext(v19) dst_sel:DWORD dst_unused:UNUSED_PAD src0_sel:BYTE_2
	v_fmac_f32_e32 v12, v17, v26
	v_cvt_f32_i32_sdwa v17, sext(v19) dst_sel:DWORD dst_unused:UNUSED_PAD src0_sel:BYTE_3
	v_fmac_f32_e32 v12, v17, v6
	v_cvt_f32_i32_sdwa v17, sext(v20) dst_sel:DWORD dst_unused:UNUSED_PAD src0_sel:BYTE_0
	v_fmac_f32_e32 v11, v17, v23
	v_cvt_f32_i32_sdwa v17, sext(v20) dst_sel:DWORD dst_unused:UNUSED_PAD src0_sel:BYTE_1
	v_fmac_f32_e32 v11, v17, v25
	v_cvt_f32_i32_sdwa v17, sext(v20) dst_sel:DWORD dst_unused:UNUSED_PAD src0_sel:BYTE_2
	v_fmac_f32_e32 v11, v17, v26
	v_cvt_f32_i32_sdwa v17, sext(v20) dst_sel:DWORD dst_unused:UNUSED_PAD src0_sel:BYTE_3
	v_fmac_f32_e32 v11, v17, v6
	global_load_dword v6, v[21:22], off offset:64
	global_load_dwordx4 v[17:20], v[7:8], off offset:256
	s_waitcnt vmcnt(1)
	v_subrev_u32_e32 v6, s20, v6
	v_lshlrev_b32_e32 v6, 2, v6
	v_ashrrev_i32_e32 v24, 31, v6
	v_add_co_u32_e32 v23, vcc, s6, v6
	v_addc_co_u32_e32 v24, vcc, v16, v24, vcc
	global_load_dword v6, v[23:24], off
	s_waitcnt vmcnt(1)
	v_cvt_f32_i32_sdwa v25, sext(v17) dst_sel:DWORD dst_unused:UNUSED_PAD src0_sel:BYTE_0
	v_cvt_f32_i32_sdwa v24, sext(v17) dst_sel:DWORD dst_unused:UNUSED_PAD src0_sel:BYTE_1
	s_waitcnt vmcnt(0)
	v_cvt_f32_i32_sdwa v23, sext(v6) dst_sel:DWORD dst_unused:UNUSED_PAD src0_sel:BYTE_0
	v_cvt_f32_i32_sdwa v26, sext(v6) dst_sel:DWORD dst_unused:UNUSED_PAD src0_sel:BYTE_2
	v_fmac_f32_e32 v14, v25, v23
	v_cvt_f32_i32_sdwa v25, sext(v6) dst_sel:DWORD dst_unused:UNUSED_PAD src0_sel:BYTE_1
	v_cvt_f32_i32_sdwa v6, sext(v6) dst_sel:DWORD dst_unused:UNUSED_PAD src0_sel:BYTE_3
	v_fmac_f32_e32 v14, v24, v25
	v_cvt_f32_i32_sdwa v24, sext(v17) dst_sel:DWORD dst_unused:UNUSED_PAD src0_sel:BYTE_2
	v_cvt_f32_i32_sdwa v17, sext(v17) dst_sel:DWORD dst_unused:UNUSED_PAD src0_sel:BYTE_3
	v_fmac_f32_e32 v14, v24, v26
	v_fmac_f32_e32 v14, v17, v6
	v_cvt_f32_i32_sdwa v17, sext(v18) dst_sel:DWORD dst_unused:UNUSED_PAD src0_sel:BYTE_0
	v_fmac_f32_e32 v13, v17, v23
	v_cvt_f32_i32_sdwa v17, sext(v18) dst_sel:DWORD dst_unused:UNUSED_PAD src0_sel:BYTE_1
	v_fmac_f32_e32 v13, v17, v25
	v_cvt_f32_i32_sdwa v17, sext(v18) dst_sel:DWORD dst_unused:UNUSED_PAD src0_sel:BYTE_2
	v_fmac_f32_e32 v13, v17, v26
	v_cvt_f32_i32_sdwa v17, sext(v18) dst_sel:DWORD dst_unused:UNUSED_PAD src0_sel:BYTE_3
	v_fmac_f32_e32 v13, v17, v6
	v_cvt_f32_i32_sdwa v17, sext(v19) dst_sel:DWORD dst_unused:UNUSED_PAD src0_sel:BYTE_0
	v_fmac_f32_e32 v12, v17, v23
	v_cvt_f32_i32_sdwa v17, sext(v19) dst_sel:DWORD dst_unused:UNUSED_PAD src0_sel:BYTE_1
	v_fmac_f32_e32 v12, v17, v25
	v_cvt_f32_i32_sdwa v17, sext(v19) dst_sel:DWORD dst_unused:UNUSED_PAD src0_sel:BYTE_2
	v_fmac_f32_e32 v12, v17, v26
	v_cvt_f32_i32_sdwa v17, sext(v19) dst_sel:DWORD dst_unused:UNUSED_PAD src0_sel:BYTE_3
	v_fmac_f32_e32 v12, v17, v6
	v_cvt_f32_i32_sdwa v17, sext(v20) dst_sel:DWORD dst_unused:UNUSED_PAD src0_sel:BYTE_0
	v_fmac_f32_e32 v11, v17, v23
	v_cvt_f32_i32_sdwa v17, sext(v20) dst_sel:DWORD dst_unused:UNUSED_PAD src0_sel:BYTE_1
	v_fmac_f32_e32 v11, v17, v25
	v_cvt_f32_i32_sdwa v17, sext(v20) dst_sel:DWORD dst_unused:UNUSED_PAD src0_sel:BYTE_2
	v_fmac_f32_e32 v11, v17, v26
	v_cvt_f32_i32_sdwa v17, sext(v20) dst_sel:DWORD dst_unused:UNUSED_PAD src0_sel:BYTE_3
	v_fmac_f32_e32 v11, v17, v6
	global_load_dword v6, v[21:22], off offset:128
	global_load_dwordx4 v[17:20], v[7:8], off offset:512
	;; [unrolled: 47-line block ×3, first 2 shown]
	s_waitcnt vmcnt(1)
	v_subrev_u32_e32 v6, s20, v6
	v_lshlrev_b32_e32 v6, 2, v6
	v_ashrrev_i32_e32 v22, 31, v6
	v_add_co_u32_e32 v21, vcc, s6, v6
	v_addc_co_u32_e32 v22, vcc, v16, v22, vcc
	global_load_dword v6, v[21:22], off
	s_waitcnt vmcnt(1)
	v_cvt_f32_i32_sdwa v23, sext(v17) dst_sel:DWORD dst_unused:UNUSED_PAD src0_sel:BYTE_0
	v_cvt_f32_i32_sdwa v22, sext(v17) dst_sel:DWORD dst_unused:UNUSED_PAD src0_sel:BYTE_1
	v_add_co_u32_e32 v7, vcc, 0x400, v7
	v_addc_co_u32_e32 v8, vcc, 0, v8, vcc
	v_cmp_ge_i32_e32 vcc, v5, v10
	s_or_b64 s[10:11], vcc, s[10:11]
	s_waitcnt vmcnt(0)
	v_cvt_f32_i32_sdwa v21, sext(v6) dst_sel:DWORD dst_unused:UNUSED_PAD src0_sel:BYTE_0
	v_cvt_f32_i32_sdwa v24, sext(v6) dst_sel:DWORD dst_unused:UNUSED_PAD src0_sel:BYTE_2
	v_fmac_f32_e32 v14, v23, v21
	v_cvt_f32_i32_sdwa v23, sext(v6) dst_sel:DWORD dst_unused:UNUSED_PAD src0_sel:BYTE_1
	v_cvt_f32_i32_sdwa v6, sext(v6) dst_sel:DWORD dst_unused:UNUSED_PAD src0_sel:BYTE_3
	v_fmac_f32_e32 v14, v22, v23
	v_cvt_f32_i32_sdwa v22, sext(v17) dst_sel:DWORD dst_unused:UNUSED_PAD src0_sel:BYTE_2
	v_cvt_f32_i32_sdwa v17, sext(v17) dst_sel:DWORD dst_unused:UNUSED_PAD src0_sel:BYTE_3
	v_fmac_f32_e32 v14, v22, v24
	v_fmac_f32_e32 v14, v17, v6
	v_cvt_f32_i32_sdwa v17, sext(v18) dst_sel:DWORD dst_unused:UNUSED_PAD src0_sel:BYTE_0
	v_fmac_f32_e32 v13, v17, v21
	v_cvt_f32_i32_sdwa v17, sext(v18) dst_sel:DWORD dst_unused:UNUSED_PAD src0_sel:BYTE_1
	v_fmac_f32_e32 v13, v17, v23
	v_cvt_f32_i32_sdwa v17, sext(v18) dst_sel:DWORD dst_unused:UNUSED_PAD src0_sel:BYTE_2
	v_fmac_f32_e32 v13, v17, v24
	v_cvt_f32_i32_sdwa v17, sext(v18) dst_sel:DWORD dst_unused:UNUSED_PAD src0_sel:BYTE_3
	v_fmac_f32_e32 v13, v17, v6
	v_cvt_f32_i32_sdwa v17, sext(v19) dst_sel:DWORD dst_unused:UNUSED_PAD src0_sel:BYTE_0
	v_fmac_f32_e32 v12, v17, v21
	v_cvt_f32_i32_sdwa v17, sext(v19) dst_sel:DWORD dst_unused:UNUSED_PAD src0_sel:BYTE_1
	v_fmac_f32_e32 v12, v17, v23
	v_cvt_f32_i32_sdwa v17, sext(v19) dst_sel:DWORD dst_unused:UNUSED_PAD src0_sel:BYTE_2
	v_fmac_f32_e32 v12, v17, v24
	v_cvt_f32_i32_sdwa v17, sext(v19) dst_sel:DWORD dst_unused:UNUSED_PAD src0_sel:BYTE_3
	;; [unrolled: 8-line block ×3, first 2 shown]
	v_fmac_f32_e32 v11, v17, v6
	s_andn2_b64 exec, exec, s[10:11]
	s_cbranch_execnz .LBB77_21
; %bb.22:
	s_or_b64 exec, exec, s[10:11]
.LBB77_23:
	s_or_b64 exec, exec, s[2:3]
.LBB77_24:
	s_or_b64 exec, exec, s[8:9]
	s_cbranch_execz .LBB77_26
	s_branch .LBB77_37
.LBB77_25:
                                        ; implicit-def: $vgpr11
                                        ; implicit-def: $vgpr12
                                        ; implicit-def: $vgpr13
                                        ; implicit-def: $vgpr14
.LBB77_26:
	v_mov_b32_e32 v11, 0
	v_mov_b32_e32 v12, 0
	;; [unrolled: 1-line block ×4, first 2 shown]
	s_and_saveexec_b64 s[2:3], s[0:1]
	s_cbranch_execz .LBB77_36
; %bb.27:
	v_add_u32_e32 v1, v15, v9
	v_subrev_u32_e32 v1, s20, v1
	v_add_u32_e32 v1, 16, v1
	v_max_i32_e32 v1, v1, v10
	v_not_b32_e32 v5, v15
	v_add3_u32 v1, s20, v1, v5
	v_sub_u32_e32 v5, v1, v9
	v_and_b32_e32 v1, 48, v5
	v_cmp_ne_u32_e32 vcc, 48, v1
	v_mov_b32_e32 v14, 0
	v_mov_b32_e32 v13, 0
	;; [unrolled: 1-line block ×4, first 2 shown]
	s_and_saveexec_b64 s[8:9], vcc
	s_cbranch_execz .LBB77_31
; %bb.28:
	v_lshrrev_b32_e32 v1, 4, v5
	v_add_u32_e32 v1, 1, v1
	v_and_b32_e32 v1, 3, v1
	v_sub_u32_e32 v6, 0, v1
	v_mov_b32_e32 v11, 0
	s_mov_b64 s[10:11], 0
	v_mov_b32_e32 v7, s13
	v_mov_b32_e32 v8, s7
	;; [unrolled: 1-line block ×5, first 2 shown]
.LBB77_29:                              ; =>This Inner Loop Header: Depth=1
	v_ashrrev_i32_e32 v1, 31, v0
	v_lshlrev_b64 v[15:16], 2, v[0:1]
	v_add_co_u32_e64 v6, s[0:1], 1, v6
	v_add_co_u32_e32 v19, vcc, s12, v15
	v_addc_co_u32_e32 v20, vcc, v7, v16, vcc
	global_load_dword v1, v[19:20], off
	global_load_dwordx4 v[15:18], v[2:3], off
	v_add_u32_e32 v0, 16, v0
	s_or_b64 s[10:11], s[0:1], s[10:11]
	s_waitcnt vmcnt(1)
	v_subrev_u32_e32 v1, s20, v1
	v_lshlrev_b32_e32 v1, 2, v1
	v_ashrrev_i32_e32 v20, 31, v1
	v_add_co_u32_e32 v19, vcc, s6, v1
	v_addc_co_u32_e32 v20, vcc, v8, v20, vcc
	global_load_dword v1, v[19:20], off
	s_waitcnt vmcnt(1)
	v_cvt_f32_i32_sdwa v19, sext(v15) dst_sel:DWORD dst_unused:UNUSED_PAD src0_sel:BYTE_0
	v_cvt_f32_i32_sdwa v20, sext(v15) dst_sel:DWORD dst_unused:UNUSED_PAD src0_sel:BYTE_1
	v_cvt_f32_i32_sdwa v21, sext(v15) dst_sel:DWORD dst_unused:UNUSED_PAD src0_sel:BYTE_2
	v_cvt_f32_i32_sdwa v15, sext(v15) dst_sel:DWORD dst_unused:UNUSED_PAD src0_sel:BYTE_3
	v_cvt_f32_i32_sdwa v22, sext(v16) dst_sel:DWORD dst_unused:UNUSED_PAD src0_sel:BYTE_0
	v_cvt_f32_i32_sdwa v23, sext(v16) dst_sel:DWORD dst_unused:UNUSED_PAD src0_sel:BYTE_1
	v_cvt_f32_i32_sdwa v24, sext(v16) dst_sel:DWORD dst_unused:UNUSED_PAD src0_sel:BYTE_2
	v_cvt_f32_i32_sdwa v16, sext(v16) dst_sel:DWORD dst_unused:UNUSED_PAD src0_sel:BYTE_3
	;; [unrolled: 4-line block ×4, first 2 shown]
	v_add_co_u32_e32 v2, vcc, 0x100, v2
	v_addc_co_u32_e32 v3, vcc, 0, v3, vcc
	s_waitcnt vmcnt(0)
	v_cvt_f32_i32_sdwa v31, sext(v1) dst_sel:DWORD dst_unused:UNUSED_PAD src0_sel:BYTE_0
	v_cvt_f32_i32_sdwa v32, sext(v1) dst_sel:DWORD dst_unused:UNUSED_PAD src0_sel:BYTE_1
	v_cvt_f32_i32_sdwa v33, sext(v1) dst_sel:DWORD dst_unused:UNUSED_PAD src0_sel:BYTE_2
	v_cvt_f32_i32_sdwa v1, sext(v1) dst_sel:DWORD dst_unused:UNUSED_PAD src0_sel:BYTE_3
	v_fmac_f32_e32 v14, v19, v31
	v_fmac_f32_e32 v13, v20, v31
	v_fmac_f32_e32 v12, v21, v31
	v_fmac_f32_e32 v11, v15, v31
	v_fmac_f32_e32 v14, v22, v32
	v_fmac_f32_e32 v13, v23, v32
	v_fmac_f32_e32 v12, v24, v32
	v_fmac_f32_e32 v11, v16, v32
	v_fmac_f32_e32 v14, v25, v33
	v_fmac_f32_e32 v13, v26, v33
	v_fmac_f32_e32 v12, v27, v33
	v_fmac_f32_e32 v11, v17, v33
	v_fmac_f32_e32 v14, v28, v1
	v_fmac_f32_e32 v13, v29, v1
	v_fmac_f32_e32 v12, v30, v1
	v_fmac_f32_e32 v11, v18, v1
	s_andn2_b64 exec, exec, s[10:11]
	s_cbranch_execnz .LBB77_29
; %bb.30:
	s_or_b64 exec, exec, s[10:11]
.LBB77_31:
	s_or_b64 exec, exec, s[8:9]
	v_cmp_lt_u32_e32 vcc, 47, v5
	s_and_saveexec_b64 s[0:1], vcc
	s_cbranch_execz .LBB77_35
; %bb.32:
	s_mov_b64 s[8:9], 0
	v_mov_b32_e32 v5, s13
	v_mov_b32_e32 v6, s7
.LBB77_33:                              ; =>This Inner Loop Header: Depth=1
	v_ashrrev_i32_e32 v1, 31, v0
	v_lshlrev_b64 v[7:8], 2, v[0:1]
	global_load_dwordx4 v[15:18], v[2:3], off
	v_add_co_u32_e32 v7, vcc, s12, v7
	v_addc_co_u32_e32 v8, vcc, v5, v8, vcc
	global_load_dword v1, v[7:8], off
	v_add_u32_e32 v0, 64, v0
	s_waitcnt vmcnt(1)
	v_cvt_f32_i32_sdwa v21, sext(v15) dst_sel:DWORD dst_unused:UNUSED_PAD src0_sel:BYTE_0
	s_waitcnt vmcnt(0)
	v_subrev_u32_e32 v1, s20, v1
	v_lshlrev_b32_e32 v1, 2, v1
	v_ashrrev_i32_e32 v20, 31, v1
	v_add_co_u32_e32 v19, vcc, s6, v1
	v_addc_co_u32_e32 v20, vcc, v6, v20, vcc
	global_load_dword v1, v[19:20], off
	v_cvt_f32_i32_sdwa v20, sext(v15) dst_sel:DWORD dst_unused:UNUSED_PAD src0_sel:BYTE_1
	s_waitcnt vmcnt(0)
	v_cvt_f32_i32_sdwa v19, sext(v1) dst_sel:DWORD dst_unused:UNUSED_PAD src0_sel:BYTE_0
	v_fmac_f32_e32 v13, v20, v19
	v_cvt_f32_i32_sdwa v20, sext(v15) dst_sel:DWORD dst_unused:UNUSED_PAD src0_sel:BYTE_2
	v_cvt_f32_i32_sdwa v15, sext(v15) dst_sel:DWORD dst_unused:UNUSED_PAD src0_sel:BYTE_3
	v_fmac_f32_e32 v14, v21, v19
	v_fmac_f32_e32 v12, v20, v19
	v_fmac_f32_e32 v11, v15, v19
	v_cvt_f32_i32_sdwa v15, sext(v16) dst_sel:DWORD dst_unused:UNUSED_PAD src0_sel:BYTE_0
	v_cvt_f32_i32_sdwa v19, sext(v1) dst_sel:DWORD dst_unused:UNUSED_PAD src0_sel:BYTE_1
	v_fmac_f32_e32 v14, v15, v19
	v_cvt_f32_i32_sdwa v15, sext(v16) dst_sel:DWORD dst_unused:UNUSED_PAD src0_sel:BYTE_1
	v_fmac_f32_e32 v13, v15, v19
	v_cvt_f32_i32_sdwa v15, sext(v16) dst_sel:DWORD dst_unused:UNUSED_PAD src0_sel:BYTE_2
	v_fmac_f32_e32 v12, v15, v19
	v_cvt_f32_i32_sdwa v15, sext(v16) dst_sel:DWORD dst_unused:UNUSED_PAD src0_sel:BYTE_3
	v_cvt_f32_i32_sdwa v16, sext(v1) dst_sel:DWORD dst_unused:UNUSED_PAD src0_sel:BYTE_2
	v_cvt_f32_i32_sdwa v1, sext(v1) dst_sel:DWORD dst_unused:UNUSED_PAD src0_sel:BYTE_3
	v_fmac_f32_e32 v11, v15, v19
	v_cvt_f32_i32_sdwa v15, sext(v17) dst_sel:DWORD dst_unused:UNUSED_PAD src0_sel:BYTE_0
	v_fmac_f32_e32 v14, v15, v16
	v_cvt_f32_i32_sdwa v15, sext(v17) dst_sel:DWORD dst_unused:UNUSED_PAD src0_sel:BYTE_1
	v_fmac_f32_e32 v13, v15, v16
	v_cvt_f32_i32_sdwa v15, sext(v17) dst_sel:DWORD dst_unused:UNUSED_PAD src0_sel:BYTE_2
	v_fmac_f32_e32 v12, v15, v16
	v_cvt_f32_i32_sdwa v15, sext(v17) dst_sel:DWORD dst_unused:UNUSED_PAD src0_sel:BYTE_3
	v_fmac_f32_e32 v11, v15, v16
	v_cvt_f32_i32_sdwa v15, sext(v18) dst_sel:DWORD dst_unused:UNUSED_PAD src0_sel:BYTE_0
	v_fmac_f32_e32 v14, v15, v1
	v_cvt_f32_i32_sdwa v15, sext(v18) dst_sel:DWORD dst_unused:UNUSED_PAD src0_sel:BYTE_1
	v_fmac_f32_e32 v13, v15, v1
	v_cvt_f32_i32_sdwa v15, sext(v18) dst_sel:DWORD dst_unused:UNUSED_PAD src0_sel:BYTE_2
	v_fmac_f32_e32 v12, v15, v1
	v_cvt_f32_i32_sdwa v15, sext(v18) dst_sel:DWORD dst_unused:UNUSED_PAD src0_sel:BYTE_3
	v_fmac_f32_e32 v11, v15, v1
	global_load_dword v1, v[7:8], off offset:64
	global_load_dwordx4 v[15:18], v[2:3], off offset:256
	s_waitcnt vmcnt(1)
	v_subrev_u32_e32 v1, s20, v1
	v_lshlrev_b32_e32 v1, 2, v1
	v_ashrrev_i32_e32 v20, 31, v1
	v_add_co_u32_e32 v19, vcc, s6, v1
	v_addc_co_u32_e32 v20, vcc, v6, v20, vcc
	global_load_dword v1, v[19:20], off
	s_waitcnt vmcnt(1)
	v_cvt_f32_i32_sdwa v20, sext(v15) dst_sel:DWORD dst_unused:UNUSED_PAD src0_sel:BYTE_1
	v_cvt_f32_i32_sdwa v21, sext(v15) dst_sel:DWORD dst_unused:UNUSED_PAD src0_sel:BYTE_0
	s_waitcnt vmcnt(0)
	v_cvt_f32_i32_sdwa v19, sext(v1) dst_sel:DWORD dst_unused:UNUSED_PAD src0_sel:BYTE_0
	v_fmac_f32_e32 v13, v20, v19
	v_cvt_f32_i32_sdwa v20, sext(v15) dst_sel:DWORD dst_unused:UNUSED_PAD src0_sel:BYTE_2
	v_cvt_f32_i32_sdwa v15, sext(v15) dst_sel:DWORD dst_unused:UNUSED_PAD src0_sel:BYTE_3
	v_fmac_f32_e32 v14, v21, v19
	v_fmac_f32_e32 v12, v20, v19
	v_fmac_f32_e32 v11, v15, v19
	v_cvt_f32_i32_sdwa v15, sext(v16) dst_sel:DWORD dst_unused:UNUSED_PAD src0_sel:BYTE_0
	v_cvt_f32_i32_sdwa v19, sext(v1) dst_sel:DWORD dst_unused:UNUSED_PAD src0_sel:BYTE_1
	v_fmac_f32_e32 v14, v15, v19
	v_cvt_f32_i32_sdwa v15, sext(v16) dst_sel:DWORD dst_unused:UNUSED_PAD src0_sel:BYTE_1
	v_fmac_f32_e32 v13, v15, v19
	v_cvt_f32_i32_sdwa v15, sext(v16) dst_sel:DWORD dst_unused:UNUSED_PAD src0_sel:BYTE_2
	v_fmac_f32_e32 v12, v15, v19
	v_cvt_f32_i32_sdwa v15, sext(v16) dst_sel:DWORD dst_unused:UNUSED_PAD src0_sel:BYTE_3
	v_cvt_f32_i32_sdwa v16, sext(v1) dst_sel:DWORD dst_unused:UNUSED_PAD src0_sel:BYTE_2
	v_cvt_f32_i32_sdwa v1, sext(v1) dst_sel:DWORD dst_unused:UNUSED_PAD src0_sel:BYTE_3
	v_fmac_f32_e32 v11, v15, v19
	v_cvt_f32_i32_sdwa v15, sext(v17) dst_sel:DWORD dst_unused:UNUSED_PAD src0_sel:BYTE_0
	v_fmac_f32_e32 v14, v15, v16
	v_cvt_f32_i32_sdwa v15, sext(v17) dst_sel:DWORD dst_unused:UNUSED_PAD src0_sel:BYTE_1
	v_fmac_f32_e32 v13, v15, v16
	v_cvt_f32_i32_sdwa v15, sext(v17) dst_sel:DWORD dst_unused:UNUSED_PAD src0_sel:BYTE_2
	v_fmac_f32_e32 v12, v15, v16
	v_cvt_f32_i32_sdwa v15, sext(v17) dst_sel:DWORD dst_unused:UNUSED_PAD src0_sel:BYTE_3
	v_fmac_f32_e32 v11, v15, v16
	v_cvt_f32_i32_sdwa v15, sext(v18) dst_sel:DWORD dst_unused:UNUSED_PAD src0_sel:BYTE_0
	v_fmac_f32_e32 v14, v15, v1
	v_cvt_f32_i32_sdwa v15, sext(v18) dst_sel:DWORD dst_unused:UNUSED_PAD src0_sel:BYTE_1
	v_fmac_f32_e32 v13, v15, v1
	v_cvt_f32_i32_sdwa v15, sext(v18) dst_sel:DWORD dst_unused:UNUSED_PAD src0_sel:BYTE_2
	v_fmac_f32_e32 v12, v15, v1
	v_cvt_f32_i32_sdwa v15, sext(v18) dst_sel:DWORD dst_unused:UNUSED_PAD src0_sel:BYTE_3
	v_fmac_f32_e32 v11, v15, v1
	global_load_dword v1, v[7:8], off offset:128
	global_load_dwordx4 v[15:18], v[2:3], off offset:512
	s_waitcnt vmcnt(1)
	v_subrev_u32_e32 v1, s20, v1
	v_lshlrev_b32_e32 v1, 2, v1
	v_ashrrev_i32_e32 v20, 31, v1
	v_add_co_u32_e32 v19, vcc, s6, v1
	v_addc_co_u32_e32 v20, vcc, v6, v20, vcc
	global_load_dword v1, v[19:20], off
	s_waitcnt vmcnt(1)
	v_cvt_f32_i32_sdwa v20, sext(v15) dst_sel:DWORD dst_unused:UNUSED_PAD src0_sel:BYTE_1
	v_cvt_f32_i32_sdwa v21, sext(v15) dst_sel:DWORD dst_unused:UNUSED_PAD src0_sel:BYTE_0
	s_waitcnt vmcnt(0)
	v_cvt_f32_i32_sdwa v19, sext(v1) dst_sel:DWORD dst_unused:UNUSED_PAD src0_sel:BYTE_0
	v_fmac_f32_e32 v13, v20, v19
	v_cvt_f32_i32_sdwa v20, sext(v15) dst_sel:DWORD dst_unused:UNUSED_PAD src0_sel:BYTE_2
	v_cvt_f32_i32_sdwa v15, sext(v15) dst_sel:DWORD dst_unused:UNUSED_PAD src0_sel:BYTE_3
	v_fmac_f32_e32 v14, v21, v19
	v_fmac_f32_e32 v12, v20, v19
	v_fmac_f32_e32 v11, v15, v19
	v_cvt_f32_i32_sdwa v15, sext(v16) dst_sel:DWORD dst_unused:UNUSED_PAD src0_sel:BYTE_0
	v_cvt_f32_i32_sdwa v19, sext(v1) dst_sel:DWORD dst_unused:UNUSED_PAD src0_sel:BYTE_1
	v_fmac_f32_e32 v14, v15, v19
	v_cvt_f32_i32_sdwa v15, sext(v16) dst_sel:DWORD dst_unused:UNUSED_PAD src0_sel:BYTE_1
	v_fmac_f32_e32 v13, v15, v19
	v_cvt_f32_i32_sdwa v15, sext(v16) dst_sel:DWORD dst_unused:UNUSED_PAD src0_sel:BYTE_2
	v_fmac_f32_e32 v12, v15, v19
	v_cvt_f32_i32_sdwa v15, sext(v16) dst_sel:DWORD dst_unused:UNUSED_PAD src0_sel:BYTE_3
	v_cvt_f32_i32_sdwa v16, sext(v1) dst_sel:DWORD dst_unused:UNUSED_PAD src0_sel:BYTE_2
	v_cvt_f32_i32_sdwa v1, sext(v1) dst_sel:DWORD dst_unused:UNUSED_PAD src0_sel:BYTE_3
	v_fmac_f32_e32 v11, v15, v19
	v_cvt_f32_i32_sdwa v15, sext(v17) dst_sel:DWORD dst_unused:UNUSED_PAD src0_sel:BYTE_0
	v_fmac_f32_e32 v14, v15, v16
	v_cvt_f32_i32_sdwa v15, sext(v17) dst_sel:DWORD dst_unused:UNUSED_PAD src0_sel:BYTE_1
	v_fmac_f32_e32 v13, v15, v16
	v_cvt_f32_i32_sdwa v15, sext(v17) dst_sel:DWORD dst_unused:UNUSED_PAD src0_sel:BYTE_2
	v_fmac_f32_e32 v12, v15, v16
	v_cvt_f32_i32_sdwa v15, sext(v17) dst_sel:DWORD dst_unused:UNUSED_PAD src0_sel:BYTE_3
	v_fmac_f32_e32 v11, v15, v16
	v_cvt_f32_i32_sdwa v15, sext(v18) dst_sel:DWORD dst_unused:UNUSED_PAD src0_sel:BYTE_0
	v_fmac_f32_e32 v14, v15, v1
	v_cvt_f32_i32_sdwa v15, sext(v18) dst_sel:DWORD dst_unused:UNUSED_PAD src0_sel:BYTE_1
	v_fmac_f32_e32 v13, v15, v1
	v_cvt_f32_i32_sdwa v15, sext(v18) dst_sel:DWORD dst_unused:UNUSED_PAD src0_sel:BYTE_2
	v_fmac_f32_e32 v12, v15, v1
	v_cvt_f32_i32_sdwa v15, sext(v18) dst_sel:DWORD dst_unused:UNUSED_PAD src0_sel:BYTE_3
	v_fmac_f32_e32 v11, v15, v1
	global_load_dword v1, v[7:8], off offset:192
	global_load_dwordx4 v[15:18], v[2:3], off offset:768
	s_waitcnt vmcnt(1)
	v_subrev_u32_e32 v1, s20, v1
	v_lshlrev_b32_e32 v1, 2, v1
	v_ashrrev_i32_e32 v8, 31, v1
	v_add_co_u32_e32 v7, vcc, s6, v1
	v_addc_co_u32_e32 v8, vcc, v6, v8, vcc
	global_load_dword v1, v[7:8], off
	s_waitcnt vmcnt(1)
	v_cvt_f32_i32_sdwa v8, sext(v15) dst_sel:DWORD dst_unused:UNUSED_PAD src0_sel:BYTE_1
	v_cvt_f32_i32_sdwa v19, sext(v15) dst_sel:DWORD dst_unused:UNUSED_PAD src0_sel:BYTE_0
	v_add_co_u32_e32 v2, vcc, 0x400, v2
	v_addc_co_u32_e32 v3, vcc, 0, v3, vcc
	v_cmp_ge_i32_e32 vcc, v0, v10
	s_or_b64 s[8:9], vcc, s[8:9]
	s_waitcnt vmcnt(0)
	v_cvt_f32_i32_sdwa v7, sext(v1) dst_sel:DWORD dst_unused:UNUSED_PAD src0_sel:BYTE_0
	v_fmac_f32_e32 v13, v8, v7
	v_cvt_f32_i32_sdwa v8, sext(v15) dst_sel:DWORD dst_unused:UNUSED_PAD src0_sel:BYTE_2
	v_fmac_f32_e32 v14, v19, v7
	v_fmac_f32_e32 v12, v8, v7
	v_cvt_f32_i32_sdwa v8, sext(v15) dst_sel:DWORD dst_unused:UNUSED_PAD src0_sel:BYTE_3
	v_fmac_f32_e32 v11, v8, v7
	v_cvt_f32_i32_sdwa v7, sext(v16) dst_sel:DWORD dst_unused:UNUSED_PAD src0_sel:BYTE_0
	v_cvt_f32_i32_sdwa v8, sext(v1) dst_sel:DWORD dst_unused:UNUSED_PAD src0_sel:BYTE_1
	v_fmac_f32_e32 v14, v7, v8
	v_cvt_f32_i32_sdwa v7, sext(v16) dst_sel:DWORD dst_unused:UNUSED_PAD src0_sel:BYTE_1
	v_fmac_f32_e32 v13, v7, v8
	v_cvt_f32_i32_sdwa v7, sext(v16) dst_sel:DWORD dst_unused:UNUSED_PAD src0_sel:BYTE_2
	v_fmac_f32_e32 v12, v7, v8
	v_cvt_f32_i32_sdwa v7, sext(v16) dst_sel:DWORD dst_unused:UNUSED_PAD src0_sel:BYTE_3
	v_fmac_f32_e32 v11, v7, v8
	v_cvt_f32_i32_sdwa v7, sext(v17) dst_sel:DWORD dst_unused:UNUSED_PAD src0_sel:BYTE_0
	v_cvt_f32_i32_sdwa v8, sext(v1) dst_sel:DWORD dst_unused:UNUSED_PAD src0_sel:BYTE_2
	v_cvt_f32_i32_sdwa v1, sext(v1) dst_sel:DWORD dst_unused:UNUSED_PAD src0_sel:BYTE_3
	v_fmac_f32_e32 v14, v7, v8
	v_cvt_f32_i32_sdwa v7, sext(v17) dst_sel:DWORD dst_unused:UNUSED_PAD src0_sel:BYTE_1
	v_fmac_f32_e32 v13, v7, v8
	v_cvt_f32_i32_sdwa v7, sext(v17) dst_sel:DWORD dst_unused:UNUSED_PAD src0_sel:BYTE_2
	v_fmac_f32_e32 v12, v7, v8
	v_cvt_f32_i32_sdwa v7, sext(v17) dst_sel:DWORD dst_unused:UNUSED_PAD src0_sel:BYTE_3
	v_fmac_f32_e32 v11, v7, v8
	v_cvt_f32_i32_sdwa v7, sext(v18) dst_sel:DWORD dst_unused:UNUSED_PAD src0_sel:BYTE_0
	v_fmac_f32_e32 v14, v7, v1
	v_cvt_f32_i32_sdwa v7, sext(v18) dst_sel:DWORD dst_unused:UNUSED_PAD src0_sel:BYTE_1
	v_fmac_f32_e32 v13, v7, v1
	v_cvt_f32_i32_sdwa v7, sext(v18) dst_sel:DWORD dst_unused:UNUSED_PAD src0_sel:BYTE_2
	v_fmac_f32_e32 v12, v7, v1
	v_cvt_f32_i32_sdwa v7, sext(v18) dst_sel:DWORD dst_unused:UNUSED_PAD src0_sel:BYTE_3
	v_fmac_f32_e32 v11, v7, v1
	s_andn2_b64 exec, exec, s[8:9]
	s_cbranch_execnz .LBB77_33
; %bb.34:
	s_or_b64 exec, exec, s[8:9]
.LBB77_35:
	s_or_b64 exec, exec, s[0:1]
.LBB77_36:
	s_or_b64 exec, exec, s[2:3]
.LBB77_37:
	v_mov_b32_dpp v0, v14 row_shr:1 row_mask:0xf bank_mask:0xf
	v_mov_b32_dpp v2, v13 row_shr:1 row_mask:0xf bank_mask:0xf
	v_mov_b32_dpp v5, v12 row_shr:1 row_mask:0xf bank_mask:0xf
	v_mov_b32_dpp v7, v11 row_shr:1 row_mask:0xf bank_mask:0xf
	v_add_f32_e32 v0, v14, v0
	v_add_f32_e32 v2, v13, v2
	v_add_f32_e32 v5, v12, v5
	v_add_f32_e32 v7, v11, v7
	v_mov_b32_dpp v1, v0 row_shr:2 row_mask:0xf bank_mask:0xf
	v_mov_b32_dpp v3, v2 row_shr:2 row_mask:0xf bank_mask:0xf
	v_mov_b32_dpp v6, v5 row_shr:2 row_mask:0xf bank_mask:0xf
	v_mov_b32_dpp v8, v7 row_shr:2 row_mask:0xf bank_mask:0xf
	v_add_f32_e32 v0, v0, v1
	v_add_f32_e32 v2, v2, v3
	v_add_f32_e32 v5, v5, v6
	v_add_f32_e32 v7, v7, v8
	;; [unrolled: 8-line block ×3, first 2 shown]
	v_mov_b32_dpp v1, v0 row_shr:8 row_mask:0xf bank_mask:0xc
	v_mov_b32_dpp v3, v2 row_shr:8 row_mask:0xf bank_mask:0xc
	;; [unrolled: 1-line block ×4, first 2 shown]
	v_cmp_eq_u32_e32 vcc, 15, v9
	s_and_b64 exec, exec, vcc
	s_cbranch_execz .LBB77_10
; %bb.38:
	s_load_dwordx2 s[0:1], s[4:5], 0x50
	v_add_f32_e32 v0, v0, v1
	v_add_f32_e32 v1, v2, v3
	;; [unrolled: 1-line block ×4, first 2 shown]
	v_cmp_eq_f32_e64 s[2:3], s16, 0
	s_and_b64 vcc, exec, s[2:3]
	v_mul_f32_e32 v0, s18, v0
	v_mul_f32_e32 v1, s18, v1
	;; [unrolled: 1-line block ×4, first 2 shown]
	v_lshlrev_b32_e32 v4, 2, v4
	s_cbranch_vccz .LBB77_40
; %bb.39:
	v_ashrrev_i32_e32 v5, 31, v4
	v_lshlrev_b64 v[5:6], 2, v[4:5]
	s_waitcnt lgkmcnt(0)
	v_mov_b32_e32 v7, s1
	v_add_co_u32_e32 v5, vcc, s0, v5
	v_addc_co_u32_e32 v6, vcc, v7, v6, vcc
	global_store_dwordx4 v[5:6], v[0:3], off
	s_cbranch_execnz .LBB77_10
	s_branch .LBB77_41
.LBB77_40:
.LBB77_41:
	v_ashrrev_i32_e32 v5, 31, v4
	v_lshlrev_b64 v[4:5], 2, v[4:5]
	s_waitcnt lgkmcnt(0)
	v_mov_b32_e32 v6, s1
	v_add_co_u32_e32 v8, vcc, s0, v4
	v_addc_co_u32_e32 v9, vcc, v6, v5, vcc
	global_load_dwordx4 v[4:7], v[8:9], off
	s_waitcnt vmcnt(0)
	v_fmac_f32_e32 v0, s16, v4
	v_fmac_f32_e32 v1, s16, v5
	;; [unrolled: 1-line block ×4, first 2 shown]
	global_store_dwordx4 v[8:9], v[0:3], off
	s_endpgm
	.section	.rodata,"a",@progbits
	.p2align	6, 0x0
	.amdhsa_kernel _ZN9rocsparseL18bsrxmvn_4x4_kernelILj128ELj16EfiiaafEEvT3_20rocsparse_direction_NS_24const_host_device_scalarIT1_EES1_PKS1_PKT2_SA_S7_PKT4_PKT5_S5_PT6_21rocsparse_index_base_b
		.amdhsa_group_segment_fixed_size 0
		.amdhsa_private_segment_fixed_size 0
		.amdhsa_kernarg_size 96
		.amdhsa_user_sgpr_count 6
		.amdhsa_user_sgpr_private_segment_buffer 1
		.amdhsa_user_sgpr_dispatch_ptr 0
		.amdhsa_user_sgpr_queue_ptr 0
		.amdhsa_user_sgpr_kernarg_segment_ptr 1
		.amdhsa_user_sgpr_dispatch_id 0
		.amdhsa_user_sgpr_flat_scratch_init 0
		.amdhsa_user_sgpr_private_segment_size 0
		.amdhsa_uses_dynamic_stack 0
		.amdhsa_system_sgpr_private_segment_wavefront_offset 0
		.amdhsa_system_sgpr_workgroup_id_x 1
		.amdhsa_system_sgpr_workgroup_id_y 0
		.amdhsa_system_sgpr_workgroup_id_z 0
		.amdhsa_system_sgpr_workgroup_info 0
		.amdhsa_system_vgpr_workitem_id 0
		.amdhsa_next_free_vgpr 38
		.amdhsa_next_free_sgpr 22
		.amdhsa_reserve_vcc 1
		.amdhsa_reserve_flat_scratch 0
		.amdhsa_float_round_mode_32 0
		.amdhsa_float_round_mode_16_64 0
		.amdhsa_float_denorm_mode_32 3
		.amdhsa_float_denorm_mode_16_64 3
		.amdhsa_dx10_clamp 1
		.amdhsa_ieee_mode 1
		.amdhsa_fp16_overflow 0
		.amdhsa_exception_fp_ieee_invalid_op 0
		.amdhsa_exception_fp_denorm_src 0
		.amdhsa_exception_fp_ieee_div_zero 0
		.amdhsa_exception_fp_ieee_overflow 0
		.amdhsa_exception_fp_ieee_underflow 0
		.amdhsa_exception_fp_ieee_inexact 0
		.amdhsa_exception_int_div_zero 0
	.end_amdhsa_kernel
	.section	.text._ZN9rocsparseL18bsrxmvn_4x4_kernelILj128ELj16EfiiaafEEvT3_20rocsparse_direction_NS_24const_host_device_scalarIT1_EES1_PKS1_PKT2_SA_S7_PKT4_PKT5_S5_PT6_21rocsparse_index_base_b,"axG",@progbits,_ZN9rocsparseL18bsrxmvn_4x4_kernelILj128ELj16EfiiaafEEvT3_20rocsparse_direction_NS_24const_host_device_scalarIT1_EES1_PKS1_PKT2_SA_S7_PKT4_PKT5_S5_PT6_21rocsparse_index_base_b,comdat
.Lfunc_end77:
	.size	_ZN9rocsparseL18bsrxmvn_4x4_kernelILj128ELj16EfiiaafEEvT3_20rocsparse_direction_NS_24const_host_device_scalarIT1_EES1_PKS1_PKT2_SA_S7_PKT4_PKT5_S5_PT6_21rocsparse_index_base_b, .Lfunc_end77-_ZN9rocsparseL18bsrxmvn_4x4_kernelILj128ELj16EfiiaafEEvT3_20rocsparse_direction_NS_24const_host_device_scalarIT1_EES1_PKS1_PKT2_SA_S7_PKT4_PKT5_S5_PT6_21rocsparse_index_base_b
                                        ; -- End function
	.set _ZN9rocsparseL18bsrxmvn_4x4_kernelILj128ELj16EfiiaafEEvT3_20rocsparse_direction_NS_24const_host_device_scalarIT1_EES1_PKS1_PKT2_SA_S7_PKT4_PKT5_S5_PT6_21rocsparse_index_base_b.num_vgpr, 38
	.set _ZN9rocsparseL18bsrxmvn_4x4_kernelILj128ELj16EfiiaafEEvT3_20rocsparse_direction_NS_24const_host_device_scalarIT1_EES1_PKS1_PKT2_SA_S7_PKT4_PKT5_S5_PT6_21rocsparse_index_base_b.num_agpr, 0
	.set _ZN9rocsparseL18bsrxmvn_4x4_kernelILj128ELj16EfiiaafEEvT3_20rocsparse_direction_NS_24const_host_device_scalarIT1_EES1_PKS1_PKT2_SA_S7_PKT4_PKT5_S5_PT6_21rocsparse_index_base_b.numbered_sgpr, 22
	.set _ZN9rocsparseL18bsrxmvn_4x4_kernelILj128ELj16EfiiaafEEvT3_20rocsparse_direction_NS_24const_host_device_scalarIT1_EES1_PKS1_PKT2_SA_S7_PKT4_PKT5_S5_PT6_21rocsparse_index_base_b.num_named_barrier, 0
	.set _ZN9rocsparseL18bsrxmvn_4x4_kernelILj128ELj16EfiiaafEEvT3_20rocsparse_direction_NS_24const_host_device_scalarIT1_EES1_PKS1_PKT2_SA_S7_PKT4_PKT5_S5_PT6_21rocsparse_index_base_b.private_seg_size, 0
	.set _ZN9rocsparseL18bsrxmvn_4x4_kernelILj128ELj16EfiiaafEEvT3_20rocsparse_direction_NS_24const_host_device_scalarIT1_EES1_PKS1_PKT2_SA_S7_PKT4_PKT5_S5_PT6_21rocsparse_index_base_b.uses_vcc, 1
	.set _ZN9rocsparseL18bsrxmvn_4x4_kernelILj128ELj16EfiiaafEEvT3_20rocsparse_direction_NS_24const_host_device_scalarIT1_EES1_PKS1_PKT2_SA_S7_PKT4_PKT5_S5_PT6_21rocsparse_index_base_b.uses_flat_scratch, 0
	.set _ZN9rocsparseL18bsrxmvn_4x4_kernelILj128ELj16EfiiaafEEvT3_20rocsparse_direction_NS_24const_host_device_scalarIT1_EES1_PKS1_PKT2_SA_S7_PKT4_PKT5_S5_PT6_21rocsparse_index_base_b.has_dyn_sized_stack, 0
	.set _ZN9rocsparseL18bsrxmvn_4x4_kernelILj128ELj16EfiiaafEEvT3_20rocsparse_direction_NS_24const_host_device_scalarIT1_EES1_PKS1_PKT2_SA_S7_PKT4_PKT5_S5_PT6_21rocsparse_index_base_b.has_recursion, 0
	.set _ZN9rocsparseL18bsrxmvn_4x4_kernelILj128ELj16EfiiaafEEvT3_20rocsparse_direction_NS_24const_host_device_scalarIT1_EES1_PKS1_PKT2_SA_S7_PKT4_PKT5_S5_PT6_21rocsparse_index_base_b.has_indirect_call, 0
	.section	.AMDGPU.csdata,"",@progbits
; Kernel info:
; codeLenInByte = 4192
; TotalNumSgprs: 26
; NumVgprs: 38
; ScratchSize: 0
; MemoryBound: 0
; FloatMode: 240
; IeeeMode: 1
; LDSByteSize: 0 bytes/workgroup (compile time only)
; SGPRBlocks: 3
; VGPRBlocks: 9
; NumSGPRsForWavesPerEU: 26
; NumVGPRsForWavesPerEU: 38
; Occupancy: 6
; WaveLimiterHint : 1
; COMPUTE_PGM_RSRC2:SCRATCH_EN: 0
; COMPUTE_PGM_RSRC2:USER_SGPR: 6
; COMPUTE_PGM_RSRC2:TRAP_HANDLER: 0
; COMPUTE_PGM_RSRC2:TGID_X_EN: 1
; COMPUTE_PGM_RSRC2:TGID_Y_EN: 0
; COMPUTE_PGM_RSRC2:TGID_Z_EN: 0
; COMPUTE_PGM_RSRC2:TIDIG_COMP_CNT: 0
	.section	.text._ZN9rocsparseL18bsrxmvn_4x4_kernelILj128ELj32EfiiaafEEvT3_20rocsparse_direction_NS_24const_host_device_scalarIT1_EES1_PKS1_PKT2_SA_S7_PKT4_PKT5_S5_PT6_21rocsparse_index_base_b,"axG",@progbits,_ZN9rocsparseL18bsrxmvn_4x4_kernelILj128ELj32EfiiaafEEvT3_20rocsparse_direction_NS_24const_host_device_scalarIT1_EES1_PKS1_PKT2_SA_S7_PKT4_PKT5_S5_PT6_21rocsparse_index_base_b,comdat
	.globl	_ZN9rocsparseL18bsrxmvn_4x4_kernelILj128ELj32EfiiaafEEvT3_20rocsparse_direction_NS_24const_host_device_scalarIT1_EES1_PKS1_PKT2_SA_S7_PKT4_PKT5_S5_PT6_21rocsparse_index_base_b ; -- Begin function _ZN9rocsparseL18bsrxmvn_4x4_kernelILj128ELj32EfiiaafEEvT3_20rocsparse_direction_NS_24const_host_device_scalarIT1_EES1_PKS1_PKT2_SA_S7_PKT4_PKT5_S5_PT6_21rocsparse_index_base_b
	.p2align	8
	.type	_ZN9rocsparseL18bsrxmvn_4x4_kernelILj128ELj32EfiiaafEEvT3_20rocsparse_direction_NS_24const_host_device_scalarIT1_EES1_PKS1_PKT2_SA_S7_PKT4_PKT5_S5_PT6_21rocsparse_index_base_b,@function
_ZN9rocsparseL18bsrxmvn_4x4_kernelILj128ELj32EfiiaafEEvT3_20rocsparse_direction_NS_24const_host_device_scalarIT1_EES1_PKS1_PKT2_SA_S7_PKT4_PKT5_S5_PT6_21rocsparse_index_base_b: ; @_ZN9rocsparseL18bsrxmvn_4x4_kernelILj128ELj32EfiiaafEEvT3_20rocsparse_direction_NS_24const_host_device_scalarIT1_EES1_PKS1_PKT2_SA_S7_PKT4_PKT5_S5_PT6_21rocsparse_index_base_b
; %bb.0:
	s_load_dwordx2 s[20:21], s[4:5], 0x58
	s_load_dwordx2 s[18:19], s[4:5], 0x8
	;; [unrolled: 1-line block ×3, first 2 shown]
	s_waitcnt lgkmcnt(0)
	s_bitcmp1_b32 s21, 0
	s_cselect_b64 s[2:3], -1, 0
	s_xor_b64 s[0:1], s[2:3], -1
	s_and_b64 vcc, exec, s[2:3]
	s_cbranch_vccnz .LBB78_2
; %bb.1:
	s_load_dword s18, s[18:19], 0x0
.LBB78_2:
	s_andn2_b64 vcc, exec, s[0:1]
	s_cbranch_vccnz .LBB78_4
; %bb.3:
	s_load_dword s16, s[16:17], 0x0
.LBB78_4:
	s_waitcnt lgkmcnt(0)
	v_cmp_neq_f32_e64 s[0:1], s18, 0
	v_cmp_neq_f32_e64 s[2:3], s16, 1.0
	s_or_b64 s[0:1], s[0:1], s[2:3]
	s_andn2_b64 vcc, exec, s[0:1]
	s_cbranch_vccnz .LBB78_10
; %bb.5:
	s_load_dwordx2 s[8:9], s[4:5], 0x18
	s_load_dwordx2 s[0:1], s[4:5], 0x0
	v_lshrrev_b32_e32 v1, 5, v0
	v_lshl_or_b32 v4, s6, 2, v1
	s_mov_b64 s[2:3], 0
	s_waitcnt lgkmcnt(0)
	s_cmp_lg_u64 s[8:9], 0
	s_cbranch_scc0 .LBB78_11
; %bb.6:
	s_load_dword s6, s[4:5], 0x10
                                        ; implicit-def: $vgpr1
	s_waitcnt lgkmcnt(0)
	v_cmp_gt_i32_e32 vcc, s6, v4
	s_and_saveexec_b64 s[6:7], vcc
	s_xor_b64 s[6:7], exec, s[6:7]
	s_cbranch_execz .LBB78_8
; %bb.7:
	v_ashrrev_i32_e32 v5, 31, v4
	v_lshlrev_b64 v[1:2], 2, v[4:5]
	v_mov_b32_e32 v3, s9
	v_add_co_u32_e32 v1, vcc, s8, v1
	v_addc_co_u32_e32 v2, vcc, v3, v2, vcc
	global_load_dword v1, v[1:2], off
	s_mov_b64 s[2:3], exec
	s_waitcnt vmcnt(0)
	v_subrev_u32_e32 v1, s20, v1
.LBB78_8:
	s_or_b64 exec, exec, s[6:7]
	s_branch .LBB78_12
.LBB78_9:
	v_cmp_gt_i32_e32 vcc, s0, v4
	s_andn2_b64 s[2:3], s[2:3], exec
	s_and_b64 s[6:7], vcc, exec
	s_or_b64 s[2:3], s[2:3], s[6:7]
	s_and_saveexec_b64 s[6:7], s[2:3]
	s_cbranch_execnz .LBB78_13
.LBB78_10:
	s_endpgm
.LBB78_11:
                                        ; implicit-def: $vgpr1
	s_cbranch_execnz .LBB78_9
.LBB78_12:
	v_mov_b32_e32 v4, v1
	s_and_saveexec_b64 s[6:7], s[2:3]
	s_cbranch_execz .LBB78_10
.LBB78_13:
	s_load_dwordx8 s[8:15], s[4:5], 0x20
	v_ashrrev_i32_e32 v5, 31, v4
	v_lshlrev_b64 v[1:2], 2, v[4:5]
	v_and_b32_e32 v9, 31, v0
	s_load_dwordx2 s[6:7], s[4:5], 0x40
	s_waitcnt lgkmcnt(0)
	v_mov_b32_e32 v3, s9
	v_add_co_u32_e32 v5, vcc, s8, v1
	v_addc_co_u32_e32 v6, vcc, v3, v2, vcc
	v_add_co_u32_e32 v3, vcc, 4, v5
	global_load_dword v15, v[5:6], off
	v_addc_co_u32_e32 v5, vcc, 0, v6, vcc
	v_mov_b32_e32 v6, s11
	v_add_co_u32_e32 v1, vcc, s10, v1
	s_cmp_eq_u64 s[10:11], 0
	v_addc_co_u32_e32 v2, vcc, v6, v2, vcc
	s_cselect_b64 vcc, -1, 0
	v_cndmask_b32_e32 v2, v2, v5, vcc
	v_cndmask_b32_e32 v1, v1, v3, vcc
	global_load_dword v1, v[1:2], off
	v_mov_b32_e32 v5, s15
	s_cmp_eq_u32 s1, 1
	s_waitcnt vmcnt(1)
	v_subrev_u32_e32 v0, s20, v15
	v_add_u32_e32 v0, v0, v9
	s_waitcnt vmcnt(0)
	v_subrev_u32_e32 v11, s20, v1
	v_ashrrev_i32_e32 v1, 31, v0
	v_lshlrev_b64 v[2:3], 4, v[0:1]
	v_cmp_lt_i32_e64 s[0:1], v0, v11
	v_add_co_u32_e32 v2, vcc, s14, v2
	v_addc_co_u32_e32 v3, vcc, v5, v3, vcc
	s_cbranch_scc1 .LBB78_25
; %bb.14:
	v_mov_b32_e32 v10, 0
	v_mov_b32_e32 v12, 0
	;; [unrolled: 1-line block ×4, first 2 shown]
	s_and_saveexec_b64 s[8:9], s[0:1]
	s_cbranch_execz .LBB78_24
; %bb.15:
	v_add_u32_e32 v1, v15, v9
	v_subrev_u32_e32 v1, s20, v1
	v_add_u32_e32 v1, 32, v1
	v_max_i32_e32 v1, v1, v11
	v_not_b32_e32 v5, v15
	v_add3_u32 v1, s20, v1, v5
	v_sub_u32_e32 v1, v1, v9
	s_movk_i32 s2, 0x60
	v_and_b32_e32 v5, 0x60, v1
	v_mov_b32_e32 v8, v3
	v_cmp_ne_u32_e32 vcc, s2, v5
	v_mov_b32_e32 v14, 0
	v_mov_b32_e32 v13, 0
	;; [unrolled: 1-line block ×6, first 2 shown]
	s_and_saveexec_b64 s[10:11], vcc
	s_cbranch_execz .LBB78_19
; %bb.16:
	v_lshrrev_b32_e32 v5, 5, v1
	v_add_u32_e32 v5, 1, v5
	v_and_b32_e32 v5, 3, v5
	v_mov_b32_e32 v8, v3
	v_sub_u32_e32 v16, 0, v5
	v_mov_b32_e32 v10, 0
	s_mov_b64 s[14:15], 0
	v_mov_b32_e32 v17, s13
	v_mov_b32_e32 v18, s7
	;; [unrolled: 1-line block ×7, first 2 shown]
.LBB78_17:                              ; =>This Inner Loop Header: Depth=1
	v_ashrrev_i32_e32 v6, 31, v5
	v_lshlrev_b64 v[19:20], 2, v[5:6]
	v_add_co_u32_e64 v16, s[2:3], 1, v16
	v_add_co_u32_e32 v23, vcc, s12, v19
	v_addc_co_u32_e32 v24, vcc, v17, v20, vcc
	global_load_dword v6, v[23:24], off
	global_load_dwordx4 v[19:22], v[7:8], off
	v_add_u32_e32 v5, 32, v5
	s_or_b64 s[14:15], s[2:3], s[14:15]
	s_waitcnt vmcnt(1)
	v_subrev_u32_e32 v6, s20, v6
	v_lshlrev_b32_e32 v6, 2, v6
	v_ashrrev_i32_e32 v24, 31, v6
	v_add_co_u32_e32 v23, vcc, s6, v6
	v_addc_co_u32_e32 v24, vcc, v18, v24, vcc
	global_load_dword v6, v[23:24], off
	s_waitcnt vmcnt(1)
	v_cvt_f32_i32_sdwa v23, sext(v19) dst_sel:DWORD dst_unused:UNUSED_PAD src0_sel:BYTE_0
	v_cvt_f32_i32_sdwa v26, sext(v20) dst_sel:DWORD dst_unused:UNUSED_PAD src0_sel:BYTE_0
	;; [unrolled: 1-line block ×4, first 2 shown]
	v_cvt_f32_i32_sdwa v24, sext(v19) dst_sel:DWORD dst_unused:UNUSED_PAD src0_sel:BYTE_1
	v_cvt_f32_i32_sdwa v27, sext(v20) dst_sel:DWORD dst_unused:UNUSED_PAD src0_sel:BYTE_1
	;; [unrolled: 1-line block ×4, first 2 shown]
	v_cvt_f32_i32_sdwa v25, sext(v19) dst_sel:DWORD dst_unused:UNUSED_PAD src0_sel:BYTE_2
	v_cvt_f32_i32_sdwa v28, sext(v20) dst_sel:DWORD dst_unused:UNUSED_PAD src0_sel:BYTE_2
	v_cvt_f32_i32_sdwa v31, sext(v21) dst_sel:DWORD dst_unused:UNUSED_PAD src0_sel:BYTE_2
	v_cvt_f32_i32_sdwa v34, sext(v22) dst_sel:DWORD dst_unused:UNUSED_PAD src0_sel:BYTE_2
	v_cvt_f32_i32_sdwa v19, sext(v19) dst_sel:DWORD dst_unused:UNUSED_PAD src0_sel:BYTE_3
	v_cvt_f32_i32_sdwa v20, sext(v20) dst_sel:DWORD dst_unused:UNUSED_PAD src0_sel:BYTE_3
	;; [unrolled: 1-line block ×4, first 2 shown]
	v_add_co_u32_e32 v7, vcc, 0x200, v7
	v_addc_co_u32_e32 v8, vcc, 0, v8, vcc
	s_waitcnt vmcnt(0)
	v_cvt_f32_i32_sdwa v35, sext(v6) dst_sel:DWORD dst_unused:UNUSED_PAD src0_sel:BYTE_0
	v_cvt_f32_i32_sdwa v36, sext(v6) dst_sel:DWORD dst_unused:UNUSED_PAD src0_sel:BYTE_1
	v_cvt_f32_i32_sdwa v37, sext(v6) dst_sel:DWORD dst_unused:UNUSED_PAD src0_sel:BYTE_2
	v_cvt_f32_i32_sdwa v6, sext(v6) dst_sel:DWORD dst_unused:UNUSED_PAD src0_sel:BYTE_3
	v_fmac_f32_e32 v14, v23, v35
	v_fmac_f32_e32 v13, v26, v35
	;; [unrolled: 1-line block ×16, first 2 shown]
	s_andn2_b64 exec, exec, s[14:15]
	s_cbranch_execnz .LBB78_17
; %bb.18:
	s_or_b64 exec, exec, s[14:15]
.LBB78_19:
	s_or_b64 exec, exec, s[10:11]
	s_movk_i32 s2, 0x5f
	v_cmp_lt_u32_e32 vcc, s2, v1
	s_and_saveexec_b64 s[2:3], vcc
	s_cbranch_execz .LBB78_23
; %bb.20:
	s_mov_b64 s[10:11], 0
	v_mov_b32_e32 v1, s13
	v_mov_b32_e32 v16, s7
.LBB78_21:                              ; =>This Inner Loop Header: Depth=1
	v_ashrrev_i32_e32 v6, 31, v5
	v_lshlrev_b64 v[17:18], 2, v[5:6]
	v_add_u32_e32 v5, 0x80, v5
	v_add_co_u32_e32 v21, vcc, s12, v17
	v_addc_co_u32_e32 v22, vcc, v1, v18, vcc
	global_load_dword v6, v[21:22], off
	global_load_dwordx4 v[17:20], v[7:8], off
	s_waitcnt vmcnt(1)
	v_subrev_u32_e32 v6, s20, v6
	v_lshlrev_b32_e32 v6, 2, v6
	v_ashrrev_i32_e32 v24, 31, v6
	v_add_co_u32_e32 v23, vcc, s6, v6
	v_addc_co_u32_e32 v24, vcc, v16, v24, vcc
	global_load_dword v6, v[23:24], off
	s_waitcnt vmcnt(1)
	v_cvt_f32_i32_sdwa v25, sext(v17) dst_sel:DWORD dst_unused:UNUSED_PAD src0_sel:BYTE_0
	v_cvt_f32_i32_sdwa v24, sext(v17) dst_sel:DWORD dst_unused:UNUSED_PAD src0_sel:BYTE_1
	s_waitcnt vmcnt(0)
	v_cvt_f32_i32_sdwa v23, sext(v6) dst_sel:DWORD dst_unused:UNUSED_PAD src0_sel:BYTE_0
	v_cvt_f32_i32_sdwa v26, sext(v6) dst_sel:DWORD dst_unused:UNUSED_PAD src0_sel:BYTE_2
	v_fmac_f32_e32 v14, v25, v23
	v_cvt_f32_i32_sdwa v25, sext(v6) dst_sel:DWORD dst_unused:UNUSED_PAD src0_sel:BYTE_1
	v_cvt_f32_i32_sdwa v6, sext(v6) dst_sel:DWORD dst_unused:UNUSED_PAD src0_sel:BYTE_3
	v_fmac_f32_e32 v14, v24, v25
	v_cvt_f32_i32_sdwa v24, sext(v17) dst_sel:DWORD dst_unused:UNUSED_PAD src0_sel:BYTE_2
	v_cvt_f32_i32_sdwa v17, sext(v17) dst_sel:DWORD dst_unused:UNUSED_PAD src0_sel:BYTE_3
	v_fmac_f32_e32 v14, v24, v26
	v_fmac_f32_e32 v14, v17, v6
	v_cvt_f32_i32_sdwa v17, sext(v18) dst_sel:DWORD dst_unused:UNUSED_PAD src0_sel:BYTE_0
	v_fmac_f32_e32 v13, v17, v23
	v_cvt_f32_i32_sdwa v17, sext(v18) dst_sel:DWORD dst_unused:UNUSED_PAD src0_sel:BYTE_1
	v_fmac_f32_e32 v13, v17, v25
	v_cvt_f32_i32_sdwa v17, sext(v18) dst_sel:DWORD dst_unused:UNUSED_PAD src0_sel:BYTE_2
	v_fmac_f32_e32 v13, v17, v26
	v_cvt_f32_i32_sdwa v17, sext(v18) dst_sel:DWORD dst_unused:UNUSED_PAD src0_sel:BYTE_3
	v_fmac_f32_e32 v13, v17, v6
	v_cvt_f32_i32_sdwa v17, sext(v19) dst_sel:DWORD dst_unused:UNUSED_PAD src0_sel:BYTE_0
	v_fmac_f32_e32 v12, v17, v23
	v_cvt_f32_i32_sdwa v17, sext(v19) dst_sel:DWORD dst_unused:UNUSED_PAD src0_sel:BYTE_1
	v_fmac_f32_e32 v12, v17, v25
	v_cvt_f32_i32_sdwa v17, sext(v19) dst_sel:DWORD dst_unused:UNUSED_PAD src0_sel:BYTE_2
	v_fmac_f32_e32 v12, v17, v26
	v_cvt_f32_i32_sdwa v17, sext(v19) dst_sel:DWORD dst_unused:UNUSED_PAD src0_sel:BYTE_3
	v_fmac_f32_e32 v12, v17, v6
	v_cvt_f32_i32_sdwa v17, sext(v20) dst_sel:DWORD dst_unused:UNUSED_PAD src0_sel:BYTE_0
	v_fmac_f32_e32 v10, v17, v23
	v_cvt_f32_i32_sdwa v17, sext(v20) dst_sel:DWORD dst_unused:UNUSED_PAD src0_sel:BYTE_1
	v_fmac_f32_e32 v10, v17, v25
	v_cvt_f32_i32_sdwa v17, sext(v20) dst_sel:DWORD dst_unused:UNUSED_PAD src0_sel:BYTE_2
	v_fmac_f32_e32 v10, v17, v26
	v_cvt_f32_i32_sdwa v17, sext(v20) dst_sel:DWORD dst_unused:UNUSED_PAD src0_sel:BYTE_3
	v_fmac_f32_e32 v10, v17, v6
	global_load_dword v6, v[21:22], off offset:128
	global_load_dwordx4 v[17:20], v[7:8], off offset:512
	s_waitcnt vmcnt(1)
	v_subrev_u32_e32 v6, s20, v6
	v_lshlrev_b32_e32 v6, 2, v6
	v_ashrrev_i32_e32 v24, 31, v6
	v_add_co_u32_e32 v23, vcc, s6, v6
	v_addc_co_u32_e32 v24, vcc, v16, v24, vcc
	global_load_dword v6, v[23:24], off
	s_waitcnt vmcnt(1)
	v_cvt_f32_i32_sdwa v25, sext(v17) dst_sel:DWORD dst_unused:UNUSED_PAD src0_sel:BYTE_0
	v_cvt_f32_i32_sdwa v24, sext(v17) dst_sel:DWORD dst_unused:UNUSED_PAD src0_sel:BYTE_1
	s_waitcnt vmcnt(0)
	v_cvt_f32_i32_sdwa v23, sext(v6) dst_sel:DWORD dst_unused:UNUSED_PAD src0_sel:BYTE_0
	v_cvt_f32_i32_sdwa v26, sext(v6) dst_sel:DWORD dst_unused:UNUSED_PAD src0_sel:BYTE_2
	v_fmac_f32_e32 v14, v25, v23
	v_cvt_f32_i32_sdwa v25, sext(v6) dst_sel:DWORD dst_unused:UNUSED_PAD src0_sel:BYTE_1
	v_cvt_f32_i32_sdwa v6, sext(v6) dst_sel:DWORD dst_unused:UNUSED_PAD src0_sel:BYTE_3
	v_fmac_f32_e32 v14, v24, v25
	v_cvt_f32_i32_sdwa v24, sext(v17) dst_sel:DWORD dst_unused:UNUSED_PAD src0_sel:BYTE_2
	v_cvt_f32_i32_sdwa v17, sext(v17) dst_sel:DWORD dst_unused:UNUSED_PAD src0_sel:BYTE_3
	v_fmac_f32_e32 v14, v24, v26
	v_fmac_f32_e32 v14, v17, v6
	v_cvt_f32_i32_sdwa v17, sext(v18) dst_sel:DWORD dst_unused:UNUSED_PAD src0_sel:BYTE_0
	v_fmac_f32_e32 v13, v17, v23
	v_cvt_f32_i32_sdwa v17, sext(v18) dst_sel:DWORD dst_unused:UNUSED_PAD src0_sel:BYTE_1
	v_fmac_f32_e32 v13, v17, v25
	v_cvt_f32_i32_sdwa v17, sext(v18) dst_sel:DWORD dst_unused:UNUSED_PAD src0_sel:BYTE_2
	v_fmac_f32_e32 v13, v17, v26
	v_cvt_f32_i32_sdwa v17, sext(v18) dst_sel:DWORD dst_unused:UNUSED_PAD src0_sel:BYTE_3
	v_fmac_f32_e32 v13, v17, v6
	v_cvt_f32_i32_sdwa v17, sext(v19) dst_sel:DWORD dst_unused:UNUSED_PAD src0_sel:BYTE_0
	v_fmac_f32_e32 v12, v17, v23
	v_cvt_f32_i32_sdwa v17, sext(v19) dst_sel:DWORD dst_unused:UNUSED_PAD src0_sel:BYTE_1
	v_fmac_f32_e32 v12, v17, v25
	v_cvt_f32_i32_sdwa v17, sext(v19) dst_sel:DWORD dst_unused:UNUSED_PAD src0_sel:BYTE_2
	v_fmac_f32_e32 v12, v17, v26
	v_cvt_f32_i32_sdwa v17, sext(v19) dst_sel:DWORD dst_unused:UNUSED_PAD src0_sel:BYTE_3
	v_fmac_f32_e32 v12, v17, v6
	v_cvt_f32_i32_sdwa v17, sext(v20) dst_sel:DWORD dst_unused:UNUSED_PAD src0_sel:BYTE_0
	v_fmac_f32_e32 v10, v17, v23
	v_cvt_f32_i32_sdwa v17, sext(v20) dst_sel:DWORD dst_unused:UNUSED_PAD src0_sel:BYTE_1
	v_fmac_f32_e32 v10, v17, v25
	v_cvt_f32_i32_sdwa v17, sext(v20) dst_sel:DWORD dst_unused:UNUSED_PAD src0_sel:BYTE_2
	v_fmac_f32_e32 v10, v17, v26
	v_cvt_f32_i32_sdwa v17, sext(v20) dst_sel:DWORD dst_unused:UNUSED_PAD src0_sel:BYTE_3
	v_fmac_f32_e32 v10, v17, v6
	global_load_dword v6, v[21:22], off offset:256
	global_load_dwordx4 v[17:20], v[7:8], off offset:1024
	;; [unrolled: 47-line block ×3, first 2 shown]
	s_waitcnt vmcnt(1)
	v_subrev_u32_e32 v6, s20, v6
	v_lshlrev_b32_e32 v6, 2, v6
	v_ashrrev_i32_e32 v22, 31, v6
	v_add_co_u32_e32 v21, vcc, s6, v6
	v_addc_co_u32_e32 v22, vcc, v16, v22, vcc
	global_load_dword v6, v[21:22], off
	s_waitcnt vmcnt(1)
	v_cvt_f32_i32_sdwa v23, sext(v17) dst_sel:DWORD dst_unused:UNUSED_PAD src0_sel:BYTE_0
	v_cvt_f32_i32_sdwa v22, sext(v17) dst_sel:DWORD dst_unused:UNUSED_PAD src0_sel:BYTE_1
	v_add_co_u32_e32 v7, vcc, 0x800, v7
	v_addc_co_u32_e32 v8, vcc, 0, v8, vcc
	v_cmp_ge_i32_e32 vcc, v5, v11
	s_or_b64 s[10:11], vcc, s[10:11]
	s_waitcnt vmcnt(0)
	v_cvt_f32_i32_sdwa v21, sext(v6) dst_sel:DWORD dst_unused:UNUSED_PAD src0_sel:BYTE_0
	v_cvt_f32_i32_sdwa v24, sext(v6) dst_sel:DWORD dst_unused:UNUSED_PAD src0_sel:BYTE_2
	v_fmac_f32_e32 v14, v23, v21
	v_cvt_f32_i32_sdwa v23, sext(v6) dst_sel:DWORD dst_unused:UNUSED_PAD src0_sel:BYTE_1
	v_cvt_f32_i32_sdwa v6, sext(v6) dst_sel:DWORD dst_unused:UNUSED_PAD src0_sel:BYTE_3
	v_fmac_f32_e32 v14, v22, v23
	v_cvt_f32_i32_sdwa v22, sext(v17) dst_sel:DWORD dst_unused:UNUSED_PAD src0_sel:BYTE_2
	v_cvt_f32_i32_sdwa v17, sext(v17) dst_sel:DWORD dst_unused:UNUSED_PAD src0_sel:BYTE_3
	v_fmac_f32_e32 v14, v22, v24
	v_fmac_f32_e32 v14, v17, v6
	v_cvt_f32_i32_sdwa v17, sext(v18) dst_sel:DWORD dst_unused:UNUSED_PAD src0_sel:BYTE_0
	v_fmac_f32_e32 v13, v17, v21
	v_cvt_f32_i32_sdwa v17, sext(v18) dst_sel:DWORD dst_unused:UNUSED_PAD src0_sel:BYTE_1
	v_fmac_f32_e32 v13, v17, v23
	v_cvt_f32_i32_sdwa v17, sext(v18) dst_sel:DWORD dst_unused:UNUSED_PAD src0_sel:BYTE_2
	v_fmac_f32_e32 v13, v17, v24
	v_cvt_f32_i32_sdwa v17, sext(v18) dst_sel:DWORD dst_unused:UNUSED_PAD src0_sel:BYTE_3
	v_fmac_f32_e32 v13, v17, v6
	v_cvt_f32_i32_sdwa v17, sext(v19) dst_sel:DWORD dst_unused:UNUSED_PAD src0_sel:BYTE_0
	v_fmac_f32_e32 v12, v17, v21
	v_cvt_f32_i32_sdwa v17, sext(v19) dst_sel:DWORD dst_unused:UNUSED_PAD src0_sel:BYTE_1
	v_fmac_f32_e32 v12, v17, v23
	v_cvt_f32_i32_sdwa v17, sext(v19) dst_sel:DWORD dst_unused:UNUSED_PAD src0_sel:BYTE_2
	v_fmac_f32_e32 v12, v17, v24
	v_cvt_f32_i32_sdwa v17, sext(v19) dst_sel:DWORD dst_unused:UNUSED_PAD src0_sel:BYTE_3
	;; [unrolled: 8-line block ×3, first 2 shown]
	v_fmac_f32_e32 v10, v17, v6
	s_andn2_b64 exec, exec, s[10:11]
	s_cbranch_execnz .LBB78_21
; %bb.22:
	s_or_b64 exec, exec, s[10:11]
.LBB78_23:
	s_or_b64 exec, exec, s[2:3]
.LBB78_24:
	s_or_b64 exec, exec, s[8:9]
	s_cbranch_execz .LBB78_26
	s_branch .LBB78_37
.LBB78_25:
                                        ; implicit-def: $vgpr10
                                        ; implicit-def: $vgpr12
                                        ; implicit-def: $vgpr13
                                        ; implicit-def: $vgpr14
.LBB78_26:
	v_mov_b32_e32 v10, 0
	v_mov_b32_e32 v12, 0
	;; [unrolled: 1-line block ×4, first 2 shown]
	s_and_saveexec_b64 s[2:3], s[0:1]
	s_cbranch_execz .LBB78_36
; %bb.27:
	v_add_u32_e32 v1, v15, v9
	v_subrev_u32_e32 v1, s20, v1
	v_add_u32_e32 v1, 32, v1
	v_max_i32_e32 v1, v1, v11
	v_not_b32_e32 v5, v15
	v_add3_u32 v1, s20, v1, v5
	v_sub_u32_e32 v5, v1, v9
	s_movk_i32 s0, 0x60
	v_and_b32_e32 v1, 0x60, v5
	v_cmp_ne_u32_e32 vcc, s0, v1
	v_mov_b32_e32 v14, 0
	v_mov_b32_e32 v13, 0
	v_mov_b32_e32 v12, 0
	v_mov_b32_e32 v10, 0
	s_and_saveexec_b64 s[8:9], vcc
	s_cbranch_execz .LBB78_31
; %bb.28:
	v_lshrrev_b32_e32 v1, 5, v5
	v_add_u32_e32 v1, 1, v1
	v_and_b32_e32 v1, 3, v1
	v_sub_u32_e32 v6, 0, v1
	v_mov_b32_e32 v10, 0
	s_mov_b64 s[10:11], 0
	v_mov_b32_e32 v7, s13
	v_mov_b32_e32 v8, s7
	;; [unrolled: 1-line block ×5, first 2 shown]
.LBB78_29:                              ; =>This Inner Loop Header: Depth=1
	v_ashrrev_i32_e32 v1, 31, v0
	v_lshlrev_b64 v[15:16], 2, v[0:1]
	v_add_co_u32_e64 v6, s[0:1], 1, v6
	v_add_co_u32_e32 v19, vcc, s12, v15
	v_addc_co_u32_e32 v20, vcc, v7, v16, vcc
	global_load_dword v1, v[19:20], off
	global_load_dwordx4 v[15:18], v[2:3], off
	v_add_u32_e32 v0, 32, v0
	s_or_b64 s[10:11], s[0:1], s[10:11]
	s_waitcnt vmcnt(1)
	v_subrev_u32_e32 v1, s20, v1
	v_lshlrev_b32_e32 v1, 2, v1
	v_ashrrev_i32_e32 v20, 31, v1
	v_add_co_u32_e32 v19, vcc, s6, v1
	v_addc_co_u32_e32 v20, vcc, v8, v20, vcc
	global_load_dword v1, v[19:20], off
	s_waitcnt vmcnt(1)
	v_cvt_f32_i32_sdwa v19, sext(v15) dst_sel:DWORD dst_unused:UNUSED_PAD src0_sel:BYTE_0
	v_cvt_f32_i32_sdwa v20, sext(v15) dst_sel:DWORD dst_unused:UNUSED_PAD src0_sel:BYTE_1
	v_cvt_f32_i32_sdwa v21, sext(v15) dst_sel:DWORD dst_unused:UNUSED_PAD src0_sel:BYTE_2
	v_cvt_f32_i32_sdwa v15, sext(v15) dst_sel:DWORD dst_unused:UNUSED_PAD src0_sel:BYTE_3
	v_cvt_f32_i32_sdwa v22, sext(v16) dst_sel:DWORD dst_unused:UNUSED_PAD src0_sel:BYTE_0
	v_cvt_f32_i32_sdwa v23, sext(v16) dst_sel:DWORD dst_unused:UNUSED_PAD src0_sel:BYTE_1
	v_cvt_f32_i32_sdwa v24, sext(v16) dst_sel:DWORD dst_unused:UNUSED_PAD src0_sel:BYTE_2
	v_cvt_f32_i32_sdwa v16, sext(v16) dst_sel:DWORD dst_unused:UNUSED_PAD src0_sel:BYTE_3
	;; [unrolled: 4-line block ×4, first 2 shown]
	v_add_co_u32_e32 v2, vcc, 0x200, v2
	v_addc_co_u32_e32 v3, vcc, 0, v3, vcc
	s_waitcnt vmcnt(0)
	v_cvt_f32_i32_sdwa v31, sext(v1) dst_sel:DWORD dst_unused:UNUSED_PAD src0_sel:BYTE_0
	v_cvt_f32_i32_sdwa v32, sext(v1) dst_sel:DWORD dst_unused:UNUSED_PAD src0_sel:BYTE_1
	v_cvt_f32_i32_sdwa v33, sext(v1) dst_sel:DWORD dst_unused:UNUSED_PAD src0_sel:BYTE_2
	v_cvt_f32_i32_sdwa v1, sext(v1) dst_sel:DWORD dst_unused:UNUSED_PAD src0_sel:BYTE_3
	v_fmac_f32_e32 v14, v19, v31
	v_fmac_f32_e32 v13, v20, v31
	;; [unrolled: 1-line block ×16, first 2 shown]
	s_andn2_b64 exec, exec, s[10:11]
	s_cbranch_execnz .LBB78_29
; %bb.30:
	s_or_b64 exec, exec, s[10:11]
.LBB78_31:
	s_or_b64 exec, exec, s[8:9]
	s_movk_i32 s0, 0x5f
	v_cmp_lt_u32_e32 vcc, s0, v5
	s_and_saveexec_b64 s[0:1], vcc
	s_cbranch_execz .LBB78_35
; %bb.32:
	s_mov_b64 s[8:9], 0
	v_mov_b32_e32 v5, s13
	v_mov_b32_e32 v6, s7
.LBB78_33:                              ; =>This Inner Loop Header: Depth=1
	v_ashrrev_i32_e32 v1, 31, v0
	v_lshlrev_b64 v[7:8], 2, v[0:1]
	global_load_dwordx4 v[15:18], v[2:3], off
	v_add_co_u32_e32 v7, vcc, s12, v7
	v_addc_co_u32_e32 v8, vcc, v5, v8, vcc
	global_load_dword v1, v[7:8], off
	v_add_u32_e32 v0, 0x80, v0
	s_waitcnt vmcnt(1)
	v_cvt_f32_i32_sdwa v21, sext(v15) dst_sel:DWORD dst_unused:UNUSED_PAD src0_sel:BYTE_0
	s_waitcnt vmcnt(0)
	v_subrev_u32_e32 v1, s20, v1
	v_lshlrev_b32_e32 v1, 2, v1
	v_ashrrev_i32_e32 v20, 31, v1
	v_add_co_u32_e32 v19, vcc, s6, v1
	v_addc_co_u32_e32 v20, vcc, v6, v20, vcc
	global_load_dword v1, v[19:20], off
	v_cvt_f32_i32_sdwa v20, sext(v15) dst_sel:DWORD dst_unused:UNUSED_PAD src0_sel:BYTE_1
	s_waitcnt vmcnt(0)
	v_cvt_f32_i32_sdwa v19, sext(v1) dst_sel:DWORD dst_unused:UNUSED_PAD src0_sel:BYTE_0
	v_fmac_f32_e32 v13, v20, v19
	v_cvt_f32_i32_sdwa v20, sext(v15) dst_sel:DWORD dst_unused:UNUSED_PAD src0_sel:BYTE_2
	v_cvt_f32_i32_sdwa v15, sext(v15) dst_sel:DWORD dst_unused:UNUSED_PAD src0_sel:BYTE_3
	v_fmac_f32_e32 v14, v21, v19
	v_fmac_f32_e32 v12, v20, v19
	v_fmac_f32_e32 v10, v15, v19
	v_cvt_f32_i32_sdwa v15, sext(v16) dst_sel:DWORD dst_unused:UNUSED_PAD src0_sel:BYTE_0
	v_cvt_f32_i32_sdwa v19, sext(v1) dst_sel:DWORD dst_unused:UNUSED_PAD src0_sel:BYTE_1
	v_fmac_f32_e32 v14, v15, v19
	v_cvt_f32_i32_sdwa v15, sext(v16) dst_sel:DWORD dst_unused:UNUSED_PAD src0_sel:BYTE_1
	v_fmac_f32_e32 v13, v15, v19
	v_cvt_f32_i32_sdwa v15, sext(v16) dst_sel:DWORD dst_unused:UNUSED_PAD src0_sel:BYTE_2
	v_fmac_f32_e32 v12, v15, v19
	v_cvt_f32_i32_sdwa v15, sext(v16) dst_sel:DWORD dst_unused:UNUSED_PAD src0_sel:BYTE_3
	v_cvt_f32_i32_sdwa v16, sext(v1) dst_sel:DWORD dst_unused:UNUSED_PAD src0_sel:BYTE_2
	v_cvt_f32_i32_sdwa v1, sext(v1) dst_sel:DWORD dst_unused:UNUSED_PAD src0_sel:BYTE_3
	v_fmac_f32_e32 v10, v15, v19
	v_cvt_f32_i32_sdwa v15, sext(v17) dst_sel:DWORD dst_unused:UNUSED_PAD src0_sel:BYTE_0
	v_fmac_f32_e32 v14, v15, v16
	v_cvt_f32_i32_sdwa v15, sext(v17) dst_sel:DWORD dst_unused:UNUSED_PAD src0_sel:BYTE_1
	v_fmac_f32_e32 v13, v15, v16
	v_cvt_f32_i32_sdwa v15, sext(v17) dst_sel:DWORD dst_unused:UNUSED_PAD src0_sel:BYTE_2
	v_fmac_f32_e32 v12, v15, v16
	v_cvt_f32_i32_sdwa v15, sext(v17) dst_sel:DWORD dst_unused:UNUSED_PAD src0_sel:BYTE_3
	v_fmac_f32_e32 v10, v15, v16
	v_cvt_f32_i32_sdwa v15, sext(v18) dst_sel:DWORD dst_unused:UNUSED_PAD src0_sel:BYTE_0
	v_fmac_f32_e32 v14, v15, v1
	v_cvt_f32_i32_sdwa v15, sext(v18) dst_sel:DWORD dst_unused:UNUSED_PAD src0_sel:BYTE_1
	v_fmac_f32_e32 v13, v15, v1
	v_cvt_f32_i32_sdwa v15, sext(v18) dst_sel:DWORD dst_unused:UNUSED_PAD src0_sel:BYTE_2
	v_fmac_f32_e32 v12, v15, v1
	v_cvt_f32_i32_sdwa v15, sext(v18) dst_sel:DWORD dst_unused:UNUSED_PAD src0_sel:BYTE_3
	v_fmac_f32_e32 v10, v15, v1
	global_load_dword v1, v[7:8], off offset:128
	global_load_dwordx4 v[15:18], v[2:3], off offset:512
	s_waitcnt vmcnt(1)
	v_subrev_u32_e32 v1, s20, v1
	v_lshlrev_b32_e32 v1, 2, v1
	v_ashrrev_i32_e32 v20, 31, v1
	v_add_co_u32_e32 v19, vcc, s6, v1
	v_addc_co_u32_e32 v20, vcc, v6, v20, vcc
	global_load_dword v1, v[19:20], off
	s_waitcnt vmcnt(1)
	v_cvt_f32_i32_sdwa v20, sext(v15) dst_sel:DWORD dst_unused:UNUSED_PAD src0_sel:BYTE_1
	v_cvt_f32_i32_sdwa v21, sext(v15) dst_sel:DWORD dst_unused:UNUSED_PAD src0_sel:BYTE_0
	s_waitcnt vmcnt(0)
	v_cvt_f32_i32_sdwa v19, sext(v1) dst_sel:DWORD dst_unused:UNUSED_PAD src0_sel:BYTE_0
	v_fmac_f32_e32 v13, v20, v19
	v_cvt_f32_i32_sdwa v20, sext(v15) dst_sel:DWORD dst_unused:UNUSED_PAD src0_sel:BYTE_2
	v_cvt_f32_i32_sdwa v15, sext(v15) dst_sel:DWORD dst_unused:UNUSED_PAD src0_sel:BYTE_3
	v_fmac_f32_e32 v14, v21, v19
	v_fmac_f32_e32 v12, v20, v19
	v_fmac_f32_e32 v10, v15, v19
	v_cvt_f32_i32_sdwa v15, sext(v16) dst_sel:DWORD dst_unused:UNUSED_PAD src0_sel:BYTE_0
	v_cvt_f32_i32_sdwa v19, sext(v1) dst_sel:DWORD dst_unused:UNUSED_PAD src0_sel:BYTE_1
	v_fmac_f32_e32 v14, v15, v19
	v_cvt_f32_i32_sdwa v15, sext(v16) dst_sel:DWORD dst_unused:UNUSED_PAD src0_sel:BYTE_1
	v_fmac_f32_e32 v13, v15, v19
	v_cvt_f32_i32_sdwa v15, sext(v16) dst_sel:DWORD dst_unused:UNUSED_PAD src0_sel:BYTE_2
	v_fmac_f32_e32 v12, v15, v19
	v_cvt_f32_i32_sdwa v15, sext(v16) dst_sel:DWORD dst_unused:UNUSED_PAD src0_sel:BYTE_3
	v_cvt_f32_i32_sdwa v16, sext(v1) dst_sel:DWORD dst_unused:UNUSED_PAD src0_sel:BYTE_2
	v_cvt_f32_i32_sdwa v1, sext(v1) dst_sel:DWORD dst_unused:UNUSED_PAD src0_sel:BYTE_3
	v_fmac_f32_e32 v10, v15, v19
	v_cvt_f32_i32_sdwa v15, sext(v17) dst_sel:DWORD dst_unused:UNUSED_PAD src0_sel:BYTE_0
	v_fmac_f32_e32 v14, v15, v16
	v_cvt_f32_i32_sdwa v15, sext(v17) dst_sel:DWORD dst_unused:UNUSED_PAD src0_sel:BYTE_1
	v_fmac_f32_e32 v13, v15, v16
	v_cvt_f32_i32_sdwa v15, sext(v17) dst_sel:DWORD dst_unused:UNUSED_PAD src0_sel:BYTE_2
	v_fmac_f32_e32 v12, v15, v16
	v_cvt_f32_i32_sdwa v15, sext(v17) dst_sel:DWORD dst_unused:UNUSED_PAD src0_sel:BYTE_3
	v_fmac_f32_e32 v10, v15, v16
	v_cvt_f32_i32_sdwa v15, sext(v18) dst_sel:DWORD dst_unused:UNUSED_PAD src0_sel:BYTE_0
	v_fmac_f32_e32 v14, v15, v1
	v_cvt_f32_i32_sdwa v15, sext(v18) dst_sel:DWORD dst_unused:UNUSED_PAD src0_sel:BYTE_1
	v_fmac_f32_e32 v13, v15, v1
	v_cvt_f32_i32_sdwa v15, sext(v18) dst_sel:DWORD dst_unused:UNUSED_PAD src0_sel:BYTE_2
	v_fmac_f32_e32 v12, v15, v1
	v_cvt_f32_i32_sdwa v15, sext(v18) dst_sel:DWORD dst_unused:UNUSED_PAD src0_sel:BYTE_3
	v_fmac_f32_e32 v10, v15, v1
	global_load_dword v1, v[7:8], off offset:256
	global_load_dwordx4 v[15:18], v[2:3], off offset:1024
	s_waitcnt vmcnt(1)
	v_subrev_u32_e32 v1, s20, v1
	v_lshlrev_b32_e32 v1, 2, v1
	v_ashrrev_i32_e32 v20, 31, v1
	v_add_co_u32_e32 v19, vcc, s6, v1
	v_addc_co_u32_e32 v20, vcc, v6, v20, vcc
	global_load_dword v1, v[19:20], off
	s_waitcnt vmcnt(1)
	v_cvt_f32_i32_sdwa v20, sext(v15) dst_sel:DWORD dst_unused:UNUSED_PAD src0_sel:BYTE_1
	v_cvt_f32_i32_sdwa v21, sext(v15) dst_sel:DWORD dst_unused:UNUSED_PAD src0_sel:BYTE_0
	;; [unrolled: 47-line block ×3, first 2 shown]
	v_add_co_u32_e32 v2, vcc, 0x800, v2
	v_addc_co_u32_e32 v3, vcc, 0, v3, vcc
	v_cmp_ge_i32_e32 vcc, v0, v11
	s_or_b64 s[8:9], vcc, s[8:9]
	s_waitcnt vmcnt(0)
	v_cvt_f32_i32_sdwa v7, sext(v1) dst_sel:DWORD dst_unused:UNUSED_PAD src0_sel:BYTE_0
	v_fmac_f32_e32 v13, v8, v7
	v_cvt_f32_i32_sdwa v8, sext(v15) dst_sel:DWORD dst_unused:UNUSED_PAD src0_sel:BYTE_2
	v_fmac_f32_e32 v14, v19, v7
	v_fmac_f32_e32 v12, v8, v7
	v_cvt_f32_i32_sdwa v8, sext(v15) dst_sel:DWORD dst_unused:UNUSED_PAD src0_sel:BYTE_3
	v_fmac_f32_e32 v10, v8, v7
	v_cvt_f32_i32_sdwa v7, sext(v16) dst_sel:DWORD dst_unused:UNUSED_PAD src0_sel:BYTE_0
	v_cvt_f32_i32_sdwa v8, sext(v1) dst_sel:DWORD dst_unused:UNUSED_PAD src0_sel:BYTE_1
	v_fmac_f32_e32 v14, v7, v8
	v_cvt_f32_i32_sdwa v7, sext(v16) dst_sel:DWORD dst_unused:UNUSED_PAD src0_sel:BYTE_1
	v_fmac_f32_e32 v13, v7, v8
	v_cvt_f32_i32_sdwa v7, sext(v16) dst_sel:DWORD dst_unused:UNUSED_PAD src0_sel:BYTE_2
	v_fmac_f32_e32 v12, v7, v8
	v_cvt_f32_i32_sdwa v7, sext(v16) dst_sel:DWORD dst_unused:UNUSED_PAD src0_sel:BYTE_3
	v_fmac_f32_e32 v10, v7, v8
	v_cvt_f32_i32_sdwa v7, sext(v17) dst_sel:DWORD dst_unused:UNUSED_PAD src0_sel:BYTE_0
	v_cvt_f32_i32_sdwa v8, sext(v1) dst_sel:DWORD dst_unused:UNUSED_PAD src0_sel:BYTE_2
	v_cvt_f32_i32_sdwa v1, sext(v1) dst_sel:DWORD dst_unused:UNUSED_PAD src0_sel:BYTE_3
	v_fmac_f32_e32 v14, v7, v8
	v_cvt_f32_i32_sdwa v7, sext(v17) dst_sel:DWORD dst_unused:UNUSED_PAD src0_sel:BYTE_1
	v_fmac_f32_e32 v13, v7, v8
	v_cvt_f32_i32_sdwa v7, sext(v17) dst_sel:DWORD dst_unused:UNUSED_PAD src0_sel:BYTE_2
	v_fmac_f32_e32 v12, v7, v8
	v_cvt_f32_i32_sdwa v7, sext(v17) dst_sel:DWORD dst_unused:UNUSED_PAD src0_sel:BYTE_3
	v_fmac_f32_e32 v10, v7, v8
	v_cvt_f32_i32_sdwa v7, sext(v18) dst_sel:DWORD dst_unused:UNUSED_PAD src0_sel:BYTE_0
	v_fmac_f32_e32 v14, v7, v1
	v_cvt_f32_i32_sdwa v7, sext(v18) dst_sel:DWORD dst_unused:UNUSED_PAD src0_sel:BYTE_1
	v_fmac_f32_e32 v13, v7, v1
	v_cvt_f32_i32_sdwa v7, sext(v18) dst_sel:DWORD dst_unused:UNUSED_PAD src0_sel:BYTE_2
	v_fmac_f32_e32 v12, v7, v1
	v_cvt_f32_i32_sdwa v7, sext(v18) dst_sel:DWORD dst_unused:UNUSED_PAD src0_sel:BYTE_3
	v_fmac_f32_e32 v10, v7, v1
	s_andn2_b64 exec, exec, s[8:9]
	s_cbranch_execnz .LBB78_33
; %bb.34:
	s_or_b64 exec, exec, s[8:9]
.LBB78_35:
	s_or_b64 exec, exec, s[0:1]
.LBB78_36:
	s_or_b64 exec, exec, s[2:3]
.LBB78_37:
	v_mov_b32_dpp v0, v14 row_shr:1 row_mask:0xf bank_mask:0xf
	v_mov_b32_dpp v2, v13 row_shr:1 row_mask:0xf bank_mask:0xf
	v_mov_b32_dpp v5, v12 row_shr:1 row_mask:0xf bank_mask:0xf
	v_mov_b32_dpp v7, v10 row_shr:1 row_mask:0xf bank_mask:0xf
	v_add_f32_e32 v0, v14, v0
	v_add_f32_e32 v2, v13, v2
	v_add_f32_e32 v5, v12, v5
	v_add_f32_e32 v7, v10, v7
	v_mov_b32_dpp v1, v0 row_shr:2 row_mask:0xf bank_mask:0xf
	v_mov_b32_dpp v3, v2 row_shr:2 row_mask:0xf bank_mask:0xf
	v_mov_b32_dpp v6, v5 row_shr:2 row_mask:0xf bank_mask:0xf
	v_mov_b32_dpp v8, v7 row_shr:2 row_mask:0xf bank_mask:0xf
	v_add_f32_e32 v0, v0, v1
	v_add_f32_e32 v2, v2, v3
	v_add_f32_e32 v5, v5, v6
	v_add_f32_e32 v7, v7, v8
	;; [unrolled: 8-line block ×4, first 2 shown]
	v_mov_b32_dpp v1, v0 row_bcast:15 row_mask:0xa bank_mask:0xf
	v_mov_b32_dpp v3, v2 row_bcast:15 row_mask:0xa bank_mask:0xf
	;; [unrolled: 1-line block ×4, first 2 shown]
	v_cmp_eq_u32_e32 vcc, 31, v9
	s_and_b64 exec, exec, vcc
	s_cbranch_execz .LBB78_10
; %bb.38:
	s_load_dwordx2 s[0:1], s[4:5], 0x50
	v_add_f32_e32 v0, v0, v1
	v_add_f32_e32 v1, v2, v3
	;; [unrolled: 1-line block ×4, first 2 shown]
	v_cmp_eq_f32_e64 s[2:3], s16, 0
	s_and_b64 vcc, exec, s[2:3]
	v_mul_f32_e32 v0, s18, v0
	v_mul_f32_e32 v1, s18, v1
	;; [unrolled: 1-line block ×4, first 2 shown]
	v_lshlrev_b32_e32 v4, 2, v4
	s_cbranch_vccz .LBB78_40
; %bb.39:
	v_ashrrev_i32_e32 v5, 31, v4
	v_lshlrev_b64 v[5:6], 2, v[4:5]
	s_waitcnt lgkmcnt(0)
	v_mov_b32_e32 v7, s1
	v_add_co_u32_e32 v5, vcc, s0, v5
	v_addc_co_u32_e32 v6, vcc, v7, v6, vcc
	global_store_dwordx4 v[5:6], v[0:3], off
	s_cbranch_execnz .LBB78_10
	s_branch .LBB78_41
.LBB78_40:
.LBB78_41:
	v_ashrrev_i32_e32 v5, 31, v4
	v_lshlrev_b64 v[4:5], 2, v[4:5]
	s_waitcnt lgkmcnt(0)
	v_mov_b32_e32 v6, s1
	v_add_co_u32_e32 v8, vcc, s0, v4
	v_addc_co_u32_e32 v9, vcc, v6, v5, vcc
	global_load_dwordx4 v[4:7], v[8:9], off
	s_waitcnt vmcnt(0)
	v_fmac_f32_e32 v0, s16, v4
	v_fmac_f32_e32 v1, s16, v5
	;; [unrolled: 1-line block ×4, first 2 shown]
	global_store_dwordx4 v[8:9], v[0:3], off
	s_endpgm
	.section	.rodata,"a",@progbits
	.p2align	6, 0x0
	.amdhsa_kernel _ZN9rocsparseL18bsrxmvn_4x4_kernelILj128ELj32EfiiaafEEvT3_20rocsparse_direction_NS_24const_host_device_scalarIT1_EES1_PKS1_PKT2_SA_S7_PKT4_PKT5_S5_PT6_21rocsparse_index_base_b
		.amdhsa_group_segment_fixed_size 0
		.amdhsa_private_segment_fixed_size 0
		.amdhsa_kernarg_size 96
		.amdhsa_user_sgpr_count 6
		.amdhsa_user_sgpr_private_segment_buffer 1
		.amdhsa_user_sgpr_dispatch_ptr 0
		.amdhsa_user_sgpr_queue_ptr 0
		.amdhsa_user_sgpr_kernarg_segment_ptr 1
		.amdhsa_user_sgpr_dispatch_id 0
		.amdhsa_user_sgpr_flat_scratch_init 0
		.amdhsa_user_sgpr_private_segment_size 0
		.amdhsa_uses_dynamic_stack 0
		.amdhsa_system_sgpr_private_segment_wavefront_offset 0
		.amdhsa_system_sgpr_workgroup_id_x 1
		.amdhsa_system_sgpr_workgroup_id_y 0
		.amdhsa_system_sgpr_workgroup_id_z 0
		.amdhsa_system_sgpr_workgroup_info 0
		.amdhsa_system_vgpr_workitem_id 0
		.amdhsa_next_free_vgpr 38
		.amdhsa_next_free_sgpr 22
		.amdhsa_reserve_vcc 1
		.amdhsa_reserve_flat_scratch 0
		.amdhsa_float_round_mode_32 0
		.amdhsa_float_round_mode_16_64 0
		.amdhsa_float_denorm_mode_32 3
		.amdhsa_float_denorm_mode_16_64 3
		.amdhsa_dx10_clamp 1
		.amdhsa_ieee_mode 1
		.amdhsa_fp16_overflow 0
		.amdhsa_exception_fp_ieee_invalid_op 0
		.amdhsa_exception_fp_denorm_src 0
		.amdhsa_exception_fp_ieee_div_zero 0
		.amdhsa_exception_fp_ieee_overflow 0
		.amdhsa_exception_fp_ieee_underflow 0
		.amdhsa_exception_fp_ieee_inexact 0
		.amdhsa_exception_int_div_zero 0
	.end_amdhsa_kernel
	.section	.text._ZN9rocsparseL18bsrxmvn_4x4_kernelILj128ELj32EfiiaafEEvT3_20rocsparse_direction_NS_24const_host_device_scalarIT1_EES1_PKS1_PKT2_SA_S7_PKT4_PKT5_S5_PT6_21rocsparse_index_base_b,"axG",@progbits,_ZN9rocsparseL18bsrxmvn_4x4_kernelILj128ELj32EfiiaafEEvT3_20rocsparse_direction_NS_24const_host_device_scalarIT1_EES1_PKS1_PKT2_SA_S7_PKT4_PKT5_S5_PT6_21rocsparse_index_base_b,comdat
.Lfunc_end78:
	.size	_ZN9rocsparseL18bsrxmvn_4x4_kernelILj128ELj32EfiiaafEEvT3_20rocsparse_direction_NS_24const_host_device_scalarIT1_EES1_PKS1_PKT2_SA_S7_PKT4_PKT5_S5_PT6_21rocsparse_index_base_b, .Lfunc_end78-_ZN9rocsparseL18bsrxmvn_4x4_kernelILj128ELj32EfiiaafEEvT3_20rocsparse_direction_NS_24const_host_device_scalarIT1_EES1_PKS1_PKT2_SA_S7_PKT4_PKT5_S5_PT6_21rocsparse_index_base_b
                                        ; -- End function
	.set _ZN9rocsparseL18bsrxmvn_4x4_kernelILj128ELj32EfiiaafEEvT3_20rocsparse_direction_NS_24const_host_device_scalarIT1_EES1_PKS1_PKT2_SA_S7_PKT4_PKT5_S5_PT6_21rocsparse_index_base_b.num_vgpr, 38
	.set _ZN9rocsparseL18bsrxmvn_4x4_kernelILj128ELj32EfiiaafEEvT3_20rocsparse_direction_NS_24const_host_device_scalarIT1_EES1_PKS1_PKT2_SA_S7_PKT4_PKT5_S5_PT6_21rocsparse_index_base_b.num_agpr, 0
	.set _ZN9rocsparseL18bsrxmvn_4x4_kernelILj128ELj32EfiiaafEEvT3_20rocsparse_direction_NS_24const_host_device_scalarIT1_EES1_PKS1_PKT2_SA_S7_PKT4_PKT5_S5_PT6_21rocsparse_index_base_b.numbered_sgpr, 22
	.set _ZN9rocsparseL18bsrxmvn_4x4_kernelILj128ELj32EfiiaafEEvT3_20rocsparse_direction_NS_24const_host_device_scalarIT1_EES1_PKS1_PKT2_SA_S7_PKT4_PKT5_S5_PT6_21rocsparse_index_base_b.num_named_barrier, 0
	.set _ZN9rocsparseL18bsrxmvn_4x4_kernelILj128ELj32EfiiaafEEvT3_20rocsparse_direction_NS_24const_host_device_scalarIT1_EES1_PKS1_PKT2_SA_S7_PKT4_PKT5_S5_PT6_21rocsparse_index_base_b.private_seg_size, 0
	.set _ZN9rocsparseL18bsrxmvn_4x4_kernelILj128ELj32EfiiaafEEvT3_20rocsparse_direction_NS_24const_host_device_scalarIT1_EES1_PKS1_PKT2_SA_S7_PKT4_PKT5_S5_PT6_21rocsparse_index_base_b.uses_vcc, 1
	.set _ZN9rocsparseL18bsrxmvn_4x4_kernelILj128ELj32EfiiaafEEvT3_20rocsparse_direction_NS_24const_host_device_scalarIT1_EES1_PKS1_PKT2_SA_S7_PKT4_PKT5_S5_PT6_21rocsparse_index_base_b.uses_flat_scratch, 0
	.set _ZN9rocsparseL18bsrxmvn_4x4_kernelILj128ELj32EfiiaafEEvT3_20rocsparse_direction_NS_24const_host_device_scalarIT1_EES1_PKS1_PKT2_SA_S7_PKT4_PKT5_S5_PT6_21rocsparse_index_base_b.has_dyn_sized_stack, 0
	.set _ZN9rocsparseL18bsrxmvn_4x4_kernelILj128ELj32EfiiaafEEvT3_20rocsparse_direction_NS_24const_host_device_scalarIT1_EES1_PKS1_PKT2_SA_S7_PKT4_PKT5_S5_PT6_21rocsparse_index_base_b.has_recursion, 0
	.set _ZN9rocsparseL18bsrxmvn_4x4_kernelILj128ELj32EfiiaafEEvT3_20rocsparse_direction_NS_24const_host_device_scalarIT1_EES1_PKS1_PKT2_SA_S7_PKT4_PKT5_S5_PT6_21rocsparse_index_base_b.has_indirect_call, 0
	.section	.AMDGPU.csdata,"",@progbits
; Kernel info:
; codeLenInByte = 4272
; TotalNumSgprs: 26
; NumVgprs: 38
; ScratchSize: 0
; MemoryBound: 0
; FloatMode: 240
; IeeeMode: 1
; LDSByteSize: 0 bytes/workgroup (compile time only)
; SGPRBlocks: 3
; VGPRBlocks: 9
; NumSGPRsForWavesPerEU: 26
; NumVGPRsForWavesPerEU: 38
; Occupancy: 6
; WaveLimiterHint : 1
; COMPUTE_PGM_RSRC2:SCRATCH_EN: 0
; COMPUTE_PGM_RSRC2:USER_SGPR: 6
; COMPUTE_PGM_RSRC2:TRAP_HANDLER: 0
; COMPUTE_PGM_RSRC2:TGID_X_EN: 1
; COMPUTE_PGM_RSRC2:TGID_Y_EN: 0
; COMPUTE_PGM_RSRC2:TGID_Z_EN: 0
; COMPUTE_PGM_RSRC2:TIDIG_COMP_CNT: 0
	.section	.text._ZN9rocsparseL18bsrxmvn_4x4_kernelILj128ELj64EfiiaafEEvT3_20rocsparse_direction_NS_24const_host_device_scalarIT1_EES1_PKS1_PKT2_SA_S7_PKT4_PKT5_S5_PT6_21rocsparse_index_base_b,"axG",@progbits,_ZN9rocsparseL18bsrxmvn_4x4_kernelILj128ELj64EfiiaafEEvT3_20rocsparse_direction_NS_24const_host_device_scalarIT1_EES1_PKS1_PKT2_SA_S7_PKT4_PKT5_S5_PT6_21rocsparse_index_base_b,comdat
	.globl	_ZN9rocsparseL18bsrxmvn_4x4_kernelILj128ELj64EfiiaafEEvT3_20rocsparse_direction_NS_24const_host_device_scalarIT1_EES1_PKS1_PKT2_SA_S7_PKT4_PKT5_S5_PT6_21rocsparse_index_base_b ; -- Begin function _ZN9rocsparseL18bsrxmvn_4x4_kernelILj128ELj64EfiiaafEEvT3_20rocsparse_direction_NS_24const_host_device_scalarIT1_EES1_PKS1_PKT2_SA_S7_PKT4_PKT5_S5_PT6_21rocsparse_index_base_b
	.p2align	8
	.type	_ZN9rocsparseL18bsrxmvn_4x4_kernelILj128ELj64EfiiaafEEvT3_20rocsparse_direction_NS_24const_host_device_scalarIT1_EES1_PKS1_PKT2_SA_S7_PKT4_PKT5_S5_PT6_21rocsparse_index_base_b,@function
_ZN9rocsparseL18bsrxmvn_4x4_kernelILj128ELj64EfiiaafEEvT3_20rocsparse_direction_NS_24const_host_device_scalarIT1_EES1_PKS1_PKT2_SA_S7_PKT4_PKT5_S5_PT6_21rocsparse_index_base_b: ; @_ZN9rocsparseL18bsrxmvn_4x4_kernelILj128ELj64EfiiaafEEvT3_20rocsparse_direction_NS_24const_host_device_scalarIT1_EES1_PKS1_PKT2_SA_S7_PKT4_PKT5_S5_PT6_21rocsparse_index_base_b
; %bb.0:
	s_load_dwordx2 s[20:21], s[4:5], 0x58
	s_load_dwordx2 s[18:19], s[4:5], 0x8
	;; [unrolled: 1-line block ×3, first 2 shown]
	s_waitcnt lgkmcnt(0)
	s_bitcmp1_b32 s21, 0
	s_cselect_b64 s[2:3], -1, 0
	s_xor_b64 s[0:1], s[2:3], -1
	s_and_b64 vcc, exec, s[2:3]
	s_cbranch_vccnz .LBB79_2
; %bb.1:
	s_load_dword s18, s[18:19], 0x0
.LBB79_2:
	s_andn2_b64 vcc, exec, s[0:1]
	s_cbranch_vccnz .LBB79_4
; %bb.3:
	s_load_dword s16, s[16:17], 0x0
.LBB79_4:
	s_waitcnt lgkmcnt(0)
	v_cmp_neq_f32_e64 s[0:1], s18, 0
	v_cmp_neq_f32_e64 s[2:3], s16, 1.0
	s_or_b64 s[0:1], s[0:1], s[2:3]
	s_andn2_b64 vcc, exec, s[0:1]
	s_cbranch_vccnz .LBB79_10
; %bb.5:
	s_load_dwordx2 s[8:9], s[4:5], 0x18
	s_load_dwordx2 s[0:1], s[4:5], 0x0
	v_lshrrev_b32_e32 v1, 6, v0
	v_lshl_or_b32 v4, s6, 1, v1
	s_mov_b64 s[2:3], 0
	s_waitcnt lgkmcnt(0)
	s_cmp_lg_u64 s[8:9], 0
	s_cbranch_scc0 .LBB79_11
; %bb.6:
	s_load_dword s6, s[4:5], 0x10
                                        ; implicit-def: $vgpr1
	s_waitcnt lgkmcnt(0)
	v_cmp_gt_i32_e32 vcc, s6, v4
	s_and_saveexec_b64 s[6:7], vcc
	s_xor_b64 s[6:7], exec, s[6:7]
	s_cbranch_execz .LBB79_8
; %bb.7:
	v_ashrrev_i32_e32 v5, 31, v4
	v_lshlrev_b64 v[1:2], 2, v[4:5]
	v_mov_b32_e32 v3, s9
	v_add_co_u32_e32 v1, vcc, s8, v1
	v_addc_co_u32_e32 v2, vcc, v3, v2, vcc
	global_load_dword v1, v[1:2], off
	s_mov_b64 s[2:3], exec
	s_waitcnt vmcnt(0)
	v_subrev_u32_e32 v1, s20, v1
.LBB79_8:
	s_or_b64 exec, exec, s[6:7]
	s_branch .LBB79_12
.LBB79_9:
	v_cmp_gt_i32_e32 vcc, s0, v4
	s_andn2_b64 s[2:3], s[2:3], exec
	s_and_b64 s[6:7], vcc, exec
	s_or_b64 s[2:3], s[2:3], s[6:7]
	s_and_saveexec_b64 s[6:7], s[2:3]
	s_cbranch_execnz .LBB79_13
.LBB79_10:
	s_endpgm
.LBB79_11:
                                        ; implicit-def: $vgpr1
	s_cbranch_execnz .LBB79_9
.LBB79_12:
	v_mov_b32_e32 v4, v1
	s_and_saveexec_b64 s[6:7], s[2:3]
	s_cbranch_execz .LBB79_10
.LBB79_13:
	s_load_dwordx8 s[8:15], s[4:5], 0x20
	v_ashrrev_i32_e32 v5, 31, v4
	v_lshlrev_b64 v[1:2], 2, v[4:5]
	v_and_b32_e32 v9, 63, v0
	s_load_dwordx2 s[6:7], s[4:5], 0x40
	s_waitcnt lgkmcnt(0)
	v_mov_b32_e32 v3, s9
	v_add_co_u32_e32 v5, vcc, s8, v1
	v_addc_co_u32_e32 v6, vcc, v3, v2, vcc
	v_add_co_u32_e32 v3, vcc, 4, v5
	global_load_dword v15, v[5:6], off
	v_addc_co_u32_e32 v5, vcc, 0, v6, vcc
	v_mov_b32_e32 v6, s11
	v_add_co_u32_e32 v1, vcc, s10, v1
	s_cmp_eq_u64 s[10:11], 0
	v_addc_co_u32_e32 v2, vcc, v6, v2, vcc
	s_cselect_b64 vcc, -1, 0
	v_cndmask_b32_e32 v2, v2, v5, vcc
	v_cndmask_b32_e32 v1, v1, v3, vcc
	global_load_dword v1, v[1:2], off
	v_mov_b32_e32 v5, s15
	s_cmp_eq_u32 s1, 1
	s_waitcnt vmcnt(1)
	v_subrev_u32_e32 v0, s20, v15
	v_add_u32_e32 v0, v0, v9
	s_waitcnt vmcnt(0)
	v_subrev_u32_e32 v11, s20, v1
	v_ashrrev_i32_e32 v1, 31, v0
	v_lshlrev_b64 v[2:3], 4, v[0:1]
	v_cmp_lt_i32_e64 s[0:1], v0, v11
	v_add_co_u32_e32 v2, vcc, s14, v2
	v_addc_co_u32_e32 v3, vcc, v5, v3, vcc
	s_cbranch_scc1 .LBB79_25
; %bb.14:
	v_mov_b32_e32 v10, 0
	v_mov_b32_e32 v12, 0
	v_mov_b32_e32 v13, 0
	v_mov_b32_e32 v14, 0
	s_and_saveexec_b64 s[8:9], s[0:1]
	s_cbranch_execz .LBB79_24
; %bb.15:
	v_add_u32_e32 v1, v15, v9
	v_subrev_u32_e32 v1, s20, v1
	v_add_u32_e32 v1, 64, v1
	v_max_i32_e32 v1, v1, v11
	v_not_b32_e32 v5, v15
	v_add3_u32 v1, s20, v1, v5
	v_sub_u32_e32 v1, v1, v9
	s_movk_i32 s2, 0xc0
	v_and_b32_e32 v5, 0xc0, v1
	v_mov_b32_e32 v8, v3
	v_cmp_ne_u32_e32 vcc, s2, v5
	v_mov_b32_e32 v14, 0
	v_mov_b32_e32 v13, 0
	;; [unrolled: 1-line block ×6, first 2 shown]
	s_and_saveexec_b64 s[10:11], vcc
	s_cbranch_execz .LBB79_19
; %bb.16:
	v_lshrrev_b32_e32 v5, 6, v1
	v_add_u32_e32 v5, 1, v5
	v_and_b32_e32 v5, 3, v5
	v_mov_b32_e32 v8, v3
	v_sub_u32_e32 v16, 0, v5
	v_mov_b32_e32 v10, 0
	s_mov_b64 s[14:15], 0
	v_mov_b32_e32 v17, s13
	v_mov_b32_e32 v18, s7
	;; [unrolled: 1-line block ×7, first 2 shown]
.LBB79_17:                              ; =>This Inner Loop Header: Depth=1
	v_ashrrev_i32_e32 v6, 31, v5
	v_lshlrev_b64 v[19:20], 2, v[5:6]
	v_add_co_u32_e64 v16, s[2:3], 1, v16
	v_add_co_u32_e32 v23, vcc, s12, v19
	v_addc_co_u32_e32 v24, vcc, v17, v20, vcc
	global_load_dword v6, v[23:24], off
	global_load_dwordx4 v[19:22], v[7:8], off
	v_add_u32_e32 v5, 64, v5
	s_or_b64 s[14:15], s[2:3], s[14:15]
	s_waitcnt vmcnt(1)
	v_subrev_u32_e32 v6, s20, v6
	v_lshlrev_b32_e32 v6, 2, v6
	v_ashrrev_i32_e32 v24, 31, v6
	v_add_co_u32_e32 v23, vcc, s6, v6
	v_addc_co_u32_e32 v24, vcc, v18, v24, vcc
	global_load_dword v6, v[23:24], off
	s_waitcnt vmcnt(1)
	v_cvt_f32_i32_sdwa v23, sext(v19) dst_sel:DWORD dst_unused:UNUSED_PAD src0_sel:BYTE_0
	v_cvt_f32_i32_sdwa v26, sext(v20) dst_sel:DWORD dst_unused:UNUSED_PAD src0_sel:BYTE_0
	;; [unrolled: 1-line block ×4, first 2 shown]
	v_cvt_f32_i32_sdwa v24, sext(v19) dst_sel:DWORD dst_unused:UNUSED_PAD src0_sel:BYTE_1
	v_cvt_f32_i32_sdwa v27, sext(v20) dst_sel:DWORD dst_unused:UNUSED_PAD src0_sel:BYTE_1
	;; [unrolled: 1-line block ×4, first 2 shown]
	v_cvt_f32_i32_sdwa v25, sext(v19) dst_sel:DWORD dst_unused:UNUSED_PAD src0_sel:BYTE_2
	v_cvt_f32_i32_sdwa v28, sext(v20) dst_sel:DWORD dst_unused:UNUSED_PAD src0_sel:BYTE_2
	;; [unrolled: 1-line block ×4, first 2 shown]
	v_cvt_f32_i32_sdwa v19, sext(v19) dst_sel:DWORD dst_unused:UNUSED_PAD src0_sel:BYTE_3
	v_cvt_f32_i32_sdwa v20, sext(v20) dst_sel:DWORD dst_unused:UNUSED_PAD src0_sel:BYTE_3
	;; [unrolled: 1-line block ×4, first 2 shown]
	v_add_co_u32_e32 v7, vcc, 0x400, v7
	v_addc_co_u32_e32 v8, vcc, 0, v8, vcc
	s_waitcnt vmcnt(0)
	v_cvt_f32_i32_sdwa v35, sext(v6) dst_sel:DWORD dst_unused:UNUSED_PAD src0_sel:BYTE_0
	v_cvt_f32_i32_sdwa v36, sext(v6) dst_sel:DWORD dst_unused:UNUSED_PAD src0_sel:BYTE_1
	v_cvt_f32_i32_sdwa v37, sext(v6) dst_sel:DWORD dst_unused:UNUSED_PAD src0_sel:BYTE_2
	v_cvt_f32_i32_sdwa v6, sext(v6) dst_sel:DWORD dst_unused:UNUSED_PAD src0_sel:BYTE_3
	v_fmac_f32_e32 v14, v23, v35
	v_fmac_f32_e32 v13, v26, v35
	;; [unrolled: 1-line block ×16, first 2 shown]
	s_andn2_b64 exec, exec, s[14:15]
	s_cbranch_execnz .LBB79_17
; %bb.18:
	s_or_b64 exec, exec, s[14:15]
.LBB79_19:
	s_or_b64 exec, exec, s[10:11]
	s_movk_i32 s2, 0xbf
	v_cmp_lt_u32_e32 vcc, s2, v1
	s_and_saveexec_b64 s[2:3], vcc
	s_cbranch_execz .LBB79_23
; %bb.20:
	s_mov_b64 s[10:11], 0
	v_mov_b32_e32 v1, s13
	v_mov_b32_e32 v16, s7
.LBB79_21:                              ; =>This Inner Loop Header: Depth=1
	v_ashrrev_i32_e32 v6, 31, v5
	v_lshlrev_b64 v[17:18], 2, v[5:6]
	v_add_u32_e32 v5, 0x100, v5
	v_add_co_u32_e32 v21, vcc, s12, v17
	v_addc_co_u32_e32 v22, vcc, v1, v18, vcc
	global_load_dword v6, v[21:22], off
	global_load_dwordx4 v[17:20], v[7:8], off
	s_waitcnt vmcnt(1)
	v_subrev_u32_e32 v6, s20, v6
	v_lshlrev_b32_e32 v6, 2, v6
	v_ashrrev_i32_e32 v24, 31, v6
	v_add_co_u32_e32 v23, vcc, s6, v6
	v_addc_co_u32_e32 v24, vcc, v16, v24, vcc
	global_load_dword v6, v[23:24], off
	s_waitcnt vmcnt(1)
	v_cvt_f32_i32_sdwa v25, sext(v17) dst_sel:DWORD dst_unused:UNUSED_PAD src0_sel:BYTE_0
	v_cvt_f32_i32_sdwa v24, sext(v17) dst_sel:DWORD dst_unused:UNUSED_PAD src0_sel:BYTE_1
	s_waitcnt vmcnt(0)
	v_cvt_f32_i32_sdwa v23, sext(v6) dst_sel:DWORD dst_unused:UNUSED_PAD src0_sel:BYTE_0
	v_cvt_f32_i32_sdwa v26, sext(v6) dst_sel:DWORD dst_unused:UNUSED_PAD src0_sel:BYTE_2
	v_fmac_f32_e32 v14, v25, v23
	v_cvt_f32_i32_sdwa v25, sext(v6) dst_sel:DWORD dst_unused:UNUSED_PAD src0_sel:BYTE_1
	v_cvt_f32_i32_sdwa v6, sext(v6) dst_sel:DWORD dst_unused:UNUSED_PAD src0_sel:BYTE_3
	v_fmac_f32_e32 v14, v24, v25
	v_cvt_f32_i32_sdwa v24, sext(v17) dst_sel:DWORD dst_unused:UNUSED_PAD src0_sel:BYTE_2
	v_cvt_f32_i32_sdwa v17, sext(v17) dst_sel:DWORD dst_unused:UNUSED_PAD src0_sel:BYTE_3
	v_fmac_f32_e32 v14, v24, v26
	v_fmac_f32_e32 v14, v17, v6
	v_cvt_f32_i32_sdwa v17, sext(v18) dst_sel:DWORD dst_unused:UNUSED_PAD src0_sel:BYTE_0
	v_fmac_f32_e32 v13, v17, v23
	v_cvt_f32_i32_sdwa v17, sext(v18) dst_sel:DWORD dst_unused:UNUSED_PAD src0_sel:BYTE_1
	v_fmac_f32_e32 v13, v17, v25
	v_cvt_f32_i32_sdwa v17, sext(v18) dst_sel:DWORD dst_unused:UNUSED_PAD src0_sel:BYTE_2
	v_fmac_f32_e32 v13, v17, v26
	v_cvt_f32_i32_sdwa v17, sext(v18) dst_sel:DWORD dst_unused:UNUSED_PAD src0_sel:BYTE_3
	v_fmac_f32_e32 v13, v17, v6
	v_cvt_f32_i32_sdwa v17, sext(v19) dst_sel:DWORD dst_unused:UNUSED_PAD src0_sel:BYTE_0
	v_fmac_f32_e32 v12, v17, v23
	v_cvt_f32_i32_sdwa v17, sext(v19) dst_sel:DWORD dst_unused:UNUSED_PAD src0_sel:BYTE_1
	v_fmac_f32_e32 v12, v17, v25
	v_cvt_f32_i32_sdwa v17, sext(v19) dst_sel:DWORD dst_unused:UNUSED_PAD src0_sel:BYTE_2
	v_fmac_f32_e32 v12, v17, v26
	v_cvt_f32_i32_sdwa v17, sext(v19) dst_sel:DWORD dst_unused:UNUSED_PAD src0_sel:BYTE_3
	v_fmac_f32_e32 v12, v17, v6
	v_cvt_f32_i32_sdwa v17, sext(v20) dst_sel:DWORD dst_unused:UNUSED_PAD src0_sel:BYTE_0
	v_fmac_f32_e32 v10, v17, v23
	v_cvt_f32_i32_sdwa v17, sext(v20) dst_sel:DWORD dst_unused:UNUSED_PAD src0_sel:BYTE_1
	v_fmac_f32_e32 v10, v17, v25
	v_cvt_f32_i32_sdwa v17, sext(v20) dst_sel:DWORD dst_unused:UNUSED_PAD src0_sel:BYTE_2
	v_fmac_f32_e32 v10, v17, v26
	v_cvt_f32_i32_sdwa v17, sext(v20) dst_sel:DWORD dst_unused:UNUSED_PAD src0_sel:BYTE_3
	v_fmac_f32_e32 v10, v17, v6
	global_load_dword v6, v[21:22], off offset:256
	global_load_dwordx4 v[17:20], v[7:8], off offset:1024
	s_waitcnt vmcnt(1)
	v_subrev_u32_e32 v6, s20, v6
	v_lshlrev_b32_e32 v6, 2, v6
	v_ashrrev_i32_e32 v24, 31, v6
	v_add_co_u32_e32 v23, vcc, s6, v6
	v_addc_co_u32_e32 v24, vcc, v16, v24, vcc
	global_load_dword v6, v[23:24], off
	s_waitcnt vmcnt(1)
	v_cvt_f32_i32_sdwa v25, sext(v17) dst_sel:DWORD dst_unused:UNUSED_PAD src0_sel:BYTE_0
	v_cvt_f32_i32_sdwa v24, sext(v17) dst_sel:DWORD dst_unused:UNUSED_PAD src0_sel:BYTE_1
	s_waitcnt vmcnt(0)
	v_cvt_f32_i32_sdwa v23, sext(v6) dst_sel:DWORD dst_unused:UNUSED_PAD src0_sel:BYTE_0
	v_cvt_f32_i32_sdwa v26, sext(v6) dst_sel:DWORD dst_unused:UNUSED_PAD src0_sel:BYTE_2
	v_fmac_f32_e32 v14, v25, v23
	v_cvt_f32_i32_sdwa v25, sext(v6) dst_sel:DWORD dst_unused:UNUSED_PAD src0_sel:BYTE_1
	v_cvt_f32_i32_sdwa v6, sext(v6) dst_sel:DWORD dst_unused:UNUSED_PAD src0_sel:BYTE_3
	v_fmac_f32_e32 v14, v24, v25
	v_cvt_f32_i32_sdwa v24, sext(v17) dst_sel:DWORD dst_unused:UNUSED_PAD src0_sel:BYTE_2
	v_cvt_f32_i32_sdwa v17, sext(v17) dst_sel:DWORD dst_unused:UNUSED_PAD src0_sel:BYTE_3
	v_fmac_f32_e32 v14, v24, v26
	v_fmac_f32_e32 v14, v17, v6
	v_cvt_f32_i32_sdwa v17, sext(v18) dst_sel:DWORD dst_unused:UNUSED_PAD src0_sel:BYTE_0
	v_fmac_f32_e32 v13, v17, v23
	v_cvt_f32_i32_sdwa v17, sext(v18) dst_sel:DWORD dst_unused:UNUSED_PAD src0_sel:BYTE_1
	v_fmac_f32_e32 v13, v17, v25
	v_cvt_f32_i32_sdwa v17, sext(v18) dst_sel:DWORD dst_unused:UNUSED_PAD src0_sel:BYTE_2
	v_fmac_f32_e32 v13, v17, v26
	v_cvt_f32_i32_sdwa v17, sext(v18) dst_sel:DWORD dst_unused:UNUSED_PAD src0_sel:BYTE_3
	v_fmac_f32_e32 v13, v17, v6
	v_cvt_f32_i32_sdwa v17, sext(v19) dst_sel:DWORD dst_unused:UNUSED_PAD src0_sel:BYTE_0
	v_fmac_f32_e32 v12, v17, v23
	v_cvt_f32_i32_sdwa v17, sext(v19) dst_sel:DWORD dst_unused:UNUSED_PAD src0_sel:BYTE_1
	v_fmac_f32_e32 v12, v17, v25
	v_cvt_f32_i32_sdwa v17, sext(v19) dst_sel:DWORD dst_unused:UNUSED_PAD src0_sel:BYTE_2
	v_fmac_f32_e32 v12, v17, v26
	v_cvt_f32_i32_sdwa v17, sext(v19) dst_sel:DWORD dst_unused:UNUSED_PAD src0_sel:BYTE_3
	v_fmac_f32_e32 v12, v17, v6
	v_cvt_f32_i32_sdwa v17, sext(v20) dst_sel:DWORD dst_unused:UNUSED_PAD src0_sel:BYTE_0
	v_fmac_f32_e32 v10, v17, v23
	v_cvt_f32_i32_sdwa v17, sext(v20) dst_sel:DWORD dst_unused:UNUSED_PAD src0_sel:BYTE_1
	v_fmac_f32_e32 v10, v17, v25
	v_cvt_f32_i32_sdwa v17, sext(v20) dst_sel:DWORD dst_unused:UNUSED_PAD src0_sel:BYTE_2
	v_fmac_f32_e32 v10, v17, v26
	v_cvt_f32_i32_sdwa v17, sext(v20) dst_sel:DWORD dst_unused:UNUSED_PAD src0_sel:BYTE_3
	v_fmac_f32_e32 v10, v17, v6
	global_load_dword v6, v[21:22], off offset:512
	global_load_dwordx4 v[17:20], v[7:8], off offset:2048
	;; [unrolled: 47-line block ×3, first 2 shown]
	s_waitcnt vmcnt(1)
	v_subrev_u32_e32 v6, s20, v6
	v_lshlrev_b32_e32 v6, 2, v6
	v_ashrrev_i32_e32 v22, 31, v6
	v_add_co_u32_e32 v21, vcc, s6, v6
	v_addc_co_u32_e32 v22, vcc, v16, v22, vcc
	global_load_dword v6, v[21:22], off
	s_waitcnt vmcnt(1)
	v_cvt_f32_i32_sdwa v23, sext(v17) dst_sel:DWORD dst_unused:UNUSED_PAD src0_sel:BYTE_0
	v_cvt_f32_i32_sdwa v22, sext(v17) dst_sel:DWORD dst_unused:UNUSED_PAD src0_sel:BYTE_1
	v_add_co_u32_e32 v7, vcc, 0x1000, v7
	v_addc_co_u32_e32 v8, vcc, 0, v8, vcc
	v_cmp_ge_i32_e32 vcc, v5, v11
	s_or_b64 s[10:11], vcc, s[10:11]
	s_waitcnt vmcnt(0)
	v_cvt_f32_i32_sdwa v21, sext(v6) dst_sel:DWORD dst_unused:UNUSED_PAD src0_sel:BYTE_0
	v_cvt_f32_i32_sdwa v24, sext(v6) dst_sel:DWORD dst_unused:UNUSED_PAD src0_sel:BYTE_2
	v_fmac_f32_e32 v14, v23, v21
	v_cvt_f32_i32_sdwa v23, sext(v6) dst_sel:DWORD dst_unused:UNUSED_PAD src0_sel:BYTE_1
	v_cvt_f32_i32_sdwa v6, sext(v6) dst_sel:DWORD dst_unused:UNUSED_PAD src0_sel:BYTE_3
	v_fmac_f32_e32 v14, v22, v23
	v_cvt_f32_i32_sdwa v22, sext(v17) dst_sel:DWORD dst_unused:UNUSED_PAD src0_sel:BYTE_2
	v_cvt_f32_i32_sdwa v17, sext(v17) dst_sel:DWORD dst_unused:UNUSED_PAD src0_sel:BYTE_3
	v_fmac_f32_e32 v14, v22, v24
	v_fmac_f32_e32 v14, v17, v6
	v_cvt_f32_i32_sdwa v17, sext(v18) dst_sel:DWORD dst_unused:UNUSED_PAD src0_sel:BYTE_0
	v_fmac_f32_e32 v13, v17, v21
	v_cvt_f32_i32_sdwa v17, sext(v18) dst_sel:DWORD dst_unused:UNUSED_PAD src0_sel:BYTE_1
	v_fmac_f32_e32 v13, v17, v23
	v_cvt_f32_i32_sdwa v17, sext(v18) dst_sel:DWORD dst_unused:UNUSED_PAD src0_sel:BYTE_2
	v_fmac_f32_e32 v13, v17, v24
	v_cvt_f32_i32_sdwa v17, sext(v18) dst_sel:DWORD dst_unused:UNUSED_PAD src0_sel:BYTE_3
	v_fmac_f32_e32 v13, v17, v6
	v_cvt_f32_i32_sdwa v17, sext(v19) dst_sel:DWORD dst_unused:UNUSED_PAD src0_sel:BYTE_0
	v_fmac_f32_e32 v12, v17, v21
	v_cvt_f32_i32_sdwa v17, sext(v19) dst_sel:DWORD dst_unused:UNUSED_PAD src0_sel:BYTE_1
	v_fmac_f32_e32 v12, v17, v23
	v_cvt_f32_i32_sdwa v17, sext(v19) dst_sel:DWORD dst_unused:UNUSED_PAD src0_sel:BYTE_2
	v_fmac_f32_e32 v12, v17, v24
	v_cvt_f32_i32_sdwa v17, sext(v19) dst_sel:DWORD dst_unused:UNUSED_PAD src0_sel:BYTE_3
	;; [unrolled: 8-line block ×3, first 2 shown]
	v_fmac_f32_e32 v10, v17, v6
	s_andn2_b64 exec, exec, s[10:11]
	s_cbranch_execnz .LBB79_21
; %bb.22:
	s_or_b64 exec, exec, s[10:11]
.LBB79_23:
	s_or_b64 exec, exec, s[2:3]
.LBB79_24:
	s_or_b64 exec, exec, s[8:9]
	s_cbranch_execz .LBB79_26
	s_branch .LBB79_37
.LBB79_25:
                                        ; implicit-def: $vgpr10
                                        ; implicit-def: $vgpr12
                                        ; implicit-def: $vgpr13
                                        ; implicit-def: $vgpr14
.LBB79_26:
	v_mov_b32_e32 v10, 0
	v_mov_b32_e32 v12, 0
	;; [unrolled: 1-line block ×4, first 2 shown]
	s_and_saveexec_b64 s[2:3], s[0:1]
	s_cbranch_execz .LBB79_36
; %bb.27:
	v_add_u32_e32 v1, v15, v9
	v_subrev_u32_e32 v1, s20, v1
	v_add_u32_e32 v1, 64, v1
	v_max_i32_e32 v1, v1, v11
	v_not_b32_e32 v5, v15
	v_add3_u32 v1, s20, v1, v5
	v_sub_u32_e32 v5, v1, v9
	s_movk_i32 s0, 0xc0
	v_and_b32_e32 v1, 0xc0, v5
	v_cmp_ne_u32_e32 vcc, s0, v1
	v_mov_b32_e32 v14, 0
	v_mov_b32_e32 v13, 0
	v_mov_b32_e32 v12, 0
	v_mov_b32_e32 v10, 0
	s_and_saveexec_b64 s[8:9], vcc
	s_cbranch_execz .LBB79_31
; %bb.28:
	v_lshrrev_b32_e32 v1, 6, v5
	v_add_u32_e32 v1, 1, v1
	v_and_b32_e32 v1, 3, v1
	v_sub_u32_e32 v6, 0, v1
	v_mov_b32_e32 v10, 0
	s_mov_b64 s[10:11], 0
	v_mov_b32_e32 v7, s13
	v_mov_b32_e32 v8, s7
	;; [unrolled: 1-line block ×5, first 2 shown]
.LBB79_29:                              ; =>This Inner Loop Header: Depth=1
	v_ashrrev_i32_e32 v1, 31, v0
	v_lshlrev_b64 v[15:16], 2, v[0:1]
	v_add_co_u32_e64 v6, s[0:1], 1, v6
	v_add_co_u32_e32 v19, vcc, s12, v15
	v_addc_co_u32_e32 v20, vcc, v7, v16, vcc
	global_load_dword v1, v[19:20], off
	global_load_dwordx4 v[15:18], v[2:3], off
	v_add_u32_e32 v0, 64, v0
	s_or_b64 s[10:11], s[0:1], s[10:11]
	s_waitcnt vmcnt(1)
	v_subrev_u32_e32 v1, s20, v1
	v_lshlrev_b32_e32 v1, 2, v1
	v_ashrrev_i32_e32 v20, 31, v1
	v_add_co_u32_e32 v19, vcc, s6, v1
	v_addc_co_u32_e32 v20, vcc, v8, v20, vcc
	global_load_dword v1, v[19:20], off
	s_waitcnt vmcnt(1)
	v_cvt_f32_i32_sdwa v19, sext(v15) dst_sel:DWORD dst_unused:UNUSED_PAD src0_sel:BYTE_0
	v_cvt_f32_i32_sdwa v20, sext(v15) dst_sel:DWORD dst_unused:UNUSED_PAD src0_sel:BYTE_1
	v_cvt_f32_i32_sdwa v21, sext(v15) dst_sel:DWORD dst_unused:UNUSED_PAD src0_sel:BYTE_2
	v_cvt_f32_i32_sdwa v15, sext(v15) dst_sel:DWORD dst_unused:UNUSED_PAD src0_sel:BYTE_3
	v_cvt_f32_i32_sdwa v22, sext(v16) dst_sel:DWORD dst_unused:UNUSED_PAD src0_sel:BYTE_0
	v_cvt_f32_i32_sdwa v23, sext(v16) dst_sel:DWORD dst_unused:UNUSED_PAD src0_sel:BYTE_1
	v_cvt_f32_i32_sdwa v24, sext(v16) dst_sel:DWORD dst_unused:UNUSED_PAD src0_sel:BYTE_2
	v_cvt_f32_i32_sdwa v16, sext(v16) dst_sel:DWORD dst_unused:UNUSED_PAD src0_sel:BYTE_3
	;; [unrolled: 4-line block ×4, first 2 shown]
	v_add_co_u32_e32 v2, vcc, 0x400, v2
	v_addc_co_u32_e32 v3, vcc, 0, v3, vcc
	s_waitcnt vmcnt(0)
	v_cvt_f32_i32_sdwa v31, sext(v1) dst_sel:DWORD dst_unused:UNUSED_PAD src0_sel:BYTE_0
	v_cvt_f32_i32_sdwa v32, sext(v1) dst_sel:DWORD dst_unused:UNUSED_PAD src0_sel:BYTE_1
	v_cvt_f32_i32_sdwa v33, sext(v1) dst_sel:DWORD dst_unused:UNUSED_PAD src0_sel:BYTE_2
	v_cvt_f32_i32_sdwa v1, sext(v1) dst_sel:DWORD dst_unused:UNUSED_PAD src0_sel:BYTE_3
	v_fmac_f32_e32 v14, v19, v31
	v_fmac_f32_e32 v13, v20, v31
	;; [unrolled: 1-line block ×16, first 2 shown]
	s_andn2_b64 exec, exec, s[10:11]
	s_cbranch_execnz .LBB79_29
; %bb.30:
	s_or_b64 exec, exec, s[10:11]
.LBB79_31:
	s_or_b64 exec, exec, s[8:9]
	s_movk_i32 s0, 0xbf
	v_cmp_lt_u32_e32 vcc, s0, v5
	s_and_saveexec_b64 s[0:1], vcc
	s_cbranch_execz .LBB79_35
; %bb.32:
	s_mov_b64 s[8:9], 0
	v_mov_b32_e32 v5, s13
	v_mov_b32_e32 v6, s7
.LBB79_33:                              ; =>This Inner Loop Header: Depth=1
	v_ashrrev_i32_e32 v1, 31, v0
	v_lshlrev_b64 v[7:8], 2, v[0:1]
	global_load_dwordx4 v[15:18], v[2:3], off
	v_add_co_u32_e32 v7, vcc, s12, v7
	v_addc_co_u32_e32 v8, vcc, v5, v8, vcc
	global_load_dword v1, v[7:8], off
	v_add_u32_e32 v0, 0x100, v0
	s_waitcnt vmcnt(1)
	v_cvt_f32_i32_sdwa v21, sext(v15) dst_sel:DWORD dst_unused:UNUSED_PAD src0_sel:BYTE_0
	s_waitcnt vmcnt(0)
	v_subrev_u32_e32 v1, s20, v1
	v_lshlrev_b32_e32 v1, 2, v1
	v_ashrrev_i32_e32 v20, 31, v1
	v_add_co_u32_e32 v19, vcc, s6, v1
	v_addc_co_u32_e32 v20, vcc, v6, v20, vcc
	global_load_dword v1, v[19:20], off
	v_cvt_f32_i32_sdwa v20, sext(v15) dst_sel:DWORD dst_unused:UNUSED_PAD src0_sel:BYTE_1
	s_waitcnt vmcnt(0)
	v_cvt_f32_i32_sdwa v19, sext(v1) dst_sel:DWORD dst_unused:UNUSED_PAD src0_sel:BYTE_0
	v_fmac_f32_e32 v13, v20, v19
	v_cvt_f32_i32_sdwa v20, sext(v15) dst_sel:DWORD dst_unused:UNUSED_PAD src0_sel:BYTE_2
	v_cvt_f32_i32_sdwa v15, sext(v15) dst_sel:DWORD dst_unused:UNUSED_PAD src0_sel:BYTE_3
	v_fmac_f32_e32 v14, v21, v19
	v_fmac_f32_e32 v12, v20, v19
	v_fmac_f32_e32 v10, v15, v19
	v_cvt_f32_i32_sdwa v15, sext(v16) dst_sel:DWORD dst_unused:UNUSED_PAD src0_sel:BYTE_0
	v_cvt_f32_i32_sdwa v19, sext(v1) dst_sel:DWORD dst_unused:UNUSED_PAD src0_sel:BYTE_1
	v_fmac_f32_e32 v14, v15, v19
	v_cvt_f32_i32_sdwa v15, sext(v16) dst_sel:DWORD dst_unused:UNUSED_PAD src0_sel:BYTE_1
	v_fmac_f32_e32 v13, v15, v19
	v_cvt_f32_i32_sdwa v15, sext(v16) dst_sel:DWORD dst_unused:UNUSED_PAD src0_sel:BYTE_2
	v_fmac_f32_e32 v12, v15, v19
	v_cvt_f32_i32_sdwa v15, sext(v16) dst_sel:DWORD dst_unused:UNUSED_PAD src0_sel:BYTE_3
	v_cvt_f32_i32_sdwa v16, sext(v1) dst_sel:DWORD dst_unused:UNUSED_PAD src0_sel:BYTE_2
	v_cvt_f32_i32_sdwa v1, sext(v1) dst_sel:DWORD dst_unused:UNUSED_PAD src0_sel:BYTE_3
	v_fmac_f32_e32 v10, v15, v19
	v_cvt_f32_i32_sdwa v15, sext(v17) dst_sel:DWORD dst_unused:UNUSED_PAD src0_sel:BYTE_0
	v_fmac_f32_e32 v14, v15, v16
	v_cvt_f32_i32_sdwa v15, sext(v17) dst_sel:DWORD dst_unused:UNUSED_PAD src0_sel:BYTE_1
	v_fmac_f32_e32 v13, v15, v16
	v_cvt_f32_i32_sdwa v15, sext(v17) dst_sel:DWORD dst_unused:UNUSED_PAD src0_sel:BYTE_2
	v_fmac_f32_e32 v12, v15, v16
	v_cvt_f32_i32_sdwa v15, sext(v17) dst_sel:DWORD dst_unused:UNUSED_PAD src0_sel:BYTE_3
	v_fmac_f32_e32 v10, v15, v16
	v_cvt_f32_i32_sdwa v15, sext(v18) dst_sel:DWORD dst_unused:UNUSED_PAD src0_sel:BYTE_0
	v_fmac_f32_e32 v14, v15, v1
	v_cvt_f32_i32_sdwa v15, sext(v18) dst_sel:DWORD dst_unused:UNUSED_PAD src0_sel:BYTE_1
	v_fmac_f32_e32 v13, v15, v1
	v_cvt_f32_i32_sdwa v15, sext(v18) dst_sel:DWORD dst_unused:UNUSED_PAD src0_sel:BYTE_2
	v_fmac_f32_e32 v12, v15, v1
	v_cvt_f32_i32_sdwa v15, sext(v18) dst_sel:DWORD dst_unused:UNUSED_PAD src0_sel:BYTE_3
	v_fmac_f32_e32 v10, v15, v1
	global_load_dword v1, v[7:8], off offset:256
	global_load_dwordx4 v[15:18], v[2:3], off offset:1024
	s_waitcnt vmcnt(1)
	v_subrev_u32_e32 v1, s20, v1
	v_lshlrev_b32_e32 v1, 2, v1
	v_ashrrev_i32_e32 v20, 31, v1
	v_add_co_u32_e32 v19, vcc, s6, v1
	v_addc_co_u32_e32 v20, vcc, v6, v20, vcc
	global_load_dword v1, v[19:20], off
	s_waitcnt vmcnt(1)
	v_cvt_f32_i32_sdwa v20, sext(v15) dst_sel:DWORD dst_unused:UNUSED_PAD src0_sel:BYTE_1
	v_cvt_f32_i32_sdwa v21, sext(v15) dst_sel:DWORD dst_unused:UNUSED_PAD src0_sel:BYTE_0
	s_waitcnt vmcnt(0)
	v_cvt_f32_i32_sdwa v19, sext(v1) dst_sel:DWORD dst_unused:UNUSED_PAD src0_sel:BYTE_0
	v_fmac_f32_e32 v13, v20, v19
	v_cvt_f32_i32_sdwa v20, sext(v15) dst_sel:DWORD dst_unused:UNUSED_PAD src0_sel:BYTE_2
	v_cvt_f32_i32_sdwa v15, sext(v15) dst_sel:DWORD dst_unused:UNUSED_PAD src0_sel:BYTE_3
	v_fmac_f32_e32 v14, v21, v19
	v_fmac_f32_e32 v12, v20, v19
	v_fmac_f32_e32 v10, v15, v19
	v_cvt_f32_i32_sdwa v15, sext(v16) dst_sel:DWORD dst_unused:UNUSED_PAD src0_sel:BYTE_0
	v_cvt_f32_i32_sdwa v19, sext(v1) dst_sel:DWORD dst_unused:UNUSED_PAD src0_sel:BYTE_1
	v_fmac_f32_e32 v14, v15, v19
	v_cvt_f32_i32_sdwa v15, sext(v16) dst_sel:DWORD dst_unused:UNUSED_PAD src0_sel:BYTE_1
	v_fmac_f32_e32 v13, v15, v19
	v_cvt_f32_i32_sdwa v15, sext(v16) dst_sel:DWORD dst_unused:UNUSED_PAD src0_sel:BYTE_2
	v_fmac_f32_e32 v12, v15, v19
	v_cvt_f32_i32_sdwa v15, sext(v16) dst_sel:DWORD dst_unused:UNUSED_PAD src0_sel:BYTE_3
	v_cvt_f32_i32_sdwa v16, sext(v1) dst_sel:DWORD dst_unused:UNUSED_PAD src0_sel:BYTE_2
	v_cvt_f32_i32_sdwa v1, sext(v1) dst_sel:DWORD dst_unused:UNUSED_PAD src0_sel:BYTE_3
	v_fmac_f32_e32 v10, v15, v19
	v_cvt_f32_i32_sdwa v15, sext(v17) dst_sel:DWORD dst_unused:UNUSED_PAD src0_sel:BYTE_0
	v_fmac_f32_e32 v14, v15, v16
	v_cvt_f32_i32_sdwa v15, sext(v17) dst_sel:DWORD dst_unused:UNUSED_PAD src0_sel:BYTE_1
	v_fmac_f32_e32 v13, v15, v16
	v_cvt_f32_i32_sdwa v15, sext(v17) dst_sel:DWORD dst_unused:UNUSED_PAD src0_sel:BYTE_2
	v_fmac_f32_e32 v12, v15, v16
	v_cvt_f32_i32_sdwa v15, sext(v17) dst_sel:DWORD dst_unused:UNUSED_PAD src0_sel:BYTE_3
	v_fmac_f32_e32 v10, v15, v16
	v_cvt_f32_i32_sdwa v15, sext(v18) dst_sel:DWORD dst_unused:UNUSED_PAD src0_sel:BYTE_0
	v_fmac_f32_e32 v14, v15, v1
	v_cvt_f32_i32_sdwa v15, sext(v18) dst_sel:DWORD dst_unused:UNUSED_PAD src0_sel:BYTE_1
	v_fmac_f32_e32 v13, v15, v1
	v_cvt_f32_i32_sdwa v15, sext(v18) dst_sel:DWORD dst_unused:UNUSED_PAD src0_sel:BYTE_2
	v_fmac_f32_e32 v12, v15, v1
	v_cvt_f32_i32_sdwa v15, sext(v18) dst_sel:DWORD dst_unused:UNUSED_PAD src0_sel:BYTE_3
	v_fmac_f32_e32 v10, v15, v1
	global_load_dword v1, v[7:8], off offset:512
	global_load_dwordx4 v[15:18], v[2:3], off offset:2048
	s_waitcnt vmcnt(1)
	v_subrev_u32_e32 v1, s20, v1
	v_lshlrev_b32_e32 v1, 2, v1
	v_ashrrev_i32_e32 v20, 31, v1
	v_add_co_u32_e32 v19, vcc, s6, v1
	v_addc_co_u32_e32 v20, vcc, v6, v20, vcc
	global_load_dword v1, v[19:20], off
	s_waitcnt vmcnt(1)
	v_cvt_f32_i32_sdwa v20, sext(v15) dst_sel:DWORD dst_unused:UNUSED_PAD src0_sel:BYTE_1
	v_cvt_f32_i32_sdwa v21, sext(v15) dst_sel:DWORD dst_unused:UNUSED_PAD src0_sel:BYTE_0
	;; [unrolled: 47-line block ×3, first 2 shown]
	v_add_co_u32_e32 v2, vcc, 0x1000, v2
	v_addc_co_u32_e32 v3, vcc, 0, v3, vcc
	v_cmp_ge_i32_e32 vcc, v0, v11
	s_or_b64 s[8:9], vcc, s[8:9]
	s_waitcnt vmcnt(0)
	v_cvt_f32_i32_sdwa v7, sext(v1) dst_sel:DWORD dst_unused:UNUSED_PAD src0_sel:BYTE_0
	v_fmac_f32_e32 v13, v8, v7
	v_cvt_f32_i32_sdwa v8, sext(v15) dst_sel:DWORD dst_unused:UNUSED_PAD src0_sel:BYTE_2
	v_fmac_f32_e32 v14, v19, v7
	v_fmac_f32_e32 v12, v8, v7
	v_cvt_f32_i32_sdwa v8, sext(v15) dst_sel:DWORD dst_unused:UNUSED_PAD src0_sel:BYTE_3
	v_fmac_f32_e32 v10, v8, v7
	v_cvt_f32_i32_sdwa v7, sext(v16) dst_sel:DWORD dst_unused:UNUSED_PAD src0_sel:BYTE_0
	v_cvt_f32_i32_sdwa v8, sext(v1) dst_sel:DWORD dst_unused:UNUSED_PAD src0_sel:BYTE_1
	v_fmac_f32_e32 v14, v7, v8
	v_cvt_f32_i32_sdwa v7, sext(v16) dst_sel:DWORD dst_unused:UNUSED_PAD src0_sel:BYTE_1
	v_fmac_f32_e32 v13, v7, v8
	v_cvt_f32_i32_sdwa v7, sext(v16) dst_sel:DWORD dst_unused:UNUSED_PAD src0_sel:BYTE_2
	v_fmac_f32_e32 v12, v7, v8
	v_cvt_f32_i32_sdwa v7, sext(v16) dst_sel:DWORD dst_unused:UNUSED_PAD src0_sel:BYTE_3
	v_fmac_f32_e32 v10, v7, v8
	v_cvt_f32_i32_sdwa v7, sext(v17) dst_sel:DWORD dst_unused:UNUSED_PAD src0_sel:BYTE_0
	v_cvt_f32_i32_sdwa v8, sext(v1) dst_sel:DWORD dst_unused:UNUSED_PAD src0_sel:BYTE_2
	v_cvt_f32_i32_sdwa v1, sext(v1) dst_sel:DWORD dst_unused:UNUSED_PAD src0_sel:BYTE_3
	v_fmac_f32_e32 v14, v7, v8
	v_cvt_f32_i32_sdwa v7, sext(v17) dst_sel:DWORD dst_unused:UNUSED_PAD src0_sel:BYTE_1
	v_fmac_f32_e32 v13, v7, v8
	v_cvt_f32_i32_sdwa v7, sext(v17) dst_sel:DWORD dst_unused:UNUSED_PAD src0_sel:BYTE_2
	v_fmac_f32_e32 v12, v7, v8
	v_cvt_f32_i32_sdwa v7, sext(v17) dst_sel:DWORD dst_unused:UNUSED_PAD src0_sel:BYTE_3
	v_fmac_f32_e32 v10, v7, v8
	v_cvt_f32_i32_sdwa v7, sext(v18) dst_sel:DWORD dst_unused:UNUSED_PAD src0_sel:BYTE_0
	v_fmac_f32_e32 v14, v7, v1
	v_cvt_f32_i32_sdwa v7, sext(v18) dst_sel:DWORD dst_unused:UNUSED_PAD src0_sel:BYTE_1
	v_fmac_f32_e32 v13, v7, v1
	v_cvt_f32_i32_sdwa v7, sext(v18) dst_sel:DWORD dst_unused:UNUSED_PAD src0_sel:BYTE_2
	v_fmac_f32_e32 v12, v7, v1
	v_cvt_f32_i32_sdwa v7, sext(v18) dst_sel:DWORD dst_unused:UNUSED_PAD src0_sel:BYTE_3
	v_fmac_f32_e32 v10, v7, v1
	s_andn2_b64 exec, exec, s[8:9]
	s_cbranch_execnz .LBB79_33
; %bb.34:
	s_or_b64 exec, exec, s[8:9]
.LBB79_35:
	s_or_b64 exec, exec, s[0:1]
.LBB79_36:
	s_or_b64 exec, exec, s[2:3]
.LBB79_37:
	v_mov_b32_dpp v0, v14 row_shr:1 row_mask:0xf bank_mask:0xf
	v_mov_b32_dpp v2, v13 row_shr:1 row_mask:0xf bank_mask:0xf
	v_mov_b32_dpp v5, v12 row_shr:1 row_mask:0xf bank_mask:0xf
	v_mov_b32_dpp v7, v10 row_shr:1 row_mask:0xf bank_mask:0xf
	v_add_f32_e32 v0, v14, v0
	v_add_f32_e32 v2, v13, v2
	v_add_f32_e32 v5, v12, v5
	v_add_f32_e32 v7, v10, v7
	v_mov_b32_dpp v1, v0 row_shr:2 row_mask:0xf bank_mask:0xf
	v_mov_b32_dpp v3, v2 row_shr:2 row_mask:0xf bank_mask:0xf
	v_mov_b32_dpp v6, v5 row_shr:2 row_mask:0xf bank_mask:0xf
	v_mov_b32_dpp v8, v7 row_shr:2 row_mask:0xf bank_mask:0xf
	v_add_f32_e32 v0, v0, v1
	v_add_f32_e32 v2, v2, v3
	v_add_f32_e32 v5, v5, v6
	v_add_f32_e32 v7, v7, v8
	;; [unrolled: 8-line block ×4, first 2 shown]
	v_mov_b32_dpp v1, v0 row_bcast:15 row_mask:0xa bank_mask:0xf
	v_mov_b32_dpp v3, v2 row_bcast:15 row_mask:0xa bank_mask:0xf
	;; [unrolled: 1-line block ×4, first 2 shown]
	v_add_f32_e32 v0, v0, v1
	v_add_f32_e32 v2, v2, v3
	;; [unrolled: 1-line block ×4, first 2 shown]
	v_mov_b32_dpp v1, v0 row_bcast:31 row_mask:0xc bank_mask:0xf
	v_mov_b32_dpp v3, v2 row_bcast:31 row_mask:0xc bank_mask:0xf
	;; [unrolled: 1-line block ×4, first 2 shown]
	v_cmp_eq_u32_e32 vcc, 63, v9
	s_and_b64 exec, exec, vcc
	s_cbranch_execz .LBB79_10
; %bb.38:
	s_load_dwordx2 s[0:1], s[4:5], 0x50
	v_add_f32_e32 v0, v0, v1
	v_add_f32_e32 v1, v2, v3
	;; [unrolled: 1-line block ×4, first 2 shown]
	v_cmp_eq_f32_e64 s[2:3], s16, 0
	s_and_b64 vcc, exec, s[2:3]
	v_mul_f32_e32 v0, s18, v0
	v_mul_f32_e32 v1, s18, v1
	;; [unrolled: 1-line block ×4, first 2 shown]
	v_lshlrev_b32_e32 v4, 2, v4
	s_cbranch_vccz .LBB79_40
; %bb.39:
	v_ashrrev_i32_e32 v5, 31, v4
	v_lshlrev_b64 v[5:6], 2, v[4:5]
	s_waitcnt lgkmcnt(0)
	v_mov_b32_e32 v7, s1
	v_add_co_u32_e32 v5, vcc, s0, v5
	v_addc_co_u32_e32 v6, vcc, v7, v6, vcc
	global_store_dwordx4 v[5:6], v[0:3], off
	s_cbranch_execnz .LBB79_10
	s_branch .LBB79_41
.LBB79_40:
.LBB79_41:
	v_ashrrev_i32_e32 v5, 31, v4
	v_lshlrev_b64 v[4:5], 2, v[4:5]
	s_waitcnt lgkmcnt(0)
	v_mov_b32_e32 v6, s1
	v_add_co_u32_e32 v8, vcc, s0, v4
	v_addc_co_u32_e32 v9, vcc, v6, v5, vcc
	global_load_dwordx4 v[4:7], v[8:9], off
	s_waitcnt vmcnt(0)
	v_fmac_f32_e32 v0, s16, v4
	v_fmac_f32_e32 v1, s16, v5
	;; [unrolled: 1-line block ×4, first 2 shown]
	global_store_dwordx4 v[8:9], v[0:3], off
	s_endpgm
	.section	.rodata,"a",@progbits
	.p2align	6, 0x0
	.amdhsa_kernel _ZN9rocsparseL18bsrxmvn_4x4_kernelILj128ELj64EfiiaafEEvT3_20rocsparse_direction_NS_24const_host_device_scalarIT1_EES1_PKS1_PKT2_SA_S7_PKT4_PKT5_S5_PT6_21rocsparse_index_base_b
		.amdhsa_group_segment_fixed_size 0
		.amdhsa_private_segment_fixed_size 0
		.amdhsa_kernarg_size 96
		.amdhsa_user_sgpr_count 6
		.amdhsa_user_sgpr_private_segment_buffer 1
		.amdhsa_user_sgpr_dispatch_ptr 0
		.amdhsa_user_sgpr_queue_ptr 0
		.amdhsa_user_sgpr_kernarg_segment_ptr 1
		.amdhsa_user_sgpr_dispatch_id 0
		.amdhsa_user_sgpr_flat_scratch_init 0
		.amdhsa_user_sgpr_private_segment_size 0
		.amdhsa_uses_dynamic_stack 0
		.amdhsa_system_sgpr_private_segment_wavefront_offset 0
		.amdhsa_system_sgpr_workgroup_id_x 1
		.amdhsa_system_sgpr_workgroup_id_y 0
		.amdhsa_system_sgpr_workgroup_id_z 0
		.amdhsa_system_sgpr_workgroup_info 0
		.amdhsa_system_vgpr_workitem_id 0
		.amdhsa_next_free_vgpr 38
		.amdhsa_next_free_sgpr 22
		.amdhsa_reserve_vcc 1
		.amdhsa_reserve_flat_scratch 0
		.amdhsa_float_round_mode_32 0
		.amdhsa_float_round_mode_16_64 0
		.amdhsa_float_denorm_mode_32 3
		.amdhsa_float_denorm_mode_16_64 3
		.amdhsa_dx10_clamp 1
		.amdhsa_ieee_mode 1
		.amdhsa_fp16_overflow 0
		.amdhsa_exception_fp_ieee_invalid_op 0
		.amdhsa_exception_fp_denorm_src 0
		.amdhsa_exception_fp_ieee_div_zero 0
		.amdhsa_exception_fp_ieee_overflow 0
		.amdhsa_exception_fp_ieee_underflow 0
		.amdhsa_exception_fp_ieee_inexact 0
		.amdhsa_exception_int_div_zero 0
	.end_amdhsa_kernel
	.section	.text._ZN9rocsparseL18bsrxmvn_4x4_kernelILj128ELj64EfiiaafEEvT3_20rocsparse_direction_NS_24const_host_device_scalarIT1_EES1_PKS1_PKT2_SA_S7_PKT4_PKT5_S5_PT6_21rocsparse_index_base_b,"axG",@progbits,_ZN9rocsparseL18bsrxmvn_4x4_kernelILj128ELj64EfiiaafEEvT3_20rocsparse_direction_NS_24const_host_device_scalarIT1_EES1_PKS1_PKT2_SA_S7_PKT4_PKT5_S5_PT6_21rocsparse_index_base_b,comdat
.Lfunc_end79:
	.size	_ZN9rocsparseL18bsrxmvn_4x4_kernelILj128ELj64EfiiaafEEvT3_20rocsparse_direction_NS_24const_host_device_scalarIT1_EES1_PKS1_PKT2_SA_S7_PKT4_PKT5_S5_PT6_21rocsparse_index_base_b, .Lfunc_end79-_ZN9rocsparseL18bsrxmvn_4x4_kernelILj128ELj64EfiiaafEEvT3_20rocsparse_direction_NS_24const_host_device_scalarIT1_EES1_PKS1_PKT2_SA_S7_PKT4_PKT5_S5_PT6_21rocsparse_index_base_b
                                        ; -- End function
	.set _ZN9rocsparseL18bsrxmvn_4x4_kernelILj128ELj64EfiiaafEEvT3_20rocsparse_direction_NS_24const_host_device_scalarIT1_EES1_PKS1_PKT2_SA_S7_PKT4_PKT5_S5_PT6_21rocsparse_index_base_b.num_vgpr, 38
	.set _ZN9rocsparseL18bsrxmvn_4x4_kernelILj128ELj64EfiiaafEEvT3_20rocsparse_direction_NS_24const_host_device_scalarIT1_EES1_PKS1_PKT2_SA_S7_PKT4_PKT5_S5_PT6_21rocsparse_index_base_b.num_agpr, 0
	.set _ZN9rocsparseL18bsrxmvn_4x4_kernelILj128ELj64EfiiaafEEvT3_20rocsparse_direction_NS_24const_host_device_scalarIT1_EES1_PKS1_PKT2_SA_S7_PKT4_PKT5_S5_PT6_21rocsparse_index_base_b.numbered_sgpr, 22
	.set _ZN9rocsparseL18bsrxmvn_4x4_kernelILj128ELj64EfiiaafEEvT3_20rocsparse_direction_NS_24const_host_device_scalarIT1_EES1_PKS1_PKT2_SA_S7_PKT4_PKT5_S5_PT6_21rocsparse_index_base_b.num_named_barrier, 0
	.set _ZN9rocsparseL18bsrxmvn_4x4_kernelILj128ELj64EfiiaafEEvT3_20rocsparse_direction_NS_24const_host_device_scalarIT1_EES1_PKS1_PKT2_SA_S7_PKT4_PKT5_S5_PT6_21rocsparse_index_base_b.private_seg_size, 0
	.set _ZN9rocsparseL18bsrxmvn_4x4_kernelILj128ELj64EfiiaafEEvT3_20rocsparse_direction_NS_24const_host_device_scalarIT1_EES1_PKS1_PKT2_SA_S7_PKT4_PKT5_S5_PT6_21rocsparse_index_base_b.uses_vcc, 1
	.set _ZN9rocsparseL18bsrxmvn_4x4_kernelILj128ELj64EfiiaafEEvT3_20rocsparse_direction_NS_24const_host_device_scalarIT1_EES1_PKS1_PKT2_SA_S7_PKT4_PKT5_S5_PT6_21rocsparse_index_base_b.uses_flat_scratch, 0
	.set _ZN9rocsparseL18bsrxmvn_4x4_kernelILj128ELj64EfiiaafEEvT3_20rocsparse_direction_NS_24const_host_device_scalarIT1_EES1_PKS1_PKT2_SA_S7_PKT4_PKT5_S5_PT6_21rocsparse_index_base_b.has_dyn_sized_stack, 0
	.set _ZN9rocsparseL18bsrxmvn_4x4_kernelILj128ELj64EfiiaafEEvT3_20rocsparse_direction_NS_24const_host_device_scalarIT1_EES1_PKS1_PKT2_SA_S7_PKT4_PKT5_S5_PT6_21rocsparse_index_base_b.has_recursion, 0
	.set _ZN9rocsparseL18bsrxmvn_4x4_kernelILj128ELj64EfiiaafEEvT3_20rocsparse_direction_NS_24const_host_device_scalarIT1_EES1_PKS1_PKT2_SA_S7_PKT4_PKT5_S5_PT6_21rocsparse_index_base_b.has_indirect_call, 0
	.section	.AMDGPU.csdata,"",@progbits
; Kernel info:
; codeLenInByte = 4320
; TotalNumSgprs: 26
; NumVgprs: 38
; ScratchSize: 0
; MemoryBound: 0
; FloatMode: 240
; IeeeMode: 1
; LDSByteSize: 0 bytes/workgroup (compile time only)
; SGPRBlocks: 3
; VGPRBlocks: 9
; NumSGPRsForWavesPerEU: 26
; NumVGPRsForWavesPerEU: 38
; Occupancy: 6
; WaveLimiterHint : 1
; COMPUTE_PGM_RSRC2:SCRATCH_EN: 0
; COMPUTE_PGM_RSRC2:USER_SGPR: 6
; COMPUTE_PGM_RSRC2:TRAP_HANDLER: 0
; COMPUTE_PGM_RSRC2:TGID_X_EN: 1
; COMPUTE_PGM_RSRC2:TGID_Y_EN: 0
; COMPUTE_PGM_RSRC2:TGID_Z_EN: 0
; COMPUTE_PGM_RSRC2:TIDIG_COMP_CNT: 0
	.section	.text._ZN9rocsparseL18bsrxmvn_4x4_kernelILj128ELj4EfliaafEEvT3_20rocsparse_direction_NS_24const_host_device_scalarIT1_EES1_PKS1_PKT2_SA_S7_PKT4_PKT5_S5_PT6_21rocsparse_index_base_b,"axG",@progbits,_ZN9rocsparseL18bsrxmvn_4x4_kernelILj128ELj4EfliaafEEvT3_20rocsparse_direction_NS_24const_host_device_scalarIT1_EES1_PKS1_PKT2_SA_S7_PKT4_PKT5_S5_PT6_21rocsparse_index_base_b,comdat
	.globl	_ZN9rocsparseL18bsrxmvn_4x4_kernelILj128ELj4EfliaafEEvT3_20rocsparse_direction_NS_24const_host_device_scalarIT1_EES1_PKS1_PKT2_SA_S7_PKT4_PKT5_S5_PT6_21rocsparse_index_base_b ; -- Begin function _ZN9rocsparseL18bsrxmvn_4x4_kernelILj128ELj4EfliaafEEvT3_20rocsparse_direction_NS_24const_host_device_scalarIT1_EES1_PKS1_PKT2_SA_S7_PKT4_PKT5_S5_PT6_21rocsparse_index_base_b
	.p2align	8
	.type	_ZN9rocsparseL18bsrxmvn_4x4_kernelILj128ELj4EfliaafEEvT3_20rocsparse_direction_NS_24const_host_device_scalarIT1_EES1_PKS1_PKT2_SA_S7_PKT4_PKT5_S5_PT6_21rocsparse_index_base_b,@function
_ZN9rocsparseL18bsrxmvn_4x4_kernelILj128ELj4EfliaafEEvT3_20rocsparse_direction_NS_24const_host_device_scalarIT1_EES1_PKS1_PKT2_SA_S7_PKT4_PKT5_S5_PT6_21rocsparse_index_base_b: ; @_ZN9rocsparseL18bsrxmvn_4x4_kernelILj128ELj4EfliaafEEvT3_20rocsparse_direction_NS_24const_host_device_scalarIT1_EES1_PKS1_PKT2_SA_S7_PKT4_PKT5_S5_PT6_21rocsparse_index_base_b
; %bb.0:
	s_load_dwordx2 s[18:19], s[4:5], 0x58
	s_load_dwordx2 s[16:17], s[4:5], 0x8
	;; [unrolled: 1-line block ×3, first 2 shown]
	s_waitcnt lgkmcnt(0)
	s_bitcmp1_b32 s19, 0
	s_cselect_b64 s[8:9], -1, 0
	s_xor_b64 s[0:1], s[8:9], -1
	s_and_b64 vcc, exec, s[8:9]
	s_cbranch_vccnz .LBB80_2
; %bb.1:
	s_load_dword s16, s[16:17], 0x0
.LBB80_2:
	s_andn2_b64 vcc, exec, s[0:1]
	s_cbranch_vccnz .LBB80_4
; %bb.3:
	s_load_dword s2, s[2:3], 0x0
.LBB80_4:
	s_waitcnt lgkmcnt(0)
	v_cmp_neq_f32_e64 s[0:1], s16, 0
	v_cmp_neq_f32_e64 s[8:9], s2, 1.0
	s_or_b64 s[0:1], s[0:1], s[8:9]
	s_andn2_b64 vcc, exec, s[0:1]
	s_cbranch_vccnz .LBB80_10
; %bb.5:
	s_load_dwordx2 s[8:9], s[4:5], 0x18
	s_load_dwordx2 s[0:1], s[4:5], 0x0
	v_lshrrev_b32_e32 v1, 2, v0
	v_lshl_or_b32 v4, s6, 5, v1
	s_mov_b64 s[6:7], 0
	s_waitcnt lgkmcnt(0)
	s_cmp_lg_u64 s[8:9], 0
	s_cbranch_scc0 .LBB80_11
; %bb.6:
	s_load_dword s3, s[4:5], 0x10
                                        ; implicit-def: $vgpr1
	s_waitcnt lgkmcnt(0)
	v_cmp_gt_i32_e32 vcc, s3, v4
	s_and_saveexec_b64 s[10:11], vcc
	s_xor_b64 s[10:11], exec, s[10:11]
	s_cbranch_execz .LBB80_8
; %bb.7:
	v_ashrrev_i32_e32 v5, 31, v4
	v_lshlrev_b64 v[1:2], 2, v[4:5]
	v_mov_b32_e32 v3, s9
	v_add_co_u32_e32 v1, vcc, s8, v1
	v_addc_co_u32_e32 v2, vcc, v3, v2, vcc
	global_load_dword v1, v[1:2], off
	s_mov_b64 s[6:7], exec
	s_waitcnt vmcnt(0)
	v_subrev_u32_e32 v1, s18, v1
.LBB80_8:
	s_or_b64 exec, exec, s[10:11]
	s_branch .LBB80_12
.LBB80_9:
	v_cmp_gt_i32_e32 vcc, s0, v4
	s_andn2_b64 s[6:7], s[6:7], exec
	s_and_b64 s[8:9], vcc, exec
	s_or_b64 s[6:7], s[6:7], s[8:9]
	s_and_saveexec_b64 s[8:9], s[6:7]
	s_cbranch_execnz .LBB80_13
.LBB80_10:
	s_endpgm
.LBB80_11:
                                        ; implicit-def: $vgpr1
	s_cbranch_execnz .LBB80_9
.LBB80_12:
	v_mov_b32_e32 v4, v1
	s_and_saveexec_b64 s[8:9], s[6:7]
	s_cbranch_execz .LBB80_10
.LBB80_13:
	s_load_dwordx8 s[8:15], s[4:5], 0x20
	v_ashrrev_i32_e32 v5, 31, v4
	v_lshlrev_b64 v[1:2], 3, v[4:5]
	v_and_b32_e32 v21, 3, v0
	s_load_dwordx2 s[6:7], s[4:5], 0x40
	s_waitcnt lgkmcnt(0)
	v_mov_b32_e32 v3, s9
	v_add_co_u32_e32 v5, vcc, s8, v1
	v_addc_co_u32_e32 v6, vcc, v3, v2, vcc
	v_add_co_u32_e32 v3, vcc, 8, v5
	global_load_dwordx2 v[9:10], v[5:6], off
	v_addc_co_u32_e32 v5, vcc, 0, v6, vcc
	v_mov_b32_e32 v6, s11
	v_add_co_u32_e32 v1, vcc, s10, v1
	s_cmp_eq_u64 s[10:11], 0
	v_addc_co_u32_e32 v2, vcc, v6, v2, vcc
	s_cselect_b64 vcc, -1, 0
	v_cndmask_b32_e32 v2, v2, v5, vcc
	v_cndmask_b32_e32 v1, v1, v3, vcc
	global_load_dwordx2 v[2:3], v[1:2], off
	v_mov_b32_e32 v8, s15
	s_cmp_eq_u32 s1, 1
	v_mov_b32_e32 v7, 0
	s_waitcnt vmcnt(1)
	v_subrev_co_u32_e32 v0, vcc, s18, v9
	v_subbrev_co_u32_e32 v1, vcc, 0, v10, vcc
	v_add_co_u32_e32 v0, vcc, v0, v21
	v_addc_co_u32_e32 v1, vcc, 0, v1, vcc
	v_lshlrev_b64 v[5:6], 4, v[0:1]
	s_waitcnt vmcnt(0)
	v_subrev_co_u32_e32 v2, vcc, s18, v2
	v_subbrev_co_u32_e32 v3, vcc, 0, v3, vcc
	v_cmp_lt_i64_e64 s[0:1], v[0:1], v[2:3]
	v_add_co_u32_e32 v5, vcc, s14, v5
	v_addc_co_u32_e32 v6, vcc, v8, v6, vcc
	s_cbranch_scc1 .LBB80_25
; %bb.14:
	v_mov_b32_e32 v22, 0
	v_mov_b32_e32 v23, 0
	;; [unrolled: 1-line block ×3, first 2 shown]
	s_and_saveexec_b64 s[8:9], s[0:1]
	s_cbranch_execz .LBB80_24
; %bb.15:
	v_or_b32_e32 v7, 4, v21
	v_subrev_co_u32_e32 v7, vcc, s18, v7
	v_subb_co_u32_e64 v8, s[10:11], 0, 0, vcc
	v_add_co_u32_e32 v7, vcc, v7, v9
	v_addc_co_u32_e32 v8, vcc, v8, v10, vcc
	v_cmp_gt_i64_e32 vcc, v[7:8], v[2:3]
	v_not_b32_e32 v12, v9
	v_cndmask_b32_e32 v8, v3, v8, vcc
	v_cndmask_b32_e32 v7, v2, v7, vcc
	v_sub_co_u32_e32 v13, vcc, s18, v21
	v_not_b32_e32 v11, v10
	v_subb_co_u32_e64 v14, s[10:11], 0, 0, vcc
	v_add_co_u32_e32 v12, vcc, v13, v12
	v_addc_co_u32_e32 v11, vcc, v14, v11, vcc
	v_add_co_u32_e32 v15, vcc, v12, v7
	v_addc_co_u32_e32 v16, vcc, v11, v8, vcc
	v_and_b32_e32 v7, 12, v15
	v_mov_b32_e32 v8, 0
	v_cmp_ne_u64_e32 vcc, 12, v[7:8]
	v_mov_b32_e32 v12, v1
	v_mov_b32_e32 v14, v6
	;; [unrolled: 1-line block ×7, first 2 shown]
	s_and_saveexec_b64 s[10:11], vcc
	s_cbranch_execz .LBB80_19
; %bb.16:
	v_lshlrev_b64 v[11:12], 2, v[0:1]
	v_lshrrev_b32_e32 v7, 2, v15
	v_add_u32_e32 v7, 1, v7
	v_mov_b32_e32 v13, s13
	v_add_co_u32_e32 v17, vcc, s12, v11
	v_and_b32_e32 v8, 3, v7
	v_addc_co_u32_e32 v18, vcc, v13, v12, vcc
	v_sub_co_u32_e32 v19, vcc, 0, v8
	v_mov_b32_e32 v14, v6
	v_mov_b32_e32 v12, v1
	;; [unrolled: 1-line block ×3, first 2 shown]
	s_mov_b64 s[14:15], 0
	v_subb_co_u32_e64 v20, s[20:21], 0, 0, vcc
	v_mov_b32_e32 v24, s7
	v_mov_b32_e32 v13, v5
	;; [unrolled: 1-line block ×6, first 2 shown]
.LBB80_17:                              ; =>This Inner Loop Header: Depth=1
	global_load_dword v29, v[17:18], off
	global_load_dwordx4 v[25:28], v[13:14], off
	s_waitcnt vmcnt(1)
	v_subrev_u32_e32 v29, s18, v29
	v_lshlrev_b32_e32 v29, 2, v29
	v_ashrrev_i32_e32 v30, 31, v29
	v_add_co_u32_e32 v29, vcc, s6, v29
	v_addc_co_u32_e32 v30, vcc, v24, v30, vcc
	global_load_dword v29, v[29:30], off
	v_add_co_u32_e32 v13, vcc, 64, v13
	v_addc_co_u32_e32 v14, vcc, 0, v14, vcc
	v_add_co_u32_e32 v11, vcc, 4, v11
	v_addc_co_u32_e32 v12, vcc, 0, v12, vcc
	s_waitcnt vmcnt(1)
	v_cvt_f32_i32_sdwa v30, sext(v25) dst_sel:DWORD dst_unused:UNUSED_PAD src0_sel:BYTE_0
	v_cvt_f32_i32_sdwa v33, sext(v26) dst_sel:DWORD dst_unused:UNUSED_PAD src0_sel:BYTE_0
	;; [unrolled: 1-line block ×4, first 2 shown]
	v_add_co_u32_e32 v17, vcc, 16, v17
	v_cvt_f32_i32_sdwa v31, sext(v25) dst_sel:DWORD dst_unused:UNUSED_PAD src0_sel:BYTE_1
	v_cvt_f32_i32_sdwa v34, sext(v26) dst_sel:DWORD dst_unused:UNUSED_PAD src0_sel:BYTE_1
	;; [unrolled: 1-line block ×4, first 2 shown]
	v_addc_co_u32_e32 v18, vcc, 0, v18, vcc
	v_cvt_f32_i32_sdwa v32, sext(v25) dst_sel:DWORD dst_unused:UNUSED_PAD src0_sel:BYTE_2
	v_cvt_f32_i32_sdwa v35, sext(v26) dst_sel:DWORD dst_unused:UNUSED_PAD src0_sel:BYTE_2
	;; [unrolled: 1-line block ×4, first 2 shown]
	v_add_co_u32_e32 v19, vcc, 1, v19
	v_cvt_f32_i32_sdwa v25, sext(v25) dst_sel:DWORD dst_unused:UNUSED_PAD src0_sel:BYTE_3
	v_cvt_f32_i32_sdwa v26, sext(v26) dst_sel:DWORD dst_unused:UNUSED_PAD src0_sel:BYTE_3
	v_cvt_f32_i32_sdwa v27, sext(v27) dst_sel:DWORD dst_unused:UNUSED_PAD src0_sel:BYTE_3
	v_cvt_f32_i32_sdwa v28, sext(v28) dst_sel:DWORD dst_unused:UNUSED_PAD src0_sel:BYTE_3
	v_addc_co_u32_e32 v20, vcc, 0, v20, vcc
	v_cmp_eq_u64_e32 vcc, 0, v[19:20]
	s_or_b64 s[14:15], vcc, s[14:15]
	s_waitcnt vmcnt(0)
	v_cvt_f32_i32_sdwa v42, sext(v29) dst_sel:DWORD dst_unused:UNUSED_PAD src0_sel:BYTE_0
	v_cvt_f32_i32_sdwa v43, sext(v29) dst_sel:DWORD dst_unused:UNUSED_PAD src0_sel:BYTE_1
	v_cvt_f32_i32_sdwa v44, sext(v29) dst_sel:DWORD dst_unused:UNUSED_PAD src0_sel:BYTE_2
	v_cvt_f32_i32_sdwa v29, sext(v29) dst_sel:DWORD dst_unused:UNUSED_PAD src0_sel:BYTE_3
	v_fmac_f32_e32 v8, v30, v42
	v_fmac_f32_e32 v23, v33, v42
	;; [unrolled: 1-line block ×16, first 2 shown]
	s_andn2_b64 exec, exec, s[14:15]
	s_cbranch_execnz .LBB80_17
; %bb.18:
	s_or_b64 exec, exec, s[14:15]
.LBB80_19:
	s_or_b64 exec, exec, s[10:11]
	v_cmp_lt_u64_e32 vcc, 11, v[15:16]
	s_and_saveexec_b64 s[10:11], vcc
	s_cbranch_execz .LBB80_23
; %bb.20:
	v_lshlrev_b64 v[15:16], 2, v[11:12]
	v_mov_b32_e32 v17, s13
	v_add_co_u32_e32 v15, vcc, s12, v15
	v_addc_co_u32_e32 v16, vcc, v17, v16, vcc
	v_add_co_u32_e32 v15, vcc, 32, v15
	v_addc_co_u32_e32 v16, vcc, 0, v16, vcc
	s_mov_b64 s[14:15], 0
	v_mov_b32_e32 v17, s7
	s_movk_i32 s3, 0x100
.LBB80_21:                              ; =>This Inner Loop Header: Depth=1
	global_load_dword v18, v[15:16], off offset:-32
	global_load_dwordx4 v[24:27], v[13:14], off
	s_waitcnt vmcnt(1)
	v_subrev_u32_e32 v18, s18, v18
	v_lshlrev_b32_e32 v18, 2, v18
	v_ashrrev_i32_e32 v19, 31, v18
	v_add_co_u32_e32 v18, vcc, s6, v18
	v_addc_co_u32_e32 v19, vcc, v17, v19, vcc
	global_load_dword v18, v[18:19], off
	s_waitcnt vmcnt(1)
	v_cvt_f32_i32_sdwa v20, sext(v24) dst_sel:DWORD dst_unused:UNUSED_PAD src0_sel:BYTE_0
	s_waitcnt vmcnt(0)
	v_cvt_f32_i32_sdwa v19, sext(v18) dst_sel:DWORD dst_unused:UNUSED_PAD src0_sel:BYTE_0
	v_cvt_f32_i32_sdwa v28, sext(v18) dst_sel:DWORD dst_unused:UNUSED_PAD src0_sel:BYTE_1
	v_cvt_f32_i32_sdwa v29, sext(v18) dst_sel:DWORD dst_unused:UNUSED_PAD src0_sel:BYTE_2
	v_cvt_f32_i32_sdwa v18, sext(v18) dst_sel:DWORD dst_unused:UNUSED_PAD src0_sel:BYTE_3
	v_fmac_f32_e32 v8, v20, v19
	v_cvt_f32_i32_sdwa v20, sext(v24) dst_sel:DWORD dst_unused:UNUSED_PAD src0_sel:BYTE_1
	v_fmac_f32_e32 v8, v20, v28
	v_cvt_f32_i32_sdwa v20, sext(v24) dst_sel:DWORD dst_unused:UNUSED_PAD src0_sel:BYTE_2
	v_fmac_f32_e32 v8, v20, v29
	v_cvt_f32_i32_sdwa v20, sext(v24) dst_sel:DWORD dst_unused:UNUSED_PAD src0_sel:BYTE_3
	v_fmac_f32_e32 v8, v20, v18
	v_cvt_f32_i32_sdwa v20, sext(v25) dst_sel:DWORD dst_unused:UNUSED_PAD src0_sel:BYTE_0
	v_fmac_f32_e32 v23, v20, v19
	v_cvt_f32_i32_sdwa v20, sext(v25) dst_sel:DWORD dst_unused:UNUSED_PAD src0_sel:BYTE_1
	v_fmac_f32_e32 v23, v20, v28
	v_cvt_f32_i32_sdwa v20, sext(v25) dst_sel:DWORD dst_unused:UNUSED_PAD src0_sel:BYTE_2
	v_fmac_f32_e32 v23, v20, v29
	v_cvt_f32_i32_sdwa v20, sext(v25) dst_sel:DWORD dst_unused:UNUSED_PAD src0_sel:BYTE_3
	v_fmac_f32_e32 v23, v20, v18
	v_cvt_f32_i32_sdwa v20, sext(v26) dst_sel:DWORD dst_unused:UNUSED_PAD src0_sel:BYTE_0
	;; [unrolled: 8-line block ×3, first 2 shown]
	v_fmac_f32_e32 v7, v20, v19
	v_cvt_f32_i32_sdwa v19, sext(v27) dst_sel:DWORD dst_unused:UNUSED_PAD src0_sel:BYTE_1
	v_fmac_f32_e32 v7, v19, v28
	v_cvt_f32_i32_sdwa v19, sext(v27) dst_sel:DWORD dst_unused:UNUSED_PAD src0_sel:BYTE_2
	v_fmac_f32_e32 v7, v19, v29
	v_cvt_f32_i32_sdwa v19, sext(v27) dst_sel:DWORD dst_unused:UNUSED_PAD src0_sel:BYTE_3
	global_load_dwordx4 v[24:27], v[13:14], off offset:64
	v_fmac_f32_e32 v7, v19, v18
	global_load_dword v18, v[15:16], off offset:-16
	s_waitcnt vmcnt(1)
	v_cvt_f32_i32_sdwa v20, sext(v24) dst_sel:DWORD dst_unused:UNUSED_PAD src0_sel:BYTE_0
	s_waitcnt vmcnt(0)
	v_subrev_u32_e32 v18, s18, v18
	v_lshlrev_b32_e32 v18, 2, v18
	v_ashrrev_i32_e32 v19, 31, v18
	v_add_co_u32_e32 v18, vcc, s6, v18
	v_addc_co_u32_e32 v19, vcc, v17, v19, vcc
	global_load_dword v18, v[18:19], off
	s_waitcnt vmcnt(0)
	v_cvt_f32_i32_sdwa v19, sext(v18) dst_sel:DWORD dst_unused:UNUSED_PAD src0_sel:BYTE_0
	v_cvt_f32_i32_sdwa v28, sext(v18) dst_sel:DWORD dst_unused:UNUSED_PAD src0_sel:BYTE_1
	v_cvt_f32_i32_sdwa v29, sext(v18) dst_sel:DWORD dst_unused:UNUSED_PAD src0_sel:BYTE_2
	v_cvt_f32_i32_sdwa v18, sext(v18) dst_sel:DWORD dst_unused:UNUSED_PAD src0_sel:BYTE_3
	v_fmac_f32_e32 v8, v20, v19
	v_cvt_f32_i32_sdwa v20, sext(v24) dst_sel:DWORD dst_unused:UNUSED_PAD src0_sel:BYTE_1
	v_fmac_f32_e32 v8, v20, v28
	v_cvt_f32_i32_sdwa v20, sext(v24) dst_sel:DWORD dst_unused:UNUSED_PAD src0_sel:BYTE_2
	v_fmac_f32_e32 v8, v20, v29
	v_cvt_f32_i32_sdwa v20, sext(v24) dst_sel:DWORD dst_unused:UNUSED_PAD src0_sel:BYTE_3
	v_fmac_f32_e32 v8, v20, v18
	v_cvt_f32_i32_sdwa v20, sext(v25) dst_sel:DWORD dst_unused:UNUSED_PAD src0_sel:BYTE_0
	v_fmac_f32_e32 v23, v20, v19
	v_cvt_f32_i32_sdwa v20, sext(v25) dst_sel:DWORD dst_unused:UNUSED_PAD src0_sel:BYTE_1
	v_fmac_f32_e32 v23, v20, v28
	v_cvt_f32_i32_sdwa v20, sext(v25) dst_sel:DWORD dst_unused:UNUSED_PAD src0_sel:BYTE_2
	v_fmac_f32_e32 v23, v20, v29
	v_cvt_f32_i32_sdwa v20, sext(v25) dst_sel:DWORD dst_unused:UNUSED_PAD src0_sel:BYTE_3
	v_fmac_f32_e32 v23, v20, v18
	v_cvt_f32_i32_sdwa v20, sext(v26) dst_sel:DWORD dst_unused:UNUSED_PAD src0_sel:BYTE_0
	v_fmac_f32_e32 v22, v20, v19
	v_cvt_f32_i32_sdwa v20, sext(v26) dst_sel:DWORD dst_unused:UNUSED_PAD src0_sel:BYTE_1
	v_fmac_f32_e32 v22, v20, v28
	v_cvt_f32_i32_sdwa v20, sext(v26) dst_sel:DWORD dst_unused:UNUSED_PAD src0_sel:BYTE_2
	v_fmac_f32_e32 v22, v20, v29
	v_cvt_f32_i32_sdwa v20, sext(v26) dst_sel:DWORD dst_unused:UNUSED_PAD src0_sel:BYTE_3
	v_fmac_f32_e32 v22, v20, v18
	v_cvt_f32_i32_sdwa v20, sext(v27) dst_sel:DWORD dst_unused:UNUSED_PAD src0_sel:BYTE_0
	v_fmac_f32_e32 v7, v20, v19
	v_cvt_f32_i32_sdwa v19, sext(v27) dst_sel:DWORD dst_unused:UNUSED_PAD src0_sel:BYTE_1
	v_fmac_f32_e32 v7, v19, v28
	v_cvt_f32_i32_sdwa v19, sext(v27) dst_sel:DWORD dst_unused:UNUSED_PAD src0_sel:BYTE_2
	v_fmac_f32_e32 v7, v19, v29
	v_cvt_f32_i32_sdwa v19, sext(v27) dst_sel:DWORD dst_unused:UNUSED_PAD src0_sel:BYTE_3
	global_load_dwordx4 v[24:27], v[13:14], off offset:128
	v_fmac_f32_e32 v7, v19, v18
	global_load_dword v18, v[15:16], off
	s_waitcnt vmcnt(1)
	v_cvt_f32_i32_sdwa v20, sext(v24) dst_sel:DWORD dst_unused:UNUSED_PAD src0_sel:BYTE_0
	s_waitcnt vmcnt(0)
	v_subrev_u32_e32 v18, s18, v18
	v_lshlrev_b32_e32 v18, 2, v18
	v_ashrrev_i32_e32 v19, 31, v18
	v_add_co_u32_e32 v18, vcc, s6, v18
	v_addc_co_u32_e32 v19, vcc, v17, v19, vcc
	global_load_dword v18, v[18:19], off
	s_waitcnt vmcnt(0)
	v_cvt_f32_i32_sdwa v19, sext(v18) dst_sel:DWORD dst_unused:UNUSED_PAD src0_sel:BYTE_0
	v_cvt_f32_i32_sdwa v28, sext(v18) dst_sel:DWORD dst_unused:UNUSED_PAD src0_sel:BYTE_1
	v_cvt_f32_i32_sdwa v29, sext(v18) dst_sel:DWORD dst_unused:UNUSED_PAD src0_sel:BYTE_2
	v_cvt_f32_i32_sdwa v18, sext(v18) dst_sel:DWORD dst_unused:UNUSED_PAD src0_sel:BYTE_3
	v_fmac_f32_e32 v8, v20, v19
	v_cvt_f32_i32_sdwa v20, sext(v24) dst_sel:DWORD dst_unused:UNUSED_PAD src0_sel:BYTE_1
	v_fmac_f32_e32 v8, v20, v28
	v_cvt_f32_i32_sdwa v20, sext(v24) dst_sel:DWORD dst_unused:UNUSED_PAD src0_sel:BYTE_2
	v_fmac_f32_e32 v8, v20, v29
	v_cvt_f32_i32_sdwa v20, sext(v24) dst_sel:DWORD dst_unused:UNUSED_PAD src0_sel:BYTE_3
	v_fmac_f32_e32 v8, v20, v18
	v_cvt_f32_i32_sdwa v20, sext(v25) dst_sel:DWORD dst_unused:UNUSED_PAD src0_sel:BYTE_0
	v_fmac_f32_e32 v23, v20, v19
	v_cvt_f32_i32_sdwa v20, sext(v25) dst_sel:DWORD dst_unused:UNUSED_PAD src0_sel:BYTE_1
	v_fmac_f32_e32 v23, v20, v28
	v_cvt_f32_i32_sdwa v20, sext(v25) dst_sel:DWORD dst_unused:UNUSED_PAD src0_sel:BYTE_2
	v_fmac_f32_e32 v23, v20, v29
	v_cvt_f32_i32_sdwa v20, sext(v25) dst_sel:DWORD dst_unused:UNUSED_PAD src0_sel:BYTE_3
	v_fmac_f32_e32 v23, v20, v18
	v_cvt_f32_i32_sdwa v20, sext(v26) dst_sel:DWORD dst_unused:UNUSED_PAD src0_sel:BYTE_0
	;; [unrolled: 8-line block ×3, first 2 shown]
	v_fmac_f32_e32 v7, v20, v19
	v_cvt_f32_i32_sdwa v19, sext(v27) dst_sel:DWORD dst_unused:UNUSED_PAD src0_sel:BYTE_1
	v_fmac_f32_e32 v7, v19, v28
	v_cvt_f32_i32_sdwa v19, sext(v27) dst_sel:DWORD dst_unused:UNUSED_PAD src0_sel:BYTE_2
	v_fmac_f32_e32 v7, v19, v29
	v_cvt_f32_i32_sdwa v19, sext(v27) dst_sel:DWORD dst_unused:UNUSED_PAD src0_sel:BYTE_3
	global_load_dwordx4 v[24:27], v[13:14], off offset:192
	v_fmac_f32_e32 v7, v19, v18
	global_load_dword v18, v[15:16], off offset:16
	s_waitcnt vmcnt(1)
	v_cvt_f32_i32_sdwa v20, sext(v24) dst_sel:DWORD dst_unused:UNUSED_PAD src0_sel:BYTE_0
	s_waitcnt vmcnt(0)
	v_subrev_u32_e32 v18, s18, v18
	v_lshlrev_b32_e32 v18, 2, v18
	v_ashrrev_i32_e32 v19, 31, v18
	v_add_co_u32_e32 v18, vcc, s6, v18
	v_addc_co_u32_e32 v19, vcc, v17, v19, vcc
	global_load_dword v18, v[18:19], off
	v_add_co_u32_e32 v13, vcc, s3, v13
	v_addc_co_u32_e32 v14, vcc, 0, v14, vcc
	v_add_co_u32_e32 v11, vcc, 16, v11
	v_addc_co_u32_e32 v12, vcc, 0, v12, vcc
	;; [unrolled: 2-line block ×3, first 2 shown]
	v_cmp_ge_i64_e32 vcc, v[11:12], v[2:3]
	s_or_b64 s[14:15], vcc, s[14:15]
	s_waitcnt vmcnt(0)
	v_cvt_f32_i32_sdwa v19, sext(v18) dst_sel:DWORD dst_unused:UNUSED_PAD src0_sel:BYTE_0
	v_cvt_f32_i32_sdwa v28, sext(v18) dst_sel:DWORD dst_unused:UNUSED_PAD src0_sel:BYTE_1
	v_cvt_f32_i32_sdwa v29, sext(v18) dst_sel:DWORD dst_unused:UNUSED_PAD src0_sel:BYTE_2
	v_cvt_f32_i32_sdwa v18, sext(v18) dst_sel:DWORD dst_unused:UNUSED_PAD src0_sel:BYTE_3
	v_fmac_f32_e32 v8, v20, v19
	v_cvt_f32_i32_sdwa v20, sext(v24) dst_sel:DWORD dst_unused:UNUSED_PAD src0_sel:BYTE_1
	v_fmac_f32_e32 v8, v20, v28
	v_cvt_f32_i32_sdwa v20, sext(v24) dst_sel:DWORD dst_unused:UNUSED_PAD src0_sel:BYTE_2
	v_fmac_f32_e32 v8, v20, v29
	v_cvt_f32_i32_sdwa v20, sext(v24) dst_sel:DWORD dst_unused:UNUSED_PAD src0_sel:BYTE_3
	v_fmac_f32_e32 v8, v20, v18
	v_cvt_f32_i32_sdwa v20, sext(v25) dst_sel:DWORD dst_unused:UNUSED_PAD src0_sel:BYTE_0
	v_fmac_f32_e32 v23, v20, v19
	v_cvt_f32_i32_sdwa v20, sext(v25) dst_sel:DWORD dst_unused:UNUSED_PAD src0_sel:BYTE_1
	v_fmac_f32_e32 v23, v20, v28
	v_cvt_f32_i32_sdwa v20, sext(v25) dst_sel:DWORD dst_unused:UNUSED_PAD src0_sel:BYTE_2
	v_fmac_f32_e32 v23, v20, v29
	v_cvt_f32_i32_sdwa v20, sext(v25) dst_sel:DWORD dst_unused:UNUSED_PAD src0_sel:BYTE_3
	v_fmac_f32_e32 v23, v20, v18
	v_cvt_f32_i32_sdwa v20, sext(v26) dst_sel:DWORD dst_unused:UNUSED_PAD src0_sel:BYTE_0
	;; [unrolled: 8-line block ×3, first 2 shown]
	v_fmac_f32_e32 v7, v20, v19
	v_cvt_f32_i32_sdwa v19, sext(v27) dst_sel:DWORD dst_unused:UNUSED_PAD src0_sel:BYTE_1
	v_fmac_f32_e32 v7, v19, v28
	v_cvt_f32_i32_sdwa v19, sext(v27) dst_sel:DWORD dst_unused:UNUSED_PAD src0_sel:BYTE_2
	v_fmac_f32_e32 v7, v19, v29
	v_cvt_f32_i32_sdwa v19, sext(v27) dst_sel:DWORD dst_unused:UNUSED_PAD src0_sel:BYTE_3
	v_fmac_f32_e32 v7, v19, v18
	s_andn2_b64 exec, exec, s[14:15]
	s_cbranch_execnz .LBB80_21
; %bb.22:
	s_or_b64 exec, exec, s[14:15]
.LBB80_23:
	s_or_b64 exec, exec, s[10:11]
.LBB80_24:
	s_or_b64 exec, exec, s[8:9]
	s_cbranch_execz .LBB80_26
	s_branch .LBB80_37
.LBB80_25:
                                        ; implicit-def: $vgpr7
                                        ; implicit-def: $vgpr22
                                        ; implicit-def: $vgpr23
                                        ; implicit-def: $vgpr8
.LBB80_26:
	v_mov_b32_e32 v7, 0
	v_mov_b32_e32 v22, 0
	;; [unrolled: 1-line block ×4, first 2 shown]
	s_and_saveexec_b64 s[8:9], s[0:1]
	s_cbranch_execz .LBB80_36
; %bb.27:
	v_or_b32_e32 v7, 4, v21
	v_subrev_co_u32_e32 v7, vcc, s18, v7
	v_subb_co_u32_e64 v8, s[0:1], 0, 0, vcc
	v_add_co_u32_e32 v7, vcc, v7, v9
	v_addc_co_u32_e32 v8, vcc, v8, v10, vcc
	v_cmp_gt_i64_e32 vcc, v[7:8], v[2:3]
	v_not_b32_e32 v9, v9
	v_cndmask_b32_e32 v8, v3, v8, vcc
	v_cndmask_b32_e32 v7, v2, v7, vcc
	v_sub_co_u32_e32 v11, vcc, s18, v21
	v_not_b32_e32 v10, v10
	v_subb_co_u32_e64 v12, s[0:1], 0, 0, vcc
	v_add_co_u32_e32 v9, vcc, v11, v9
	v_addc_co_u32_e32 v10, vcc, v12, v10, vcc
	v_add_co_u32_e32 v9, vcc, v9, v7
	v_addc_co_u32_e32 v10, vcc, v10, v8, vcc
	v_and_b32_e32 v7, 12, v9
	v_mov_b32_e32 v8, 0
	v_cmp_ne_u64_e32 vcc, 12, v[7:8]
	v_mov_b32_e32 v23, v8
	v_mov_b32_e32 v22, v8
	;; [unrolled: 1-line block ×3, first 2 shown]
	s_and_saveexec_b64 s[0:1], vcc
	s_cbranch_execz .LBB80_31
; %bb.28:
	v_lshlrev_b64 v[11:12], 2, v[0:1]
	v_lshrrev_b32_e32 v7, 2, v9
	v_add_u32_e32 v7, 1, v7
	v_mov_b32_e32 v13, s13
	v_add_co_u32_e32 v11, vcc, s12, v11
	v_and_b32_e32 v8, 3, v7
	v_addc_co_u32_e32 v12, vcc, v13, v12, vcc
	v_sub_co_u32_e32 v13, vcc, 0, v8
	v_mov_b32_e32 v7, 0
	s_mov_b64 s[10:11], 0
	v_subb_co_u32_e64 v14, s[14:15], 0, 0, vcc
	v_mov_b32_e32 v15, s7
	v_mov_b32_e32 v22, 0
	;; [unrolled: 1-line block ×4, first 2 shown]
.LBB80_29:                              ; =>This Inner Loop Header: Depth=1
	global_load_dword v20, v[11:12], off
	global_load_dwordx4 v[16:19], v[5:6], off
	s_waitcnt vmcnt(1)
	v_subrev_u32_e32 v20, s18, v20
	v_lshlrev_b32_e32 v20, 2, v20
	v_ashrrev_i32_e32 v25, 31, v20
	v_add_co_u32_e32 v24, vcc, s6, v20
	v_addc_co_u32_e32 v25, vcc, v15, v25, vcc
	global_load_dword v20, v[24:25], off
	v_add_co_u32_e32 v5, vcc, 64, v5
	v_addc_co_u32_e32 v6, vcc, 0, v6, vcc
	v_add_co_u32_e32 v0, vcc, 4, v0
	v_addc_co_u32_e32 v1, vcc, 0, v1, vcc
	s_waitcnt vmcnt(1)
	v_cvt_f32_i32_sdwa v24, sext(v16) dst_sel:DWORD dst_unused:UNUSED_PAD src0_sel:BYTE_0
	v_cvt_f32_i32_sdwa v25, sext(v16) dst_sel:DWORD dst_unused:UNUSED_PAD src0_sel:BYTE_1
	v_cvt_f32_i32_sdwa v26, sext(v16) dst_sel:DWORD dst_unused:UNUSED_PAD src0_sel:BYTE_2
	v_cvt_f32_i32_sdwa v16, sext(v16) dst_sel:DWORD dst_unused:UNUSED_PAD src0_sel:BYTE_3
	v_add_co_u32_e32 v11, vcc, 16, v11
	v_cvt_f32_i32_sdwa v27, sext(v17) dst_sel:DWORD dst_unused:UNUSED_PAD src0_sel:BYTE_0
	v_cvt_f32_i32_sdwa v28, sext(v17) dst_sel:DWORD dst_unused:UNUSED_PAD src0_sel:BYTE_1
	v_cvt_f32_i32_sdwa v29, sext(v17) dst_sel:DWORD dst_unused:UNUSED_PAD src0_sel:BYTE_2
	v_cvt_f32_i32_sdwa v17, sext(v17) dst_sel:DWORD dst_unused:UNUSED_PAD src0_sel:BYTE_3
	v_addc_co_u32_e32 v12, vcc, 0, v12, vcc
	v_cvt_f32_i32_sdwa v30, sext(v18) dst_sel:DWORD dst_unused:UNUSED_PAD src0_sel:BYTE_0
	v_cvt_f32_i32_sdwa v31, sext(v18) dst_sel:DWORD dst_unused:UNUSED_PAD src0_sel:BYTE_1
	v_cvt_f32_i32_sdwa v32, sext(v18) dst_sel:DWORD dst_unused:UNUSED_PAD src0_sel:BYTE_2
	v_cvt_f32_i32_sdwa v18, sext(v18) dst_sel:DWORD dst_unused:UNUSED_PAD src0_sel:BYTE_3
	v_add_co_u32_e32 v13, vcc, 1, v13
	v_cvt_f32_i32_sdwa v33, sext(v19) dst_sel:DWORD dst_unused:UNUSED_PAD src0_sel:BYTE_0
	v_cvt_f32_i32_sdwa v34, sext(v19) dst_sel:DWORD dst_unused:UNUSED_PAD src0_sel:BYTE_1
	v_cvt_f32_i32_sdwa v35, sext(v19) dst_sel:DWORD dst_unused:UNUSED_PAD src0_sel:BYTE_2
	v_cvt_f32_i32_sdwa v19, sext(v19) dst_sel:DWORD dst_unused:UNUSED_PAD src0_sel:BYTE_3
	v_addc_co_u32_e32 v14, vcc, 0, v14, vcc
	v_cmp_eq_u64_e32 vcc, 0, v[13:14]
	s_or_b64 s[10:11], vcc, s[10:11]
	s_waitcnt vmcnt(0)
	v_cvt_f32_i32_sdwa v36, sext(v20) dst_sel:DWORD dst_unused:UNUSED_PAD src0_sel:BYTE_0
	v_cvt_f32_i32_sdwa v37, sext(v20) dst_sel:DWORD dst_unused:UNUSED_PAD src0_sel:BYTE_1
	v_cvt_f32_i32_sdwa v38, sext(v20) dst_sel:DWORD dst_unused:UNUSED_PAD src0_sel:BYTE_2
	v_cvt_f32_i32_sdwa v20, sext(v20) dst_sel:DWORD dst_unused:UNUSED_PAD src0_sel:BYTE_3
	v_fmac_f32_e32 v8, v24, v36
	v_fmac_f32_e32 v23, v25, v36
	;; [unrolled: 1-line block ×16, first 2 shown]
	s_andn2_b64 exec, exec, s[10:11]
	s_cbranch_execnz .LBB80_29
; %bb.30:
	s_or_b64 exec, exec, s[10:11]
.LBB80_31:
	s_or_b64 exec, exec, s[0:1]
	v_cmp_lt_u64_e32 vcc, 11, v[9:10]
	s_and_saveexec_b64 s[0:1], vcc
	s_cbranch_execz .LBB80_35
; %bb.32:
	v_lshlrev_b64 v[9:10], 2, v[0:1]
	v_mov_b32_e32 v11, s13
	v_add_co_u32_e32 v9, vcc, s12, v9
	v_addc_co_u32_e32 v10, vcc, v11, v10, vcc
	v_add_co_u32_e32 v9, vcc, 32, v9
	v_addc_co_u32_e32 v10, vcc, 0, v10, vcc
	s_mov_b64 s[10:11], 0
	v_mov_b32_e32 v11, s7
	s_movk_i32 s3, 0x100
.LBB80_33:                              ; =>This Inner Loop Header: Depth=1
	global_load_dword v12, v[9:10], off offset:-32
	s_waitcnt vmcnt(0)
	v_subrev_u32_e32 v12, s18, v12
	v_lshlrev_b32_e32 v16, 2, v12
	v_ashrrev_i32_e32 v17, 31, v16
	v_add_co_u32_e32 v16, vcc, s6, v16
	v_addc_co_u32_e32 v17, vcc, v11, v17, vcc
	global_load_dwordx4 v[12:15], v[5:6], off
	s_waitcnt vmcnt(0)
	v_cvt_f32_i32_sdwa v18, sext(v12) dst_sel:DWORD dst_unused:UNUSED_PAD src0_sel:BYTE_0
	global_load_dword v16, v[16:17], off
	s_waitcnt vmcnt(0)
	v_cvt_f32_i32_sdwa v17, sext(v16) dst_sel:DWORD dst_unused:UNUSED_PAD src0_sel:BYTE_0
	v_fmac_f32_e32 v8, v18, v17
	v_cvt_f32_i32_sdwa v18, sext(v12) dst_sel:DWORD dst_unused:UNUSED_PAD src0_sel:BYTE_1
	v_fmac_f32_e32 v23, v18, v17
	v_cvt_f32_i32_sdwa v18, sext(v12) dst_sel:DWORD dst_unused:UNUSED_PAD src0_sel:BYTE_2
	v_cvt_f32_i32_sdwa v12, sext(v12) dst_sel:DWORD dst_unused:UNUSED_PAD src0_sel:BYTE_3
	v_fmac_f32_e32 v22, v18, v17
	v_fmac_f32_e32 v7, v12, v17
	v_cvt_f32_i32_sdwa v12, sext(v13) dst_sel:DWORD dst_unused:UNUSED_PAD src0_sel:BYTE_0
	v_cvt_f32_i32_sdwa v17, sext(v16) dst_sel:DWORD dst_unused:UNUSED_PAD src0_sel:BYTE_1
	v_fmac_f32_e32 v8, v12, v17
	v_cvt_f32_i32_sdwa v12, sext(v13) dst_sel:DWORD dst_unused:UNUSED_PAD src0_sel:BYTE_1
	v_fmac_f32_e32 v23, v12, v17
	v_cvt_f32_i32_sdwa v12, sext(v13) dst_sel:DWORD dst_unused:UNUSED_PAD src0_sel:BYTE_2
	v_fmac_f32_e32 v22, v12, v17
	v_cvt_f32_i32_sdwa v12, sext(v13) dst_sel:DWORD dst_unused:UNUSED_PAD src0_sel:BYTE_3
	v_cvt_f32_i32_sdwa v13, sext(v16) dst_sel:DWORD dst_unused:UNUSED_PAD src0_sel:BYTE_2
	v_fmac_f32_e32 v7, v12, v17
	v_cvt_f32_i32_sdwa v12, sext(v14) dst_sel:DWORD dst_unused:UNUSED_PAD src0_sel:BYTE_0
	v_fmac_f32_e32 v8, v12, v13
	v_cvt_f32_i32_sdwa v12, sext(v14) dst_sel:DWORD dst_unused:UNUSED_PAD src0_sel:BYTE_1
	v_fmac_f32_e32 v23, v12, v13
	v_cvt_f32_i32_sdwa v12, sext(v14) dst_sel:DWORD dst_unused:UNUSED_PAD src0_sel:BYTE_2
	v_fmac_f32_e32 v22, v12, v13
	v_cvt_f32_i32_sdwa v12, sext(v14) dst_sel:DWORD dst_unused:UNUSED_PAD src0_sel:BYTE_3
	v_fmac_f32_e32 v7, v12, v13
	v_cvt_f32_i32_sdwa v12, sext(v15) dst_sel:DWORD dst_unused:UNUSED_PAD src0_sel:BYTE_0
	v_cvt_f32_i32_sdwa v13, sext(v16) dst_sel:DWORD dst_unused:UNUSED_PAD src0_sel:BYTE_3
	v_fmac_f32_e32 v8, v12, v13
	v_cvt_f32_i32_sdwa v12, sext(v15) dst_sel:DWORD dst_unused:UNUSED_PAD src0_sel:BYTE_1
	v_fmac_f32_e32 v23, v12, v13
	v_cvt_f32_i32_sdwa v12, sext(v15) dst_sel:DWORD dst_unused:UNUSED_PAD src0_sel:BYTE_2
	v_fmac_f32_e32 v22, v12, v13
	v_cvt_f32_i32_sdwa v12, sext(v15) dst_sel:DWORD dst_unused:UNUSED_PAD src0_sel:BYTE_3
	v_fmac_f32_e32 v7, v12, v13
	global_load_dword v12, v[9:10], off offset:-16
	s_waitcnt vmcnt(0)
	v_subrev_u32_e32 v12, s18, v12
	v_lshlrev_b32_e32 v16, 2, v12
	v_ashrrev_i32_e32 v17, 31, v16
	v_add_co_u32_e32 v16, vcc, s6, v16
	v_addc_co_u32_e32 v17, vcc, v11, v17, vcc
	global_load_dwordx4 v[12:15], v[5:6], off offset:64
	s_waitcnt vmcnt(0)
	v_cvt_f32_i32_sdwa v18, sext(v12) dst_sel:DWORD dst_unused:UNUSED_PAD src0_sel:BYTE_0
	global_load_dword v16, v[16:17], off
	s_waitcnt vmcnt(0)
	v_cvt_f32_i32_sdwa v17, sext(v16) dst_sel:DWORD dst_unused:UNUSED_PAD src0_sel:BYTE_0
	v_fmac_f32_e32 v8, v18, v17
	v_cvt_f32_i32_sdwa v18, sext(v12) dst_sel:DWORD dst_unused:UNUSED_PAD src0_sel:BYTE_1
	v_fmac_f32_e32 v23, v18, v17
	v_cvt_f32_i32_sdwa v18, sext(v12) dst_sel:DWORD dst_unused:UNUSED_PAD src0_sel:BYTE_2
	v_cvt_f32_i32_sdwa v12, sext(v12) dst_sel:DWORD dst_unused:UNUSED_PAD src0_sel:BYTE_3
	v_fmac_f32_e32 v22, v18, v17
	v_fmac_f32_e32 v7, v12, v17
	v_cvt_f32_i32_sdwa v12, sext(v13) dst_sel:DWORD dst_unused:UNUSED_PAD src0_sel:BYTE_0
	v_cvt_f32_i32_sdwa v17, sext(v16) dst_sel:DWORD dst_unused:UNUSED_PAD src0_sel:BYTE_1
	v_fmac_f32_e32 v8, v12, v17
	v_cvt_f32_i32_sdwa v12, sext(v13) dst_sel:DWORD dst_unused:UNUSED_PAD src0_sel:BYTE_1
	v_fmac_f32_e32 v23, v12, v17
	v_cvt_f32_i32_sdwa v12, sext(v13) dst_sel:DWORD dst_unused:UNUSED_PAD src0_sel:BYTE_2
	v_fmac_f32_e32 v22, v12, v17
	v_cvt_f32_i32_sdwa v12, sext(v13) dst_sel:DWORD dst_unused:UNUSED_PAD src0_sel:BYTE_3
	v_cvt_f32_i32_sdwa v13, sext(v16) dst_sel:DWORD dst_unused:UNUSED_PAD src0_sel:BYTE_2
	v_fmac_f32_e32 v7, v12, v17
	v_cvt_f32_i32_sdwa v12, sext(v14) dst_sel:DWORD dst_unused:UNUSED_PAD src0_sel:BYTE_0
	v_fmac_f32_e32 v8, v12, v13
	v_cvt_f32_i32_sdwa v12, sext(v14) dst_sel:DWORD dst_unused:UNUSED_PAD src0_sel:BYTE_1
	v_fmac_f32_e32 v23, v12, v13
	v_cvt_f32_i32_sdwa v12, sext(v14) dst_sel:DWORD dst_unused:UNUSED_PAD src0_sel:BYTE_2
	v_fmac_f32_e32 v22, v12, v13
	v_cvt_f32_i32_sdwa v12, sext(v14) dst_sel:DWORD dst_unused:UNUSED_PAD src0_sel:BYTE_3
	v_fmac_f32_e32 v7, v12, v13
	v_cvt_f32_i32_sdwa v12, sext(v15) dst_sel:DWORD dst_unused:UNUSED_PAD src0_sel:BYTE_0
	v_cvt_f32_i32_sdwa v13, sext(v16) dst_sel:DWORD dst_unused:UNUSED_PAD src0_sel:BYTE_3
	v_fmac_f32_e32 v8, v12, v13
	v_cvt_f32_i32_sdwa v12, sext(v15) dst_sel:DWORD dst_unused:UNUSED_PAD src0_sel:BYTE_1
	v_fmac_f32_e32 v23, v12, v13
	v_cvt_f32_i32_sdwa v12, sext(v15) dst_sel:DWORD dst_unused:UNUSED_PAD src0_sel:BYTE_2
	v_fmac_f32_e32 v22, v12, v13
	v_cvt_f32_i32_sdwa v12, sext(v15) dst_sel:DWORD dst_unused:UNUSED_PAD src0_sel:BYTE_3
	v_fmac_f32_e32 v7, v12, v13
	global_load_dword v12, v[9:10], off
	s_waitcnt vmcnt(0)
	v_subrev_u32_e32 v12, s18, v12
	v_lshlrev_b32_e32 v16, 2, v12
	v_ashrrev_i32_e32 v17, 31, v16
	v_add_co_u32_e32 v16, vcc, s6, v16
	v_addc_co_u32_e32 v17, vcc, v11, v17, vcc
	global_load_dwordx4 v[12:15], v[5:6], off offset:128
	s_waitcnt vmcnt(0)
	v_cvt_f32_i32_sdwa v18, sext(v12) dst_sel:DWORD dst_unused:UNUSED_PAD src0_sel:BYTE_0
	global_load_dword v16, v[16:17], off
	s_waitcnt vmcnt(0)
	v_cvt_f32_i32_sdwa v17, sext(v16) dst_sel:DWORD dst_unused:UNUSED_PAD src0_sel:BYTE_0
	v_fmac_f32_e32 v8, v18, v17
	v_cvt_f32_i32_sdwa v18, sext(v12) dst_sel:DWORD dst_unused:UNUSED_PAD src0_sel:BYTE_1
	v_fmac_f32_e32 v23, v18, v17
	v_cvt_f32_i32_sdwa v18, sext(v12) dst_sel:DWORD dst_unused:UNUSED_PAD src0_sel:BYTE_2
	v_cvt_f32_i32_sdwa v12, sext(v12) dst_sel:DWORD dst_unused:UNUSED_PAD src0_sel:BYTE_3
	v_fmac_f32_e32 v22, v18, v17
	v_fmac_f32_e32 v7, v12, v17
	v_cvt_f32_i32_sdwa v12, sext(v13) dst_sel:DWORD dst_unused:UNUSED_PAD src0_sel:BYTE_0
	v_cvt_f32_i32_sdwa v17, sext(v16) dst_sel:DWORD dst_unused:UNUSED_PAD src0_sel:BYTE_1
	v_fmac_f32_e32 v8, v12, v17
	v_cvt_f32_i32_sdwa v12, sext(v13) dst_sel:DWORD dst_unused:UNUSED_PAD src0_sel:BYTE_1
	v_fmac_f32_e32 v23, v12, v17
	v_cvt_f32_i32_sdwa v12, sext(v13) dst_sel:DWORD dst_unused:UNUSED_PAD src0_sel:BYTE_2
	v_fmac_f32_e32 v22, v12, v17
	v_cvt_f32_i32_sdwa v12, sext(v13) dst_sel:DWORD dst_unused:UNUSED_PAD src0_sel:BYTE_3
	v_cvt_f32_i32_sdwa v13, sext(v16) dst_sel:DWORD dst_unused:UNUSED_PAD src0_sel:BYTE_2
	v_fmac_f32_e32 v7, v12, v17
	v_cvt_f32_i32_sdwa v12, sext(v14) dst_sel:DWORD dst_unused:UNUSED_PAD src0_sel:BYTE_0
	v_fmac_f32_e32 v8, v12, v13
	v_cvt_f32_i32_sdwa v12, sext(v14) dst_sel:DWORD dst_unused:UNUSED_PAD src0_sel:BYTE_1
	v_fmac_f32_e32 v23, v12, v13
	v_cvt_f32_i32_sdwa v12, sext(v14) dst_sel:DWORD dst_unused:UNUSED_PAD src0_sel:BYTE_2
	v_fmac_f32_e32 v22, v12, v13
	v_cvt_f32_i32_sdwa v12, sext(v14) dst_sel:DWORD dst_unused:UNUSED_PAD src0_sel:BYTE_3
	v_fmac_f32_e32 v7, v12, v13
	v_cvt_f32_i32_sdwa v12, sext(v15) dst_sel:DWORD dst_unused:UNUSED_PAD src0_sel:BYTE_0
	v_cvt_f32_i32_sdwa v13, sext(v16) dst_sel:DWORD dst_unused:UNUSED_PAD src0_sel:BYTE_3
	v_fmac_f32_e32 v8, v12, v13
	v_cvt_f32_i32_sdwa v12, sext(v15) dst_sel:DWORD dst_unused:UNUSED_PAD src0_sel:BYTE_1
	v_fmac_f32_e32 v23, v12, v13
	v_cvt_f32_i32_sdwa v12, sext(v15) dst_sel:DWORD dst_unused:UNUSED_PAD src0_sel:BYTE_2
	v_fmac_f32_e32 v22, v12, v13
	v_cvt_f32_i32_sdwa v12, sext(v15) dst_sel:DWORD dst_unused:UNUSED_PAD src0_sel:BYTE_3
	v_fmac_f32_e32 v7, v12, v13
	global_load_dword v12, v[9:10], off offset:16
	s_waitcnt vmcnt(0)
	v_subrev_u32_e32 v12, s18, v12
	v_lshlrev_b32_e32 v16, 2, v12
	v_ashrrev_i32_e32 v17, 31, v16
	v_add_co_u32_e32 v16, vcc, s6, v16
	v_addc_co_u32_e32 v17, vcc, v11, v17, vcc
	global_load_dwordx4 v[12:15], v[5:6], off offset:192
	v_add_co_u32_e32 v5, vcc, s3, v5
	global_load_dword v16, v[16:17], off
	v_addc_co_u32_e32 v6, vcc, 0, v6, vcc
	v_add_co_u32_e32 v0, vcc, 16, v0
	v_addc_co_u32_e32 v1, vcc, 0, v1, vcc
	v_add_co_u32_e32 v9, vcc, 64, v9
	v_addc_co_u32_e32 v10, vcc, 0, v10, vcc
	v_cmp_ge_i64_e32 vcc, v[0:1], v[2:3]
	s_or_b64 s[10:11], vcc, s[10:11]
	s_waitcnt vmcnt(1)
	v_cvt_f32_i32_sdwa v18, sext(v12) dst_sel:DWORD dst_unused:UNUSED_PAD src0_sel:BYTE_0
	s_waitcnt vmcnt(0)
	v_cvt_f32_i32_sdwa v17, sext(v16) dst_sel:DWORD dst_unused:UNUSED_PAD src0_sel:BYTE_0
	v_fmac_f32_e32 v8, v18, v17
	v_cvt_f32_i32_sdwa v18, sext(v12) dst_sel:DWORD dst_unused:UNUSED_PAD src0_sel:BYTE_1
	v_fmac_f32_e32 v23, v18, v17
	v_cvt_f32_i32_sdwa v18, sext(v12) dst_sel:DWORD dst_unused:UNUSED_PAD src0_sel:BYTE_2
	v_cvt_f32_i32_sdwa v12, sext(v12) dst_sel:DWORD dst_unused:UNUSED_PAD src0_sel:BYTE_3
	v_fmac_f32_e32 v22, v18, v17
	v_fmac_f32_e32 v7, v12, v17
	v_cvt_f32_i32_sdwa v12, sext(v13) dst_sel:DWORD dst_unused:UNUSED_PAD src0_sel:BYTE_0
	v_cvt_f32_i32_sdwa v17, sext(v16) dst_sel:DWORD dst_unused:UNUSED_PAD src0_sel:BYTE_1
	v_fmac_f32_e32 v8, v12, v17
	v_cvt_f32_i32_sdwa v12, sext(v13) dst_sel:DWORD dst_unused:UNUSED_PAD src0_sel:BYTE_1
	v_fmac_f32_e32 v23, v12, v17
	v_cvt_f32_i32_sdwa v12, sext(v13) dst_sel:DWORD dst_unused:UNUSED_PAD src0_sel:BYTE_2
	v_fmac_f32_e32 v22, v12, v17
	v_cvt_f32_i32_sdwa v12, sext(v13) dst_sel:DWORD dst_unused:UNUSED_PAD src0_sel:BYTE_3
	v_cvt_f32_i32_sdwa v13, sext(v16) dst_sel:DWORD dst_unused:UNUSED_PAD src0_sel:BYTE_2
	v_fmac_f32_e32 v7, v12, v17
	v_cvt_f32_i32_sdwa v12, sext(v14) dst_sel:DWORD dst_unused:UNUSED_PAD src0_sel:BYTE_0
	v_fmac_f32_e32 v8, v12, v13
	v_cvt_f32_i32_sdwa v12, sext(v14) dst_sel:DWORD dst_unused:UNUSED_PAD src0_sel:BYTE_1
	v_fmac_f32_e32 v23, v12, v13
	v_cvt_f32_i32_sdwa v12, sext(v14) dst_sel:DWORD dst_unused:UNUSED_PAD src0_sel:BYTE_2
	v_fmac_f32_e32 v22, v12, v13
	v_cvt_f32_i32_sdwa v12, sext(v14) dst_sel:DWORD dst_unused:UNUSED_PAD src0_sel:BYTE_3
	v_fmac_f32_e32 v7, v12, v13
	v_cvt_f32_i32_sdwa v12, sext(v15) dst_sel:DWORD dst_unused:UNUSED_PAD src0_sel:BYTE_0
	v_cvt_f32_i32_sdwa v13, sext(v16) dst_sel:DWORD dst_unused:UNUSED_PAD src0_sel:BYTE_3
	v_fmac_f32_e32 v8, v12, v13
	v_cvt_f32_i32_sdwa v12, sext(v15) dst_sel:DWORD dst_unused:UNUSED_PAD src0_sel:BYTE_1
	v_fmac_f32_e32 v23, v12, v13
	v_cvt_f32_i32_sdwa v12, sext(v15) dst_sel:DWORD dst_unused:UNUSED_PAD src0_sel:BYTE_2
	v_fmac_f32_e32 v22, v12, v13
	v_cvt_f32_i32_sdwa v12, sext(v15) dst_sel:DWORD dst_unused:UNUSED_PAD src0_sel:BYTE_3
	v_fmac_f32_e32 v7, v12, v13
	s_andn2_b64 exec, exec, s[10:11]
	s_cbranch_execnz .LBB80_33
; %bb.34:
	s_or_b64 exec, exec, s[10:11]
.LBB80_35:
	s_or_b64 exec, exec, s[0:1]
.LBB80_36:
	s_or_b64 exec, exec, s[8:9]
.LBB80_37:
	v_mov_b32_dpp v0, v8 row_shr:1 row_mask:0xf bank_mask:0xf
	v_add_f32_e32 v0, v8, v0
	v_mov_b32_dpp v2, v23 row_shr:1 row_mask:0xf bank_mask:0xf
	v_mov_b32_dpp v5, v22 row_shr:1 row_mask:0xf bank_mask:0xf
	;; [unrolled: 1-line block ×3, first 2 shown]
	v_add_f32_e32 v2, v23, v2
	v_add_f32_e32 v5, v22, v5
	;; [unrolled: 1-line block ×3, first 2 shown]
	v_mov_b32_dpp v1, v0 row_shr:2 row_mask:0xf bank_mask:0xf
	v_mov_b32_dpp v3, v2 row_shr:2 row_mask:0xf bank_mask:0xf
	;; [unrolled: 1-line block ×4, first 2 shown]
	v_cmp_eq_u32_e32 vcc, 3, v21
	s_and_b64 exec, exec, vcc
	s_cbranch_execz .LBB80_10
; %bb.38:
	s_load_dwordx2 s[0:1], s[4:5], 0x50
	v_add_f32_e32 v0, v0, v1
	v_add_f32_e32 v1, v2, v3
	;; [unrolled: 1-line block ×4, first 2 shown]
	v_cmp_eq_f32_e64 s[4:5], s2, 0
	s_and_b64 vcc, exec, s[4:5]
	v_mul_f32_e32 v0, s16, v0
	v_mul_f32_e32 v1, s16, v1
	;; [unrolled: 1-line block ×4, first 2 shown]
	v_lshlrev_b32_e32 v4, 2, v4
	s_cbranch_vccz .LBB80_40
; %bb.39:
	v_ashrrev_i32_e32 v5, 31, v4
	v_lshlrev_b64 v[5:6], 2, v[4:5]
	s_waitcnt lgkmcnt(0)
	v_mov_b32_e32 v7, s1
	v_add_co_u32_e32 v5, vcc, s0, v5
	v_addc_co_u32_e32 v6, vcc, v7, v6, vcc
	global_store_dwordx4 v[5:6], v[0:3], off
	s_cbranch_execnz .LBB80_10
	s_branch .LBB80_41
.LBB80_40:
.LBB80_41:
	v_ashrrev_i32_e32 v5, 31, v4
	v_lshlrev_b64 v[4:5], 2, v[4:5]
	s_waitcnt lgkmcnt(0)
	v_mov_b32_e32 v6, s1
	v_add_co_u32_e32 v8, vcc, s0, v4
	v_addc_co_u32_e32 v9, vcc, v6, v5, vcc
	global_load_dwordx4 v[4:7], v[8:9], off
	s_waitcnt vmcnt(0)
	v_fmac_f32_e32 v0, s2, v4
	v_fmac_f32_e32 v1, s2, v5
	;; [unrolled: 1-line block ×4, first 2 shown]
	global_store_dwordx4 v[8:9], v[0:3], off
	s_endpgm
	.section	.rodata,"a",@progbits
	.p2align	6, 0x0
	.amdhsa_kernel _ZN9rocsparseL18bsrxmvn_4x4_kernelILj128ELj4EfliaafEEvT3_20rocsparse_direction_NS_24const_host_device_scalarIT1_EES1_PKS1_PKT2_SA_S7_PKT4_PKT5_S5_PT6_21rocsparse_index_base_b
		.amdhsa_group_segment_fixed_size 0
		.amdhsa_private_segment_fixed_size 0
		.amdhsa_kernarg_size 96
		.amdhsa_user_sgpr_count 6
		.amdhsa_user_sgpr_private_segment_buffer 1
		.amdhsa_user_sgpr_dispatch_ptr 0
		.amdhsa_user_sgpr_queue_ptr 0
		.amdhsa_user_sgpr_kernarg_segment_ptr 1
		.amdhsa_user_sgpr_dispatch_id 0
		.amdhsa_user_sgpr_flat_scratch_init 0
		.amdhsa_user_sgpr_private_segment_size 0
		.amdhsa_uses_dynamic_stack 0
		.amdhsa_system_sgpr_private_segment_wavefront_offset 0
		.amdhsa_system_sgpr_workgroup_id_x 1
		.amdhsa_system_sgpr_workgroup_id_y 0
		.amdhsa_system_sgpr_workgroup_id_z 0
		.amdhsa_system_sgpr_workgroup_info 0
		.amdhsa_system_vgpr_workitem_id 0
		.amdhsa_next_free_vgpr 45
		.amdhsa_next_free_sgpr 22
		.amdhsa_reserve_vcc 1
		.amdhsa_reserve_flat_scratch 0
		.amdhsa_float_round_mode_32 0
		.amdhsa_float_round_mode_16_64 0
		.amdhsa_float_denorm_mode_32 3
		.amdhsa_float_denorm_mode_16_64 3
		.amdhsa_dx10_clamp 1
		.amdhsa_ieee_mode 1
		.amdhsa_fp16_overflow 0
		.amdhsa_exception_fp_ieee_invalid_op 0
		.amdhsa_exception_fp_denorm_src 0
		.amdhsa_exception_fp_ieee_div_zero 0
		.amdhsa_exception_fp_ieee_overflow 0
		.amdhsa_exception_fp_ieee_underflow 0
		.amdhsa_exception_fp_ieee_inexact 0
		.amdhsa_exception_int_div_zero 0
	.end_amdhsa_kernel
	.section	.text._ZN9rocsparseL18bsrxmvn_4x4_kernelILj128ELj4EfliaafEEvT3_20rocsparse_direction_NS_24const_host_device_scalarIT1_EES1_PKS1_PKT2_SA_S7_PKT4_PKT5_S5_PT6_21rocsparse_index_base_b,"axG",@progbits,_ZN9rocsparseL18bsrxmvn_4x4_kernelILj128ELj4EfliaafEEvT3_20rocsparse_direction_NS_24const_host_device_scalarIT1_EES1_PKS1_PKT2_SA_S7_PKT4_PKT5_S5_PT6_21rocsparse_index_base_b,comdat
.Lfunc_end80:
	.size	_ZN9rocsparseL18bsrxmvn_4x4_kernelILj128ELj4EfliaafEEvT3_20rocsparse_direction_NS_24const_host_device_scalarIT1_EES1_PKS1_PKT2_SA_S7_PKT4_PKT5_S5_PT6_21rocsparse_index_base_b, .Lfunc_end80-_ZN9rocsparseL18bsrxmvn_4x4_kernelILj128ELj4EfliaafEEvT3_20rocsparse_direction_NS_24const_host_device_scalarIT1_EES1_PKS1_PKT2_SA_S7_PKT4_PKT5_S5_PT6_21rocsparse_index_base_b
                                        ; -- End function
	.set _ZN9rocsparseL18bsrxmvn_4x4_kernelILj128ELj4EfliaafEEvT3_20rocsparse_direction_NS_24const_host_device_scalarIT1_EES1_PKS1_PKT2_SA_S7_PKT4_PKT5_S5_PT6_21rocsparse_index_base_b.num_vgpr, 45
	.set _ZN9rocsparseL18bsrxmvn_4x4_kernelILj128ELj4EfliaafEEvT3_20rocsparse_direction_NS_24const_host_device_scalarIT1_EES1_PKS1_PKT2_SA_S7_PKT4_PKT5_S5_PT6_21rocsparse_index_base_b.num_agpr, 0
	.set _ZN9rocsparseL18bsrxmvn_4x4_kernelILj128ELj4EfliaafEEvT3_20rocsparse_direction_NS_24const_host_device_scalarIT1_EES1_PKS1_PKT2_SA_S7_PKT4_PKT5_S5_PT6_21rocsparse_index_base_b.numbered_sgpr, 22
	.set _ZN9rocsparseL18bsrxmvn_4x4_kernelILj128ELj4EfliaafEEvT3_20rocsparse_direction_NS_24const_host_device_scalarIT1_EES1_PKS1_PKT2_SA_S7_PKT4_PKT5_S5_PT6_21rocsparse_index_base_b.num_named_barrier, 0
	.set _ZN9rocsparseL18bsrxmvn_4x4_kernelILj128ELj4EfliaafEEvT3_20rocsparse_direction_NS_24const_host_device_scalarIT1_EES1_PKS1_PKT2_SA_S7_PKT4_PKT5_S5_PT6_21rocsparse_index_base_b.private_seg_size, 0
	.set _ZN9rocsparseL18bsrxmvn_4x4_kernelILj128ELj4EfliaafEEvT3_20rocsparse_direction_NS_24const_host_device_scalarIT1_EES1_PKS1_PKT2_SA_S7_PKT4_PKT5_S5_PT6_21rocsparse_index_base_b.uses_vcc, 1
	.set _ZN9rocsparseL18bsrxmvn_4x4_kernelILj128ELj4EfliaafEEvT3_20rocsparse_direction_NS_24const_host_device_scalarIT1_EES1_PKS1_PKT2_SA_S7_PKT4_PKT5_S5_PT6_21rocsparse_index_base_b.uses_flat_scratch, 0
	.set _ZN9rocsparseL18bsrxmvn_4x4_kernelILj128ELj4EfliaafEEvT3_20rocsparse_direction_NS_24const_host_device_scalarIT1_EES1_PKS1_PKT2_SA_S7_PKT4_PKT5_S5_PT6_21rocsparse_index_base_b.has_dyn_sized_stack, 0
	.set _ZN9rocsparseL18bsrxmvn_4x4_kernelILj128ELj4EfliaafEEvT3_20rocsparse_direction_NS_24const_host_device_scalarIT1_EES1_PKS1_PKT2_SA_S7_PKT4_PKT5_S5_PT6_21rocsparse_index_base_b.has_recursion, 0
	.set _ZN9rocsparseL18bsrxmvn_4x4_kernelILj128ELj4EfliaafEEvT3_20rocsparse_direction_NS_24const_host_device_scalarIT1_EES1_PKS1_PKT2_SA_S7_PKT4_PKT5_S5_PT6_21rocsparse_index_base_b.has_indirect_call, 0
	.section	.AMDGPU.csdata,"",@progbits
; Kernel info:
; codeLenInByte = 4256
; TotalNumSgprs: 26
; NumVgprs: 45
; ScratchSize: 0
; MemoryBound: 0
; FloatMode: 240
; IeeeMode: 1
; LDSByteSize: 0 bytes/workgroup (compile time only)
; SGPRBlocks: 3
; VGPRBlocks: 11
; NumSGPRsForWavesPerEU: 26
; NumVGPRsForWavesPerEU: 45
; Occupancy: 5
; WaveLimiterHint : 1
; COMPUTE_PGM_RSRC2:SCRATCH_EN: 0
; COMPUTE_PGM_RSRC2:USER_SGPR: 6
; COMPUTE_PGM_RSRC2:TRAP_HANDLER: 0
; COMPUTE_PGM_RSRC2:TGID_X_EN: 1
; COMPUTE_PGM_RSRC2:TGID_Y_EN: 0
; COMPUTE_PGM_RSRC2:TGID_Z_EN: 0
; COMPUTE_PGM_RSRC2:TIDIG_COMP_CNT: 0
	.section	.text._ZN9rocsparseL18bsrxmvn_4x4_kernelILj128ELj8EfliaafEEvT3_20rocsparse_direction_NS_24const_host_device_scalarIT1_EES1_PKS1_PKT2_SA_S7_PKT4_PKT5_S5_PT6_21rocsparse_index_base_b,"axG",@progbits,_ZN9rocsparseL18bsrxmvn_4x4_kernelILj128ELj8EfliaafEEvT3_20rocsparse_direction_NS_24const_host_device_scalarIT1_EES1_PKS1_PKT2_SA_S7_PKT4_PKT5_S5_PT6_21rocsparse_index_base_b,comdat
	.globl	_ZN9rocsparseL18bsrxmvn_4x4_kernelILj128ELj8EfliaafEEvT3_20rocsparse_direction_NS_24const_host_device_scalarIT1_EES1_PKS1_PKT2_SA_S7_PKT4_PKT5_S5_PT6_21rocsparse_index_base_b ; -- Begin function _ZN9rocsparseL18bsrxmvn_4x4_kernelILj128ELj8EfliaafEEvT3_20rocsparse_direction_NS_24const_host_device_scalarIT1_EES1_PKS1_PKT2_SA_S7_PKT4_PKT5_S5_PT6_21rocsparse_index_base_b
	.p2align	8
	.type	_ZN9rocsparseL18bsrxmvn_4x4_kernelILj128ELj8EfliaafEEvT3_20rocsparse_direction_NS_24const_host_device_scalarIT1_EES1_PKS1_PKT2_SA_S7_PKT4_PKT5_S5_PT6_21rocsparse_index_base_b,@function
_ZN9rocsparseL18bsrxmvn_4x4_kernelILj128ELj8EfliaafEEvT3_20rocsparse_direction_NS_24const_host_device_scalarIT1_EES1_PKS1_PKT2_SA_S7_PKT4_PKT5_S5_PT6_21rocsparse_index_base_b: ; @_ZN9rocsparseL18bsrxmvn_4x4_kernelILj128ELj8EfliaafEEvT3_20rocsparse_direction_NS_24const_host_device_scalarIT1_EES1_PKS1_PKT2_SA_S7_PKT4_PKT5_S5_PT6_21rocsparse_index_base_b
; %bb.0:
	s_load_dwordx2 s[20:21], s[4:5], 0x58
	s_load_dwordx2 s[18:19], s[4:5], 0x8
	;; [unrolled: 1-line block ×3, first 2 shown]
	s_waitcnt lgkmcnt(0)
	s_bitcmp1_b32 s21, 0
	s_cselect_b64 s[2:3], -1, 0
	s_xor_b64 s[0:1], s[2:3], -1
	s_and_b64 vcc, exec, s[2:3]
	s_cbranch_vccnz .LBB81_2
; %bb.1:
	s_load_dword s18, s[18:19], 0x0
.LBB81_2:
	s_andn2_b64 vcc, exec, s[0:1]
	s_cbranch_vccnz .LBB81_4
; %bb.3:
	s_load_dword s16, s[16:17], 0x0
.LBB81_4:
	s_waitcnt lgkmcnt(0)
	v_cmp_neq_f32_e64 s[0:1], s18, 0
	v_cmp_neq_f32_e64 s[2:3], s16, 1.0
	s_or_b64 s[0:1], s[0:1], s[2:3]
	s_andn2_b64 vcc, exec, s[0:1]
	s_cbranch_vccnz .LBB81_10
; %bb.5:
	s_load_dwordx2 s[8:9], s[4:5], 0x18
	s_load_dwordx2 s[0:1], s[4:5], 0x0
	v_lshrrev_b32_e32 v1, 3, v0
	v_lshl_or_b32 v4, s6, 4, v1
	s_mov_b64 s[2:3], 0
	s_waitcnt lgkmcnt(0)
	s_cmp_lg_u64 s[8:9], 0
	s_cbranch_scc0 .LBB81_11
; %bb.6:
	s_load_dword s6, s[4:5], 0x10
                                        ; implicit-def: $vgpr1
	s_waitcnt lgkmcnt(0)
	v_cmp_gt_i32_e32 vcc, s6, v4
	s_and_saveexec_b64 s[6:7], vcc
	s_xor_b64 s[6:7], exec, s[6:7]
	s_cbranch_execz .LBB81_8
; %bb.7:
	v_ashrrev_i32_e32 v5, 31, v4
	v_lshlrev_b64 v[1:2], 2, v[4:5]
	v_mov_b32_e32 v3, s9
	v_add_co_u32_e32 v1, vcc, s8, v1
	v_addc_co_u32_e32 v2, vcc, v3, v2, vcc
	global_load_dword v1, v[1:2], off
	s_mov_b64 s[2:3], exec
	s_waitcnt vmcnt(0)
	v_subrev_u32_e32 v1, s20, v1
.LBB81_8:
	s_or_b64 exec, exec, s[6:7]
	s_branch .LBB81_12
.LBB81_9:
	v_cmp_gt_i32_e32 vcc, s0, v4
	s_andn2_b64 s[2:3], s[2:3], exec
	s_and_b64 s[6:7], vcc, exec
	s_or_b64 s[2:3], s[2:3], s[6:7]
	s_and_saveexec_b64 s[6:7], s[2:3]
	s_cbranch_execnz .LBB81_13
.LBB81_10:
	s_endpgm
.LBB81_11:
                                        ; implicit-def: $vgpr1
	s_cbranch_execnz .LBB81_9
.LBB81_12:
	v_mov_b32_e32 v4, v1
	s_and_saveexec_b64 s[6:7], s[2:3]
	s_cbranch_execz .LBB81_10
.LBB81_13:
	s_load_dwordx8 s[8:15], s[4:5], 0x20
	v_ashrrev_i32_e32 v5, 31, v4
	v_lshlrev_b64 v[1:2], 3, v[4:5]
	v_and_b32_e32 v21, 7, v0
	s_load_dwordx2 s[6:7], s[4:5], 0x40
	s_waitcnt lgkmcnt(0)
	v_mov_b32_e32 v3, s9
	v_add_co_u32_e32 v5, vcc, s8, v1
	v_addc_co_u32_e32 v6, vcc, v3, v2, vcc
	v_add_co_u32_e32 v3, vcc, 8, v5
	global_load_dwordx2 v[9:10], v[5:6], off
	v_addc_co_u32_e32 v5, vcc, 0, v6, vcc
	v_mov_b32_e32 v6, s11
	v_add_co_u32_e32 v1, vcc, s10, v1
	s_cmp_eq_u64 s[10:11], 0
	v_addc_co_u32_e32 v2, vcc, v6, v2, vcc
	s_cselect_b64 vcc, -1, 0
	v_cndmask_b32_e32 v2, v2, v5, vcc
	v_cndmask_b32_e32 v1, v1, v3, vcc
	global_load_dwordx2 v[2:3], v[1:2], off
	v_mov_b32_e32 v8, s15
	s_cmp_eq_u32 s1, 1
	v_mov_b32_e32 v7, 0
	s_waitcnt vmcnt(1)
	v_subrev_co_u32_e32 v0, vcc, s20, v9
	v_subbrev_co_u32_e32 v1, vcc, 0, v10, vcc
	v_add_co_u32_e32 v0, vcc, v0, v21
	v_addc_co_u32_e32 v1, vcc, 0, v1, vcc
	v_lshlrev_b64 v[5:6], 4, v[0:1]
	s_waitcnt vmcnt(0)
	v_subrev_co_u32_e32 v2, vcc, s20, v2
	v_subbrev_co_u32_e32 v3, vcc, 0, v3, vcc
	v_cmp_lt_i64_e64 s[0:1], v[0:1], v[2:3]
	v_add_co_u32_e32 v5, vcc, s14, v5
	v_addc_co_u32_e32 v6, vcc, v8, v6, vcc
	s_cbranch_scc1 .LBB81_25
; %bb.14:
	v_mov_b32_e32 v22, 0
	v_mov_b32_e32 v23, 0
	;; [unrolled: 1-line block ×3, first 2 shown]
	s_and_saveexec_b64 s[8:9], s[0:1]
	s_cbranch_execz .LBB81_24
; %bb.15:
	v_or_b32_e32 v7, 8, v21
	v_subrev_co_u32_e32 v7, vcc, s20, v7
	v_subb_co_u32_e64 v8, s[2:3], 0, 0, vcc
	v_add_co_u32_e32 v7, vcc, v7, v9
	v_addc_co_u32_e32 v8, vcc, v8, v10, vcc
	v_cmp_gt_i64_e32 vcc, v[7:8], v[2:3]
	v_not_b32_e32 v12, v9
	v_cndmask_b32_e32 v8, v3, v8, vcc
	v_cndmask_b32_e32 v7, v2, v7, vcc
	v_sub_co_u32_e32 v13, vcc, s20, v21
	v_not_b32_e32 v11, v10
	v_subb_co_u32_e64 v14, s[2:3], 0, 0, vcc
	v_add_co_u32_e32 v12, vcc, v13, v12
	v_addc_co_u32_e32 v11, vcc, v14, v11, vcc
	v_add_co_u32_e32 v15, vcc, v12, v7
	v_addc_co_u32_e32 v16, vcc, v11, v8, vcc
	v_and_b32_e32 v7, 24, v15
	v_mov_b32_e32 v8, 0
	v_cmp_ne_u64_e32 vcc, 24, v[7:8]
	v_mov_b32_e32 v12, v1
	v_mov_b32_e32 v14, v6
	;; [unrolled: 1-line block ×7, first 2 shown]
	s_and_saveexec_b64 s[10:11], vcc
	s_cbranch_execz .LBB81_19
; %bb.16:
	v_lshlrev_b64 v[11:12], 2, v[0:1]
	v_lshrrev_b32_e32 v7, 3, v15
	v_add_u32_e32 v7, 1, v7
	v_mov_b32_e32 v13, s13
	v_add_co_u32_e32 v17, vcc, s12, v11
	v_and_b32_e32 v8, 3, v7
	v_addc_co_u32_e32 v18, vcc, v13, v12, vcc
	v_sub_co_u32_e32 v19, vcc, 0, v8
	v_mov_b32_e32 v14, v6
	v_mov_b32_e32 v12, v1
	;; [unrolled: 1-line block ×3, first 2 shown]
	s_mov_b64 s[14:15], 0
	v_subb_co_u32_e64 v20, s[2:3], 0, 0, vcc
	s_movk_i32 s17, 0x80
	v_mov_b32_e32 v24, s7
	v_mov_b32_e32 v13, v5
	;; [unrolled: 1-line block ×6, first 2 shown]
.LBB81_17:                              ; =>This Inner Loop Header: Depth=1
	global_load_dword v29, v[17:18], off
	global_load_dwordx4 v[25:28], v[13:14], off
	v_add_co_u32_e64 v11, s[2:3], 8, v11
	v_addc_co_u32_e64 v12, s[2:3], 0, v12, s[2:3]
	v_add_co_u32_e64 v17, s[2:3], 32, v17
	v_addc_co_u32_e64 v18, s[2:3], 0, v18, s[2:3]
	v_add_co_u32_e64 v19, s[2:3], 1, v19
	v_addc_co_u32_e64 v20, s[2:3], 0, v20, s[2:3]
	v_cmp_eq_u64_e64 s[2:3], 0, v[19:20]
	s_or_b64 s[14:15], s[2:3], s[14:15]
	s_waitcnt vmcnt(1)
	v_subrev_u32_e32 v29, s20, v29
	v_lshlrev_b32_e32 v29, 2, v29
	v_ashrrev_i32_e32 v30, 31, v29
	v_add_co_u32_e32 v29, vcc, s6, v29
	v_addc_co_u32_e32 v30, vcc, v24, v30, vcc
	global_load_dword v29, v[29:30], off
	s_waitcnt vmcnt(1)
	v_cvt_f32_i32_sdwa v30, sext(v25) dst_sel:DWORD dst_unused:UNUSED_PAD src0_sel:BYTE_0
	v_cvt_f32_i32_sdwa v33, sext(v26) dst_sel:DWORD dst_unused:UNUSED_PAD src0_sel:BYTE_0
	;; [unrolled: 1-line block ×4, first 2 shown]
	v_cvt_f32_i32_sdwa v31, sext(v25) dst_sel:DWORD dst_unused:UNUSED_PAD src0_sel:BYTE_1
	v_cvt_f32_i32_sdwa v34, sext(v26) dst_sel:DWORD dst_unused:UNUSED_PAD src0_sel:BYTE_1
	;; [unrolled: 1-line block ×4, first 2 shown]
	v_cvt_f32_i32_sdwa v32, sext(v25) dst_sel:DWORD dst_unused:UNUSED_PAD src0_sel:BYTE_2
	v_cvt_f32_i32_sdwa v35, sext(v26) dst_sel:DWORD dst_unused:UNUSED_PAD src0_sel:BYTE_2
	;; [unrolled: 1-line block ×4, first 2 shown]
	v_cvt_f32_i32_sdwa v25, sext(v25) dst_sel:DWORD dst_unused:UNUSED_PAD src0_sel:BYTE_3
	v_cvt_f32_i32_sdwa v26, sext(v26) dst_sel:DWORD dst_unused:UNUSED_PAD src0_sel:BYTE_3
	;; [unrolled: 1-line block ×4, first 2 shown]
	v_add_co_u32_e32 v13, vcc, s17, v13
	v_addc_co_u32_e32 v14, vcc, 0, v14, vcc
	s_waitcnt vmcnt(0)
	v_cvt_f32_i32_sdwa v42, sext(v29) dst_sel:DWORD dst_unused:UNUSED_PAD src0_sel:BYTE_0
	v_cvt_f32_i32_sdwa v43, sext(v29) dst_sel:DWORD dst_unused:UNUSED_PAD src0_sel:BYTE_1
	v_cvt_f32_i32_sdwa v44, sext(v29) dst_sel:DWORD dst_unused:UNUSED_PAD src0_sel:BYTE_2
	v_cvt_f32_i32_sdwa v29, sext(v29) dst_sel:DWORD dst_unused:UNUSED_PAD src0_sel:BYTE_3
	v_fmac_f32_e32 v8, v30, v42
	v_fmac_f32_e32 v23, v33, v42
	;; [unrolled: 1-line block ×16, first 2 shown]
	s_andn2_b64 exec, exec, s[14:15]
	s_cbranch_execnz .LBB81_17
; %bb.18:
	s_or_b64 exec, exec, s[14:15]
.LBB81_19:
	s_or_b64 exec, exec, s[10:11]
	v_cmp_lt_u64_e32 vcc, 23, v[15:16]
	s_and_saveexec_b64 s[2:3], vcc
	s_cbranch_execz .LBB81_23
; %bb.20:
	v_lshlrev_b64 v[15:16], 2, v[11:12]
	v_mov_b32_e32 v17, s13
	v_add_co_u32_e32 v15, vcc, s12, v15
	v_addc_co_u32_e32 v16, vcc, v17, v16, vcc
	v_add_co_u32_e32 v15, vcc, 64, v15
	v_addc_co_u32_e32 v16, vcc, 0, v16, vcc
	s_mov_b64 s[10:11], 0
	v_mov_b32_e32 v17, s7
	s_movk_i32 s14, 0x200
.LBB81_21:                              ; =>This Inner Loop Header: Depth=1
	global_load_dword v18, v[15:16], off offset:-64
	global_load_dwordx4 v[24:27], v[13:14], off
	s_waitcnt vmcnt(1)
	v_subrev_u32_e32 v18, s20, v18
	v_lshlrev_b32_e32 v18, 2, v18
	v_ashrrev_i32_e32 v19, 31, v18
	v_add_co_u32_e32 v18, vcc, s6, v18
	v_addc_co_u32_e32 v19, vcc, v17, v19, vcc
	global_load_dword v18, v[18:19], off
	s_waitcnt vmcnt(1)
	v_cvt_f32_i32_sdwa v20, sext(v24) dst_sel:DWORD dst_unused:UNUSED_PAD src0_sel:BYTE_0
	s_waitcnt vmcnt(0)
	v_cvt_f32_i32_sdwa v19, sext(v18) dst_sel:DWORD dst_unused:UNUSED_PAD src0_sel:BYTE_0
	v_cvt_f32_i32_sdwa v28, sext(v18) dst_sel:DWORD dst_unused:UNUSED_PAD src0_sel:BYTE_1
	v_cvt_f32_i32_sdwa v29, sext(v18) dst_sel:DWORD dst_unused:UNUSED_PAD src0_sel:BYTE_2
	v_cvt_f32_i32_sdwa v18, sext(v18) dst_sel:DWORD dst_unused:UNUSED_PAD src0_sel:BYTE_3
	v_fmac_f32_e32 v8, v20, v19
	v_cvt_f32_i32_sdwa v20, sext(v24) dst_sel:DWORD dst_unused:UNUSED_PAD src0_sel:BYTE_1
	v_fmac_f32_e32 v8, v20, v28
	v_cvt_f32_i32_sdwa v20, sext(v24) dst_sel:DWORD dst_unused:UNUSED_PAD src0_sel:BYTE_2
	v_fmac_f32_e32 v8, v20, v29
	v_cvt_f32_i32_sdwa v20, sext(v24) dst_sel:DWORD dst_unused:UNUSED_PAD src0_sel:BYTE_3
	v_fmac_f32_e32 v8, v20, v18
	v_cvt_f32_i32_sdwa v20, sext(v25) dst_sel:DWORD dst_unused:UNUSED_PAD src0_sel:BYTE_0
	v_fmac_f32_e32 v23, v20, v19
	v_cvt_f32_i32_sdwa v20, sext(v25) dst_sel:DWORD dst_unused:UNUSED_PAD src0_sel:BYTE_1
	v_fmac_f32_e32 v23, v20, v28
	v_cvt_f32_i32_sdwa v20, sext(v25) dst_sel:DWORD dst_unused:UNUSED_PAD src0_sel:BYTE_2
	v_fmac_f32_e32 v23, v20, v29
	v_cvt_f32_i32_sdwa v20, sext(v25) dst_sel:DWORD dst_unused:UNUSED_PAD src0_sel:BYTE_3
	v_fmac_f32_e32 v23, v20, v18
	v_cvt_f32_i32_sdwa v20, sext(v26) dst_sel:DWORD dst_unused:UNUSED_PAD src0_sel:BYTE_0
	;; [unrolled: 8-line block ×3, first 2 shown]
	v_fmac_f32_e32 v7, v20, v19
	v_cvt_f32_i32_sdwa v19, sext(v27) dst_sel:DWORD dst_unused:UNUSED_PAD src0_sel:BYTE_1
	v_fmac_f32_e32 v7, v19, v28
	v_cvt_f32_i32_sdwa v19, sext(v27) dst_sel:DWORD dst_unused:UNUSED_PAD src0_sel:BYTE_2
	v_fmac_f32_e32 v7, v19, v29
	v_cvt_f32_i32_sdwa v19, sext(v27) dst_sel:DWORD dst_unused:UNUSED_PAD src0_sel:BYTE_3
	global_load_dwordx4 v[24:27], v[13:14], off offset:128
	v_fmac_f32_e32 v7, v19, v18
	global_load_dword v18, v[15:16], off offset:-32
	s_waitcnt vmcnt(1)
	v_cvt_f32_i32_sdwa v20, sext(v24) dst_sel:DWORD dst_unused:UNUSED_PAD src0_sel:BYTE_0
	s_waitcnt vmcnt(0)
	v_subrev_u32_e32 v18, s20, v18
	v_lshlrev_b32_e32 v18, 2, v18
	v_ashrrev_i32_e32 v19, 31, v18
	v_add_co_u32_e32 v18, vcc, s6, v18
	v_addc_co_u32_e32 v19, vcc, v17, v19, vcc
	global_load_dword v18, v[18:19], off
	s_waitcnt vmcnt(0)
	v_cvt_f32_i32_sdwa v19, sext(v18) dst_sel:DWORD dst_unused:UNUSED_PAD src0_sel:BYTE_0
	v_cvt_f32_i32_sdwa v28, sext(v18) dst_sel:DWORD dst_unused:UNUSED_PAD src0_sel:BYTE_1
	v_cvt_f32_i32_sdwa v29, sext(v18) dst_sel:DWORD dst_unused:UNUSED_PAD src0_sel:BYTE_2
	v_cvt_f32_i32_sdwa v18, sext(v18) dst_sel:DWORD dst_unused:UNUSED_PAD src0_sel:BYTE_3
	v_fmac_f32_e32 v8, v20, v19
	v_cvt_f32_i32_sdwa v20, sext(v24) dst_sel:DWORD dst_unused:UNUSED_PAD src0_sel:BYTE_1
	v_fmac_f32_e32 v8, v20, v28
	v_cvt_f32_i32_sdwa v20, sext(v24) dst_sel:DWORD dst_unused:UNUSED_PAD src0_sel:BYTE_2
	v_fmac_f32_e32 v8, v20, v29
	v_cvt_f32_i32_sdwa v20, sext(v24) dst_sel:DWORD dst_unused:UNUSED_PAD src0_sel:BYTE_3
	v_fmac_f32_e32 v8, v20, v18
	v_cvt_f32_i32_sdwa v20, sext(v25) dst_sel:DWORD dst_unused:UNUSED_PAD src0_sel:BYTE_0
	v_fmac_f32_e32 v23, v20, v19
	v_cvt_f32_i32_sdwa v20, sext(v25) dst_sel:DWORD dst_unused:UNUSED_PAD src0_sel:BYTE_1
	v_fmac_f32_e32 v23, v20, v28
	v_cvt_f32_i32_sdwa v20, sext(v25) dst_sel:DWORD dst_unused:UNUSED_PAD src0_sel:BYTE_2
	v_fmac_f32_e32 v23, v20, v29
	v_cvt_f32_i32_sdwa v20, sext(v25) dst_sel:DWORD dst_unused:UNUSED_PAD src0_sel:BYTE_3
	v_fmac_f32_e32 v23, v20, v18
	v_cvt_f32_i32_sdwa v20, sext(v26) dst_sel:DWORD dst_unused:UNUSED_PAD src0_sel:BYTE_0
	;; [unrolled: 8-line block ×3, first 2 shown]
	v_fmac_f32_e32 v7, v20, v19
	v_cvt_f32_i32_sdwa v19, sext(v27) dst_sel:DWORD dst_unused:UNUSED_PAD src0_sel:BYTE_1
	v_fmac_f32_e32 v7, v19, v28
	v_cvt_f32_i32_sdwa v19, sext(v27) dst_sel:DWORD dst_unused:UNUSED_PAD src0_sel:BYTE_2
	v_fmac_f32_e32 v7, v19, v29
	v_cvt_f32_i32_sdwa v19, sext(v27) dst_sel:DWORD dst_unused:UNUSED_PAD src0_sel:BYTE_3
	global_load_dwordx4 v[24:27], v[13:14], off offset:256
	v_fmac_f32_e32 v7, v19, v18
	global_load_dword v18, v[15:16], off
	s_waitcnt vmcnt(1)
	v_cvt_f32_i32_sdwa v20, sext(v24) dst_sel:DWORD dst_unused:UNUSED_PAD src0_sel:BYTE_0
	s_waitcnt vmcnt(0)
	v_subrev_u32_e32 v18, s20, v18
	v_lshlrev_b32_e32 v18, 2, v18
	v_ashrrev_i32_e32 v19, 31, v18
	v_add_co_u32_e32 v18, vcc, s6, v18
	v_addc_co_u32_e32 v19, vcc, v17, v19, vcc
	global_load_dword v18, v[18:19], off
	s_waitcnt vmcnt(0)
	v_cvt_f32_i32_sdwa v19, sext(v18) dst_sel:DWORD dst_unused:UNUSED_PAD src0_sel:BYTE_0
	v_cvt_f32_i32_sdwa v28, sext(v18) dst_sel:DWORD dst_unused:UNUSED_PAD src0_sel:BYTE_1
	v_cvt_f32_i32_sdwa v29, sext(v18) dst_sel:DWORD dst_unused:UNUSED_PAD src0_sel:BYTE_2
	v_cvt_f32_i32_sdwa v18, sext(v18) dst_sel:DWORD dst_unused:UNUSED_PAD src0_sel:BYTE_3
	v_fmac_f32_e32 v8, v20, v19
	v_cvt_f32_i32_sdwa v20, sext(v24) dst_sel:DWORD dst_unused:UNUSED_PAD src0_sel:BYTE_1
	v_fmac_f32_e32 v8, v20, v28
	v_cvt_f32_i32_sdwa v20, sext(v24) dst_sel:DWORD dst_unused:UNUSED_PAD src0_sel:BYTE_2
	v_fmac_f32_e32 v8, v20, v29
	v_cvt_f32_i32_sdwa v20, sext(v24) dst_sel:DWORD dst_unused:UNUSED_PAD src0_sel:BYTE_3
	v_fmac_f32_e32 v8, v20, v18
	v_cvt_f32_i32_sdwa v20, sext(v25) dst_sel:DWORD dst_unused:UNUSED_PAD src0_sel:BYTE_0
	v_fmac_f32_e32 v23, v20, v19
	v_cvt_f32_i32_sdwa v20, sext(v25) dst_sel:DWORD dst_unused:UNUSED_PAD src0_sel:BYTE_1
	v_fmac_f32_e32 v23, v20, v28
	v_cvt_f32_i32_sdwa v20, sext(v25) dst_sel:DWORD dst_unused:UNUSED_PAD src0_sel:BYTE_2
	v_fmac_f32_e32 v23, v20, v29
	v_cvt_f32_i32_sdwa v20, sext(v25) dst_sel:DWORD dst_unused:UNUSED_PAD src0_sel:BYTE_3
	v_fmac_f32_e32 v23, v20, v18
	v_cvt_f32_i32_sdwa v20, sext(v26) dst_sel:DWORD dst_unused:UNUSED_PAD src0_sel:BYTE_0
	;; [unrolled: 8-line block ×3, first 2 shown]
	v_fmac_f32_e32 v7, v20, v19
	v_cvt_f32_i32_sdwa v19, sext(v27) dst_sel:DWORD dst_unused:UNUSED_PAD src0_sel:BYTE_1
	v_fmac_f32_e32 v7, v19, v28
	v_cvt_f32_i32_sdwa v19, sext(v27) dst_sel:DWORD dst_unused:UNUSED_PAD src0_sel:BYTE_2
	v_fmac_f32_e32 v7, v19, v29
	v_cvt_f32_i32_sdwa v19, sext(v27) dst_sel:DWORD dst_unused:UNUSED_PAD src0_sel:BYTE_3
	global_load_dwordx4 v[24:27], v[13:14], off offset:384
	v_fmac_f32_e32 v7, v19, v18
	global_load_dword v18, v[15:16], off offset:32
	s_waitcnt vmcnt(1)
	v_cvt_f32_i32_sdwa v20, sext(v24) dst_sel:DWORD dst_unused:UNUSED_PAD src0_sel:BYTE_0
	s_waitcnt vmcnt(0)
	v_subrev_u32_e32 v18, s20, v18
	v_lshlrev_b32_e32 v18, 2, v18
	v_ashrrev_i32_e32 v19, 31, v18
	v_add_co_u32_e32 v18, vcc, s6, v18
	v_addc_co_u32_e32 v19, vcc, v17, v19, vcc
	global_load_dword v18, v[18:19], off
	v_add_co_u32_e32 v13, vcc, s14, v13
	v_addc_co_u32_e32 v14, vcc, 0, v14, vcc
	v_add_co_u32_e32 v11, vcc, 32, v11
	v_addc_co_u32_e32 v12, vcc, 0, v12, vcc
	;; [unrolled: 2-line block ×3, first 2 shown]
	v_cmp_ge_i64_e32 vcc, v[11:12], v[2:3]
	s_or_b64 s[10:11], vcc, s[10:11]
	s_waitcnt vmcnt(0)
	v_cvt_f32_i32_sdwa v19, sext(v18) dst_sel:DWORD dst_unused:UNUSED_PAD src0_sel:BYTE_0
	v_cvt_f32_i32_sdwa v28, sext(v18) dst_sel:DWORD dst_unused:UNUSED_PAD src0_sel:BYTE_1
	v_cvt_f32_i32_sdwa v29, sext(v18) dst_sel:DWORD dst_unused:UNUSED_PAD src0_sel:BYTE_2
	v_cvt_f32_i32_sdwa v18, sext(v18) dst_sel:DWORD dst_unused:UNUSED_PAD src0_sel:BYTE_3
	v_fmac_f32_e32 v8, v20, v19
	v_cvt_f32_i32_sdwa v20, sext(v24) dst_sel:DWORD dst_unused:UNUSED_PAD src0_sel:BYTE_1
	v_fmac_f32_e32 v8, v20, v28
	v_cvt_f32_i32_sdwa v20, sext(v24) dst_sel:DWORD dst_unused:UNUSED_PAD src0_sel:BYTE_2
	v_fmac_f32_e32 v8, v20, v29
	v_cvt_f32_i32_sdwa v20, sext(v24) dst_sel:DWORD dst_unused:UNUSED_PAD src0_sel:BYTE_3
	v_fmac_f32_e32 v8, v20, v18
	v_cvt_f32_i32_sdwa v20, sext(v25) dst_sel:DWORD dst_unused:UNUSED_PAD src0_sel:BYTE_0
	v_fmac_f32_e32 v23, v20, v19
	v_cvt_f32_i32_sdwa v20, sext(v25) dst_sel:DWORD dst_unused:UNUSED_PAD src0_sel:BYTE_1
	v_fmac_f32_e32 v23, v20, v28
	v_cvt_f32_i32_sdwa v20, sext(v25) dst_sel:DWORD dst_unused:UNUSED_PAD src0_sel:BYTE_2
	v_fmac_f32_e32 v23, v20, v29
	v_cvt_f32_i32_sdwa v20, sext(v25) dst_sel:DWORD dst_unused:UNUSED_PAD src0_sel:BYTE_3
	v_fmac_f32_e32 v23, v20, v18
	v_cvt_f32_i32_sdwa v20, sext(v26) dst_sel:DWORD dst_unused:UNUSED_PAD src0_sel:BYTE_0
	;; [unrolled: 8-line block ×3, first 2 shown]
	v_fmac_f32_e32 v7, v20, v19
	v_cvt_f32_i32_sdwa v19, sext(v27) dst_sel:DWORD dst_unused:UNUSED_PAD src0_sel:BYTE_1
	v_fmac_f32_e32 v7, v19, v28
	v_cvt_f32_i32_sdwa v19, sext(v27) dst_sel:DWORD dst_unused:UNUSED_PAD src0_sel:BYTE_2
	v_fmac_f32_e32 v7, v19, v29
	v_cvt_f32_i32_sdwa v19, sext(v27) dst_sel:DWORD dst_unused:UNUSED_PAD src0_sel:BYTE_3
	v_fmac_f32_e32 v7, v19, v18
	s_andn2_b64 exec, exec, s[10:11]
	s_cbranch_execnz .LBB81_21
; %bb.22:
	s_or_b64 exec, exec, s[10:11]
.LBB81_23:
	s_or_b64 exec, exec, s[2:3]
.LBB81_24:
	s_or_b64 exec, exec, s[8:9]
	s_cbranch_execz .LBB81_26
	s_branch .LBB81_37
.LBB81_25:
                                        ; implicit-def: $vgpr7
                                        ; implicit-def: $vgpr22
                                        ; implicit-def: $vgpr23
                                        ; implicit-def: $vgpr8
.LBB81_26:
	v_mov_b32_e32 v7, 0
	v_mov_b32_e32 v22, 0
	;; [unrolled: 1-line block ×4, first 2 shown]
	s_and_saveexec_b64 s[2:3], s[0:1]
	s_cbranch_execz .LBB81_36
; %bb.27:
	v_or_b32_e32 v7, 8, v21
	v_subrev_co_u32_e32 v7, vcc, s20, v7
	v_subb_co_u32_e64 v8, s[0:1], 0, 0, vcc
	v_add_co_u32_e32 v7, vcc, v7, v9
	v_addc_co_u32_e32 v8, vcc, v8, v10, vcc
	v_cmp_gt_i64_e32 vcc, v[7:8], v[2:3]
	v_not_b32_e32 v9, v9
	v_cndmask_b32_e32 v8, v3, v8, vcc
	v_cndmask_b32_e32 v7, v2, v7, vcc
	v_sub_co_u32_e32 v11, vcc, s20, v21
	v_not_b32_e32 v10, v10
	v_subb_co_u32_e64 v12, s[0:1], 0, 0, vcc
	v_add_co_u32_e32 v9, vcc, v11, v9
	v_addc_co_u32_e32 v10, vcc, v12, v10, vcc
	v_add_co_u32_e32 v9, vcc, v9, v7
	v_addc_co_u32_e32 v10, vcc, v10, v8, vcc
	v_and_b32_e32 v7, 24, v9
	v_mov_b32_e32 v8, 0
	v_cmp_ne_u64_e32 vcc, 24, v[7:8]
	v_mov_b32_e32 v23, v8
	v_mov_b32_e32 v22, v8
	;; [unrolled: 1-line block ×3, first 2 shown]
	s_and_saveexec_b64 s[8:9], vcc
	s_cbranch_execz .LBB81_31
; %bb.28:
	v_lshlrev_b64 v[11:12], 2, v[0:1]
	v_lshrrev_b32_e32 v7, 3, v9
	v_add_u32_e32 v7, 1, v7
	v_mov_b32_e32 v13, s13
	v_add_co_u32_e32 v11, vcc, s12, v11
	v_and_b32_e32 v8, 3, v7
	v_addc_co_u32_e32 v12, vcc, v13, v12, vcc
	v_sub_co_u32_e32 v13, vcc, 0, v8
	v_mov_b32_e32 v7, 0
	s_mov_b64 s[10:11], 0
	v_subb_co_u32_e64 v14, s[0:1], 0, 0, vcc
	s_movk_i32 s14, 0x80
	v_mov_b32_e32 v15, s7
	v_mov_b32_e32 v22, 0
	;; [unrolled: 1-line block ×4, first 2 shown]
.LBB81_29:                              ; =>This Inner Loop Header: Depth=1
	global_load_dword v20, v[11:12], off
	global_load_dwordx4 v[16:19], v[5:6], off
	v_add_co_u32_e64 v0, s[0:1], 8, v0
	v_addc_co_u32_e64 v1, s[0:1], 0, v1, s[0:1]
	v_add_co_u32_e64 v11, s[0:1], 32, v11
	v_addc_co_u32_e64 v12, s[0:1], 0, v12, s[0:1]
	;; [unrolled: 2-line block ×3, first 2 shown]
	v_cmp_eq_u64_e64 s[0:1], 0, v[13:14]
	s_or_b64 s[10:11], s[0:1], s[10:11]
	s_waitcnt vmcnt(1)
	v_subrev_u32_e32 v20, s20, v20
	v_lshlrev_b32_e32 v20, 2, v20
	v_ashrrev_i32_e32 v25, 31, v20
	v_add_co_u32_e32 v24, vcc, s6, v20
	v_addc_co_u32_e32 v25, vcc, v15, v25, vcc
	global_load_dword v20, v[24:25], off
	s_waitcnt vmcnt(1)
	v_cvt_f32_i32_sdwa v24, sext(v16) dst_sel:DWORD dst_unused:UNUSED_PAD src0_sel:BYTE_0
	v_cvt_f32_i32_sdwa v25, sext(v16) dst_sel:DWORD dst_unused:UNUSED_PAD src0_sel:BYTE_1
	v_cvt_f32_i32_sdwa v26, sext(v16) dst_sel:DWORD dst_unused:UNUSED_PAD src0_sel:BYTE_2
	v_cvt_f32_i32_sdwa v16, sext(v16) dst_sel:DWORD dst_unused:UNUSED_PAD src0_sel:BYTE_3
	v_cvt_f32_i32_sdwa v27, sext(v17) dst_sel:DWORD dst_unused:UNUSED_PAD src0_sel:BYTE_0
	v_cvt_f32_i32_sdwa v28, sext(v17) dst_sel:DWORD dst_unused:UNUSED_PAD src0_sel:BYTE_1
	v_cvt_f32_i32_sdwa v29, sext(v17) dst_sel:DWORD dst_unused:UNUSED_PAD src0_sel:BYTE_2
	v_cvt_f32_i32_sdwa v17, sext(v17) dst_sel:DWORD dst_unused:UNUSED_PAD src0_sel:BYTE_3
	;; [unrolled: 4-line block ×4, first 2 shown]
	v_add_co_u32_e32 v5, vcc, s14, v5
	v_addc_co_u32_e32 v6, vcc, 0, v6, vcc
	s_waitcnt vmcnt(0)
	v_cvt_f32_i32_sdwa v36, sext(v20) dst_sel:DWORD dst_unused:UNUSED_PAD src0_sel:BYTE_0
	v_cvt_f32_i32_sdwa v37, sext(v20) dst_sel:DWORD dst_unused:UNUSED_PAD src0_sel:BYTE_1
	v_cvt_f32_i32_sdwa v38, sext(v20) dst_sel:DWORD dst_unused:UNUSED_PAD src0_sel:BYTE_2
	v_cvt_f32_i32_sdwa v20, sext(v20) dst_sel:DWORD dst_unused:UNUSED_PAD src0_sel:BYTE_3
	v_fmac_f32_e32 v8, v24, v36
	v_fmac_f32_e32 v23, v25, v36
	;; [unrolled: 1-line block ×16, first 2 shown]
	s_andn2_b64 exec, exec, s[10:11]
	s_cbranch_execnz .LBB81_29
; %bb.30:
	s_or_b64 exec, exec, s[10:11]
.LBB81_31:
	s_or_b64 exec, exec, s[8:9]
	v_cmp_lt_u64_e32 vcc, 23, v[9:10]
	s_and_saveexec_b64 s[0:1], vcc
	s_cbranch_execz .LBB81_35
; %bb.32:
	v_lshlrev_b64 v[9:10], 2, v[0:1]
	v_mov_b32_e32 v11, s13
	v_add_co_u32_e32 v9, vcc, s12, v9
	v_addc_co_u32_e32 v10, vcc, v11, v10, vcc
	v_add_co_u32_e32 v9, vcc, 64, v9
	v_addc_co_u32_e32 v10, vcc, 0, v10, vcc
	s_mov_b64 s[8:9], 0
	v_mov_b32_e32 v11, s7
	s_movk_i32 s7, 0x200
.LBB81_33:                              ; =>This Inner Loop Header: Depth=1
	global_load_dword v12, v[9:10], off offset:-64
	s_waitcnt vmcnt(0)
	v_subrev_u32_e32 v12, s20, v12
	v_lshlrev_b32_e32 v16, 2, v12
	v_ashrrev_i32_e32 v17, 31, v16
	v_add_co_u32_e32 v16, vcc, s6, v16
	v_addc_co_u32_e32 v17, vcc, v11, v17, vcc
	global_load_dwordx4 v[12:15], v[5:6], off
	s_waitcnt vmcnt(0)
	v_cvt_f32_i32_sdwa v18, sext(v12) dst_sel:DWORD dst_unused:UNUSED_PAD src0_sel:BYTE_0
	global_load_dword v16, v[16:17], off
	s_waitcnt vmcnt(0)
	v_cvt_f32_i32_sdwa v17, sext(v16) dst_sel:DWORD dst_unused:UNUSED_PAD src0_sel:BYTE_0
	v_fmac_f32_e32 v8, v18, v17
	v_cvt_f32_i32_sdwa v18, sext(v12) dst_sel:DWORD dst_unused:UNUSED_PAD src0_sel:BYTE_1
	v_fmac_f32_e32 v23, v18, v17
	v_cvt_f32_i32_sdwa v18, sext(v12) dst_sel:DWORD dst_unused:UNUSED_PAD src0_sel:BYTE_2
	v_cvt_f32_i32_sdwa v12, sext(v12) dst_sel:DWORD dst_unused:UNUSED_PAD src0_sel:BYTE_3
	v_fmac_f32_e32 v22, v18, v17
	v_fmac_f32_e32 v7, v12, v17
	v_cvt_f32_i32_sdwa v12, sext(v13) dst_sel:DWORD dst_unused:UNUSED_PAD src0_sel:BYTE_0
	v_cvt_f32_i32_sdwa v17, sext(v16) dst_sel:DWORD dst_unused:UNUSED_PAD src0_sel:BYTE_1
	v_fmac_f32_e32 v8, v12, v17
	v_cvt_f32_i32_sdwa v12, sext(v13) dst_sel:DWORD dst_unused:UNUSED_PAD src0_sel:BYTE_1
	v_fmac_f32_e32 v23, v12, v17
	v_cvt_f32_i32_sdwa v12, sext(v13) dst_sel:DWORD dst_unused:UNUSED_PAD src0_sel:BYTE_2
	v_fmac_f32_e32 v22, v12, v17
	v_cvt_f32_i32_sdwa v12, sext(v13) dst_sel:DWORD dst_unused:UNUSED_PAD src0_sel:BYTE_3
	v_cvt_f32_i32_sdwa v13, sext(v16) dst_sel:DWORD dst_unused:UNUSED_PAD src0_sel:BYTE_2
	v_fmac_f32_e32 v7, v12, v17
	v_cvt_f32_i32_sdwa v12, sext(v14) dst_sel:DWORD dst_unused:UNUSED_PAD src0_sel:BYTE_0
	v_fmac_f32_e32 v8, v12, v13
	v_cvt_f32_i32_sdwa v12, sext(v14) dst_sel:DWORD dst_unused:UNUSED_PAD src0_sel:BYTE_1
	v_fmac_f32_e32 v23, v12, v13
	v_cvt_f32_i32_sdwa v12, sext(v14) dst_sel:DWORD dst_unused:UNUSED_PAD src0_sel:BYTE_2
	v_fmac_f32_e32 v22, v12, v13
	v_cvt_f32_i32_sdwa v12, sext(v14) dst_sel:DWORD dst_unused:UNUSED_PAD src0_sel:BYTE_3
	v_fmac_f32_e32 v7, v12, v13
	v_cvt_f32_i32_sdwa v12, sext(v15) dst_sel:DWORD dst_unused:UNUSED_PAD src0_sel:BYTE_0
	v_cvt_f32_i32_sdwa v13, sext(v16) dst_sel:DWORD dst_unused:UNUSED_PAD src0_sel:BYTE_3
	v_fmac_f32_e32 v8, v12, v13
	v_cvt_f32_i32_sdwa v12, sext(v15) dst_sel:DWORD dst_unused:UNUSED_PAD src0_sel:BYTE_1
	v_fmac_f32_e32 v23, v12, v13
	v_cvt_f32_i32_sdwa v12, sext(v15) dst_sel:DWORD dst_unused:UNUSED_PAD src0_sel:BYTE_2
	v_fmac_f32_e32 v22, v12, v13
	v_cvt_f32_i32_sdwa v12, sext(v15) dst_sel:DWORD dst_unused:UNUSED_PAD src0_sel:BYTE_3
	v_fmac_f32_e32 v7, v12, v13
	global_load_dword v12, v[9:10], off offset:-32
	s_waitcnt vmcnt(0)
	v_subrev_u32_e32 v12, s20, v12
	v_lshlrev_b32_e32 v16, 2, v12
	v_ashrrev_i32_e32 v17, 31, v16
	v_add_co_u32_e32 v16, vcc, s6, v16
	v_addc_co_u32_e32 v17, vcc, v11, v17, vcc
	global_load_dwordx4 v[12:15], v[5:6], off offset:128
	s_waitcnt vmcnt(0)
	v_cvt_f32_i32_sdwa v18, sext(v12) dst_sel:DWORD dst_unused:UNUSED_PAD src0_sel:BYTE_0
	global_load_dword v16, v[16:17], off
	s_waitcnt vmcnt(0)
	v_cvt_f32_i32_sdwa v17, sext(v16) dst_sel:DWORD dst_unused:UNUSED_PAD src0_sel:BYTE_0
	v_fmac_f32_e32 v8, v18, v17
	v_cvt_f32_i32_sdwa v18, sext(v12) dst_sel:DWORD dst_unused:UNUSED_PAD src0_sel:BYTE_1
	v_fmac_f32_e32 v23, v18, v17
	v_cvt_f32_i32_sdwa v18, sext(v12) dst_sel:DWORD dst_unused:UNUSED_PAD src0_sel:BYTE_2
	v_cvt_f32_i32_sdwa v12, sext(v12) dst_sel:DWORD dst_unused:UNUSED_PAD src0_sel:BYTE_3
	v_fmac_f32_e32 v22, v18, v17
	v_fmac_f32_e32 v7, v12, v17
	v_cvt_f32_i32_sdwa v12, sext(v13) dst_sel:DWORD dst_unused:UNUSED_PAD src0_sel:BYTE_0
	v_cvt_f32_i32_sdwa v17, sext(v16) dst_sel:DWORD dst_unused:UNUSED_PAD src0_sel:BYTE_1
	v_fmac_f32_e32 v8, v12, v17
	v_cvt_f32_i32_sdwa v12, sext(v13) dst_sel:DWORD dst_unused:UNUSED_PAD src0_sel:BYTE_1
	v_fmac_f32_e32 v23, v12, v17
	v_cvt_f32_i32_sdwa v12, sext(v13) dst_sel:DWORD dst_unused:UNUSED_PAD src0_sel:BYTE_2
	v_fmac_f32_e32 v22, v12, v17
	v_cvt_f32_i32_sdwa v12, sext(v13) dst_sel:DWORD dst_unused:UNUSED_PAD src0_sel:BYTE_3
	v_cvt_f32_i32_sdwa v13, sext(v16) dst_sel:DWORD dst_unused:UNUSED_PAD src0_sel:BYTE_2
	v_fmac_f32_e32 v7, v12, v17
	v_cvt_f32_i32_sdwa v12, sext(v14) dst_sel:DWORD dst_unused:UNUSED_PAD src0_sel:BYTE_0
	v_fmac_f32_e32 v8, v12, v13
	v_cvt_f32_i32_sdwa v12, sext(v14) dst_sel:DWORD dst_unused:UNUSED_PAD src0_sel:BYTE_1
	v_fmac_f32_e32 v23, v12, v13
	v_cvt_f32_i32_sdwa v12, sext(v14) dst_sel:DWORD dst_unused:UNUSED_PAD src0_sel:BYTE_2
	v_fmac_f32_e32 v22, v12, v13
	v_cvt_f32_i32_sdwa v12, sext(v14) dst_sel:DWORD dst_unused:UNUSED_PAD src0_sel:BYTE_3
	v_fmac_f32_e32 v7, v12, v13
	v_cvt_f32_i32_sdwa v12, sext(v15) dst_sel:DWORD dst_unused:UNUSED_PAD src0_sel:BYTE_0
	v_cvt_f32_i32_sdwa v13, sext(v16) dst_sel:DWORD dst_unused:UNUSED_PAD src0_sel:BYTE_3
	v_fmac_f32_e32 v8, v12, v13
	v_cvt_f32_i32_sdwa v12, sext(v15) dst_sel:DWORD dst_unused:UNUSED_PAD src0_sel:BYTE_1
	v_fmac_f32_e32 v23, v12, v13
	v_cvt_f32_i32_sdwa v12, sext(v15) dst_sel:DWORD dst_unused:UNUSED_PAD src0_sel:BYTE_2
	v_fmac_f32_e32 v22, v12, v13
	v_cvt_f32_i32_sdwa v12, sext(v15) dst_sel:DWORD dst_unused:UNUSED_PAD src0_sel:BYTE_3
	v_fmac_f32_e32 v7, v12, v13
	global_load_dword v12, v[9:10], off
	s_waitcnt vmcnt(0)
	v_subrev_u32_e32 v12, s20, v12
	v_lshlrev_b32_e32 v16, 2, v12
	v_ashrrev_i32_e32 v17, 31, v16
	v_add_co_u32_e32 v16, vcc, s6, v16
	v_addc_co_u32_e32 v17, vcc, v11, v17, vcc
	global_load_dwordx4 v[12:15], v[5:6], off offset:256
	s_waitcnt vmcnt(0)
	v_cvt_f32_i32_sdwa v18, sext(v12) dst_sel:DWORD dst_unused:UNUSED_PAD src0_sel:BYTE_0
	global_load_dword v16, v[16:17], off
	s_waitcnt vmcnt(0)
	v_cvt_f32_i32_sdwa v17, sext(v16) dst_sel:DWORD dst_unused:UNUSED_PAD src0_sel:BYTE_0
	v_fmac_f32_e32 v8, v18, v17
	v_cvt_f32_i32_sdwa v18, sext(v12) dst_sel:DWORD dst_unused:UNUSED_PAD src0_sel:BYTE_1
	v_fmac_f32_e32 v23, v18, v17
	v_cvt_f32_i32_sdwa v18, sext(v12) dst_sel:DWORD dst_unused:UNUSED_PAD src0_sel:BYTE_2
	v_cvt_f32_i32_sdwa v12, sext(v12) dst_sel:DWORD dst_unused:UNUSED_PAD src0_sel:BYTE_3
	v_fmac_f32_e32 v22, v18, v17
	v_fmac_f32_e32 v7, v12, v17
	v_cvt_f32_i32_sdwa v12, sext(v13) dst_sel:DWORD dst_unused:UNUSED_PAD src0_sel:BYTE_0
	v_cvt_f32_i32_sdwa v17, sext(v16) dst_sel:DWORD dst_unused:UNUSED_PAD src0_sel:BYTE_1
	v_fmac_f32_e32 v8, v12, v17
	v_cvt_f32_i32_sdwa v12, sext(v13) dst_sel:DWORD dst_unused:UNUSED_PAD src0_sel:BYTE_1
	v_fmac_f32_e32 v23, v12, v17
	v_cvt_f32_i32_sdwa v12, sext(v13) dst_sel:DWORD dst_unused:UNUSED_PAD src0_sel:BYTE_2
	v_fmac_f32_e32 v22, v12, v17
	v_cvt_f32_i32_sdwa v12, sext(v13) dst_sel:DWORD dst_unused:UNUSED_PAD src0_sel:BYTE_3
	v_cvt_f32_i32_sdwa v13, sext(v16) dst_sel:DWORD dst_unused:UNUSED_PAD src0_sel:BYTE_2
	v_fmac_f32_e32 v7, v12, v17
	v_cvt_f32_i32_sdwa v12, sext(v14) dst_sel:DWORD dst_unused:UNUSED_PAD src0_sel:BYTE_0
	v_fmac_f32_e32 v8, v12, v13
	v_cvt_f32_i32_sdwa v12, sext(v14) dst_sel:DWORD dst_unused:UNUSED_PAD src0_sel:BYTE_1
	v_fmac_f32_e32 v23, v12, v13
	v_cvt_f32_i32_sdwa v12, sext(v14) dst_sel:DWORD dst_unused:UNUSED_PAD src0_sel:BYTE_2
	v_fmac_f32_e32 v22, v12, v13
	v_cvt_f32_i32_sdwa v12, sext(v14) dst_sel:DWORD dst_unused:UNUSED_PAD src0_sel:BYTE_3
	v_fmac_f32_e32 v7, v12, v13
	v_cvt_f32_i32_sdwa v12, sext(v15) dst_sel:DWORD dst_unused:UNUSED_PAD src0_sel:BYTE_0
	v_cvt_f32_i32_sdwa v13, sext(v16) dst_sel:DWORD dst_unused:UNUSED_PAD src0_sel:BYTE_3
	v_fmac_f32_e32 v8, v12, v13
	v_cvt_f32_i32_sdwa v12, sext(v15) dst_sel:DWORD dst_unused:UNUSED_PAD src0_sel:BYTE_1
	v_fmac_f32_e32 v23, v12, v13
	v_cvt_f32_i32_sdwa v12, sext(v15) dst_sel:DWORD dst_unused:UNUSED_PAD src0_sel:BYTE_2
	v_fmac_f32_e32 v22, v12, v13
	v_cvt_f32_i32_sdwa v12, sext(v15) dst_sel:DWORD dst_unused:UNUSED_PAD src0_sel:BYTE_3
	v_fmac_f32_e32 v7, v12, v13
	global_load_dword v12, v[9:10], off offset:32
	s_waitcnt vmcnt(0)
	v_subrev_u32_e32 v12, s20, v12
	v_lshlrev_b32_e32 v16, 2, v12
	v_ashrrev_i32_e32 v17, 31, v16
	v_add_co_u32_e32 v16, vcc, s6, v16
	v_addc_co_u32_e32 v17, vcc, v11, v17, vcc
	global_load_dwordx4 v[12:15], v[5:6], off offset:384
	v_add_co_u32_e32 v5, vcc, s7, v5
	global_load_dword v16, v[16:17], off
	v_addc_co_u32_e32 v6, vcc, 0, v6, vcc
	v_add_co_u32_e32 v0, vcc, 32, v0
	v_addc_co_u32_e32 v1, vcc, 0, v1, vcc
	v_add_co_u32_e32 v9, vcc, 0x80, v9
	v_addc_co_u32_e32 v10, vcc, 0, v10, vcc
	v_cmp_ge_i64_e32 vcc, v[0:1], v[2:3]
	s_or_b64 s[8:9], vcc, s[8:9]
	s_waitcnt vmcnt(1)
	v_cvt_f32_i32_sdwa v18, sext(v12) dst_sel:DWORD dst_unused:UNUSED_PAD src0_sel:BYTE_0
	s_waitcnt vmcnt(0)
	v_cvt_f32_i32_sdwa v17, sext(v16) dst_sel:DWORD dst_unused:UNUSED_PAD src0_sel:BYTE_0
	v_fmac_f32_e32 v8, v18, v17
	v_cvt_f32_i32_sdwa v18, sext(v12) dst_sel:DWORD dst_unused:UNUSED_PAD src0_sel:BYTE_1
	v_fmac_f32_e32 v23, v18, v17
	v_cvt_f32_i32_sdwa v18, sext(v12) dst_sel:DWORD dst_unused:UNUSED_PAD src0_sel:BYTE_2
	v_cvt_f32_i32_sdwa v12, sext(v12) dst_sel:DWORD dst_unused:UNUSED_PAD src0_sel:BYTE_3
	v_fmac_f32_e32 v22, v18, v17
	v_fmac_f32_e32 v7, v12, v17
	v_cvt_f32_i32_sdwa v12, sext(v13) dst_sel:DWORD dst_unused:UNUSED_PAD src0_sel:BYTE_0
	v_cvt_f32_i32_sdwa v17, sext(v16) dst_sel:DWORD dst_unused:UNUSED_PAD src0_sel:BYTE_1
	v_fmac_f32_e32 v8, v12, v17
	v_cvt_f32_i32_sdwa v12, sext(v13) dst_sel:DWORD dst_unused:UNUSED_PAD src0_sel:BYTE_1
	v_fmac_f32_e32 v23, v12, v17
	v_cvt_f32_i32_sdwa v12, sext(v13) dst_sel:DWORD dst_unused:UNUSED_PAD src0_sel:BYTE_2
	v_fmac_f32_e32 v22, v12, v17
	v_cvt_f32_i32_sdwa v12, sext(v13) dst_sel:DWORD dst_unused:UNUSED_PAD src0_sel:BYTE_3
	v_cvt_f32_i32_sdwa v13, sext(v16) dst_sel:DWORD dst_unused:UNUSED_PAD src0_sel:BYTE_2
	v_fmac_f32_e32 v7, v12, v17
	v_cvt_f32_i32_sdwa v12, sext(v14) dst_sel:DWORD dst_unused:UNUSED_PAD src0_sel:BYTE_0
	v_fmac_f32_e32 v8, v12, v13
	v_cvt_f32_i32_sdwa v12, sext(v14) dst_sel:DWORD dst_unused:UNUSED_PAD src0_sel:BYTE_1
	v_fmac_f32_e32 v23, v12, v13
	v_cvt_f32_i32_sdwa v12, sext(v14) dst_sel:DWORD dst_unused:UNUSED_PAD src0_sel:BYTE_2
	v_fmac_f32_e32 v22, v12, v13
	v_cvt_f32_i32_sdwa v12, sext(v14) dst_sel:DWORD dst_unused:UNUSED_PAD src0_sel:BYTE_3
	v_fmac_f32_e32 v7, v12, v13
	v_cvt_f32_i32_sdwa v12, sext(v15) dst_sel:DWORD dst_unused:UNUSED_PAD src0_sel:BYTE_0
	v_cvt_f32_i32_sdwa v13, sext(v16) dst_sel:DWORD dst_unused:UNUSED_PAD src0_sel:BYTE_3
	v_fmac_f32_e32 v8, v12, v13
	v_cvt_f32_i32_sdwa v12, sext(v15) dst_sel:DWORD dst_unused:UNUSED_PAD src0_sel:BYTE_1
	v_fmac_f32_e32 v23, v12, v13
	v_cvt_f32_i32_sdwa v12, sext(v15) dst_sel:DWORD dst_unused:UNUSED_PAD src0_sel:BYTE_2
	v_fmac_f32_e32 v22, v12, v13
	v_cvt_f32_i32_sdwa v12, sext(v15) dst_sel:DWORD dst_unused:UNUSED_PAD src0_sel:BYTE_3
	v_fmac_f32_e32 v7, v12, v13
	s_andn2_b64 exec, exec, s[8:9]
	s_cbranch_execnz .LBB81_33
; %bb.34:
	s_or_b64 exec, exec, s[8:9]
.LBB81_35:
	s_or_b64 exec, exec, s[0:1]
.LBB81_36:
	s_or_b64 exec, exec, s[2:3]
.LBB81_37:
	v_mov_b32_dpp v0, v8 row_shr:1 row_mask:0xf bank_mask:0xf
	v_add_f32_e32 v0, v8, v0
	v_mov_b32_dpp v2, v23 row_shr:1 row_mask:0xf bank_mask:0xf
	v_mov_b32_dpp v5, v22 row_shr:1 row_mask:0xf bank_mask:0xf
	;; [unrolled: 1-line block ×3, first 2 shown]
	v_add_f32_e32 v2, v23, v2
	v_add_f32_e32 v5, v22, v5
	;; [unrolled: 1-line block ×3, first 2 shown]
	v_mov_b32_dpp v1, v0 row_shr:2 row_mask:0xf bank_mask:0xf
	v_mov_b32_dpp v3, v2 row_shr:2 row_mask:0xf bank_mask:0xf
	;; [unrolled: 1-line block ×4, first 2 shown]
	v_add_f32_e32 v0, v0, v1
	v_add_f32_e32 v2, v2, v3
	;; [unrolled: 1-line block ×4, first 2 shown]
	v_mov_b32_dpp v1, v0 row_shr:4 row_mask:0xf bank_mask:0xe
	v_mov_b32_dpp v3, v2 row_shr:4 row_mask:0xf bank_mask:0xe
	;; [unrolled: 1-line block ×4, first 2 shown]
	v_cmp_eq_u32_e32 vcc, 7, v21
	s_and_b64 exec, exec, vcc
	s_cbranch_execz .LBB81_10
; %bb.38:
	s_load_dwordx2 s[0:1], s[4:5], 0x50
	v_add_f32_e32 v0, v0, v1
	v_add_f32_e32 v1, v2, v3
	;; [unrolled: 1-line block ×4, first 2 shown]
	v_cmp_eq_f32_e64 s[2:3], s16, 0
	s_and_b64 vcc, exec, s[2:3]
	v_mul_f32_e32 v0, s18, v0
	v_mul_f32_e32 v1, s18, v1
	;; [unrolled: 1-line block ×4, first 2 shown]
	v_lshlrev_b32_e32 v4, 2, v4
	s_cbranch_vccz .LBB81_40
; %bb.39:
	v_ashrrev_i32_e32 v5, 31, v4
	v_lshlrev_b64 v[5:6], 2, v[4:5]
	s_waitcnt lgkmcnt(0)
	v_mov_b32_e32 v7, s1
	v_add_co_u32_e32 v5, vcc, s0, v5
	v_addc_co_u32_e32 v6, vcc, v7, v6, vcc
	global_store_dwordx4 v[5:6], v[0:3], off
	s_cbranch_execnz .LBB81_10
	s_branch .LBB81_41
.LBB81_40:
.LBB81_41:
	v_ashrrev_i32_e32 v5, 31, v4
	v_lshlrev_b64 v[4:5], 2, v[4:5]
	s_waitcnt lgkmcnt(0)
	v_mov_b32_e32 v6, s1
	v_add_co_u32_e32 v8, vcc, s0, v4
	v_addc_co_u32_e32 v9, vcc, v6, v5, vcc
	global_load_dwordx4 v[4:7], v[8:9], off
	s_waitcnt vmcnt(0)
	v_fmac_f32_e32 v0, s16, v4
	v_fmac_f32_e32 v1, s16, v5
	;; [unrolled: 1-line block ×4, first 2 shown]
	global_store_dwordx4 v[8:9], v[0:3], off
	s_endpgm
	.section	.rodata,"a",@progbits
	.p2align	6, 0x0
	.amdhsa_kernel _ZN9rocsparseL18bsrxmvn_4x4_kernelILj128ELj8EfliaafEEvT3_20rocsparse_direction_NS_24const_host_device_scalarIT1_EES1_PKS1_PKT2_SA_S7_PKT4_PKT5_S5_PT6_21rocsparse_index_base_b
		.amdhsa_group_segment_fixed_size 0
		.amdhsa_private_segment_fixed_size 0
		.amdhsa_kernarg_size 96
		.amdhsa_user_sgpr_count 6
		.amdhsa_user_sgpr_private_segment_buffer 1
		.amdhsa_user_sgpr_dispatch_ptr 0
		.amdhsa_user_sgpr_queue_ptr 0
		.amdhsa_user_sgpr_kernarg_segment_ptr 1
		.amdhsa_user_sgpr_dispatch_id 0
		.amdhsa_user_sgpr_flat_scratch_init 0
		.amdhsa_user_sgpr_private_segment_size 0
		.amdhsa_uses_dynamic_stack 0
		.amdhsa_system_sgpr_private_segment_wavefront_offset 0
		.amdhsa_system_sgpr_workgroup_id_x 1
		.amdhsa_system_sgpr_workgroup_id_y 0
		.amdhsa_system_sgpr_workgroup_id_z 0
		.amdhsa_system_sgpr_workgroup_info 0
		.amdhsa_system_vgpr_workitem_id 0
		.amdhsa_next_free_vgpr 45
		.amdhsa_next_free_sgpr 22
		.amdhsa_reserve_vcc 1
		.amdhsa_reserve_flat_scratch 0
		.amdhsa_float_round_mode_32 0
		.amdhsa_float_round_mode_16_64 0
		.amdhsa_float_denorm_mode_32 3
		.amdhsa_float_denorm_mode_16_64 3
		.amdhsa_dx10_clamp 1
		.amdhsa_ieee_mode 1
		.amdhsa_fp16_overflow 0
		.amdhsa_exception_fp_ieee_invalid_op 0
		.amdhsa_exception_fp_denorm_src 0
		.amdhsa_exception_fp_ieee_div_zero 0
		.amdhsa_exception_fp_ieee_overflow 0
		.amdhsa_exception_fp_ieee_underflow 0
		.amdhsa_exception_fp_ieee_inexact 0
		.amdhsa_exception_int_div_zero 0
	.end_amdhsa_kernel
	.section	.text._ZN9rocsparseL18bsrxmvn_4x4_kernelILj128ELj8EfliaafEEvT3_20rocsparse_direction_NS_24const_host_device_scalarIT1_EES1_PKS1_PKT2_SA_S7_PKT4_PKT5_S5_PT6_21rocsparse_index_base_b,"axG",@progbits,_ZN9rocsparseL18bsrxmvn_4x4_kernelILj128ELj8EfliaafEEvT3_20rocsparse_direction_NS_24const_host_device_scalarIT1_EES1_PKS1_PKT2_SA_S7_PKT4_PKT5_S5_PT6_21rocsparse_index_base_b,comdat
.Lfunc_end81:
	.size	_ZN9rocsparseL18bsrxmvn_4x4_kernelILj128ELj8EfliaafEEvT3_20rocsparse_direction_NS_24const_host_device_scalarIT1_EES1_PKS1_PKT2_SA_S7_PKT4_PKT5_S5_PT6_21rocsparse_index_base_b, .Lfunc_end81-_ZN9rocsparseL18bsrxmvn_4x4_kernelILj128ELj8EfliaafEEvT3_20rocsparse_direction_NS_24const_host_device_scalarIT1_EES1_PKS1_PKT2_SA_S7_PKT4_PKT5_S5_PT6_21rocsparse_index_base_b
                                        ; -- End function
	.set _ZN9rocsparseL18bsrxmvn_4x4_kernelILj128ELj8EfliaafEEvT3_20rocsparse_direction_NS_24const_host_device_scalarIT1_EES1_PKS1_PKT2_SA_S7_PKT4_PKT5_S5_PT6_21rocsparse_index_base_b.num_vgpr, 45
	.set _ZN9rocsparseL18bsrxmvn_4x4_kernelILj128ELj8EfliaafEEvT3_20rocsparse_direction_NS_24const_host_device_scalarIT1_EES1_PKS1_PKT2_SA_S7_PKT4_PKT5_S5_PT6_21rocsparse_index_base_b.num_agpr, 0
	.set _ZN9rocsparseL18bsrxmvn_4x4_kernelILj128ELj8EfliaafEEvT3_20rocsparse_direction_NS_24const_host_device_scalarIT1_EES1_PKS1_PKT2_SA_S7_PKT4_PKT5_S5_PT6_21rocsparse_index_base_b.numbered_sgpr, 22
	.set _ZN9rocsparseL18bsrxmvn_4x4_kernelILj128ELj8EfliaafEEvT3_20rocsparse_direction_NS_24const_host_device_scalarIT1_EES1_PKS1_PKT2_SA_S7_PKT4_PKT5_S5_PT6_21rocsparse_index_base_b.num_named_barrier, 0
	.set _ZN9rocsparseL18bsrxmvn_4x4_kernelILj128ELj8EfliaafEEvT3_20rocsparse_direction_NS_24const_host_device_scalarIT1_EES1_PKS1_PKT2_SA_S7_PKT4_PKT5_S5_PT6_21rocsparse_index_base_b.private_seg_size, 0
	.set _ZN9rocsparseL18bsrxmvn_4x4_kernelILj128ELj8EfliaafEEvT3_20rocsparse_direction_NS_24const_host_device_scalarIT1_EES1_PKS1_PKT2_SA_S7_PKT4_PKT5_S5_PT6_21rocsparse_index_base_b.uses_vcc, 1
	.set _ZN9rocsparseL18bsrxmvn_4x4_kernelILj128ELj8EfliaafEEvT3_20rocsparse_direction_NS_24const_host_device_scalarIT1_EES1_PKS1_PKT2_SA_S7_PKT4_PKT5_S5_PT6_21rocsparse_index_base_b.uses_flat_scratch, 0
	.set _ZN9rocsparseL18bsrxmvn_4x4_kernelILj128ELj8EfliaafEEvT3_20rocsparse_direction_NS_24const_host_device_scalarIT1_EES1_PKS1_PKT2_SA_S7_PKT4_PKT5_S5_PT6_21rocsparse_index_base_b.has_dyn_sized_stack, 0
	.set _ZN9rocsparseL18bsrxmvn_4x4_kernelILj128ELj8EfliaafEEvT3_20rocsparse_direction_NS_24const_host_device_scalarIT1_EES1_PKS1_PKT2_SA_S7_PKT4_PKT5_S5_PT6_21rocsparse_index_base_b.has_recursion, 0
	.set _ZN9rocsparseL18bsrxmvn_4x4_kernelILj128ELj8EfliaafEEvT3_20rocsparse_direction_NS_24const_host_device_scalarIT1_EES1_PKS1_PKT2_SA_S7_PKT4_PKT5_S5_PT6_21rocsparse_index_base_b.has_indirect_call, 0
	.section	.AMDGPU.csdata,"",@progbits
; Kernel info:
; codeLenInByte = 4376
; TotalNumSgprs: 26
; NumVgprs: 45
; ScratchSize: 0
; MemoryBound: 0
; FloatMode: 240
; IeeeMode: 1
; LDSByteSize: 0 bytes/workgroup (compile time only)
; SGPRBlocks: 3
; VGPRBlocks: 11
; NumSGPRsForWavesPerEU: 26
; NumVGPRsForWavesPerEU: 45
; Occupancy: 5
; WaveLimiterHint : 1
; COMPUTE_PGM_RSRC2:SCRATCH_EN: 0
; COMPUTE_PGM_RSRC2:USER_SGPR: 6
; COMPUTE_PGM_RSRC2:TRAP_HANDLER: 0
; COMPUTE_PGM_RSRC2:TGID_X_EN: 1
; COMPUTE_PGM_RSRC2:TGID_Y_EN: 0
; COMPUTE_PGM_RSRC2:TGID_Z_EN: 0
; COMPUTE_PGM_RSRC2:TIDIG_COMP_CNT: 0
	.section	.text._ZN9rocsparseL18bsrxmvn_4x4_kernelILj128ELj16EfliaafEEvT3_20rocsparse_direction_NS_24const_host_device_scalarIT1_EES1_PKS1_PKT2_SA_S7_PKT4_PKT5_S5_PT6_21rocsparse_index_base_b,"axG",@progbits,_ZN9rocsparseL18bsrxmvn_4x4_kernelILj128ELj16EfliaafEEvT3_20rocsparse_direction_NS_24const_host_device_scalarIT1_EES1_PKS1_PKT2_SA_S7_PKT4_PKT5_S5_PT6_21rocsparse_index_base_b,comdat
	.globl	_ZN9rocsparseL18bsrxmvn_4x4_kernelILj128ELj16EfliaafEEvT3_20rocsparse_direction_NS_24const_host_device_scalarIT1_EES1_PKS1_PKT2_SA_S7_PKT4_PKT5_S5_PT6_21rocsparse_index_base_b ; -- Begin function _ZN9rocsparseL18bsrxmvn_4x4_kernelILj128ELj16EfliaafEEvT3_20rocsparse_direction_NS_24const_host_device_scalarIT1_EES1_PKS1_PKT2_SA_S7_PKT4_PKT5_S5_PT6_21rocsparse_index_base_b
	.p2align	8
	.type	_ZN9rocsparseL18bsrxmvn_4x4_kernelILj128ELj16EfliaafEEvT3_20rocsparse_direction_NS_24const_host_device_scalarIT1_EES1_PKS1_PKT2_SA_S7_PKT4_PKT5_S5_PT6_21rocsparse_index_base_b,@function
_ZN9rocsparseL18bsrxmvn_4x4_kernelILj128ELj16EfliaafEEvT3_20rocsparse_direction_NS_24const_host_device_scalarIT1_EES1_PKS1_PKT2_SA_S7_PKT4_PKT5_S5_PT6_21rocsparse_index_base_b: ; @_ZN9rocsparseL18bsrxmvn_4x4_kernelILj128ELj16EfliaafEEvT3_20rocsparse_direction_NS_24const_host_device_scalarIT1_EES1_PKS1_PKT2_SA_S7_PKT4_PKT5_S5_PT6_21rocsparse_index_base_b
; %bb.0:
	s_load_dwordx2 s[20:21], s[4:5], 0x58
	s_load_dwordx2 s[18:19], s[4:5], 0x8
	;; [unrolled: 1-line block ×3, first 2 shown]
	s_waitcnt lgkmcnt(0)
	s_bitcmp1_b32 s21, 0
	s_cselect_b64 s[2:3], -1, 0
	s_xor_b64 s[0:1], s[2:3], -1
	s_and_b64 vcc, exec, s[2:3]
	s_cbranch_vccnz .LBB82_2
; %bb.1:
	s_load_dword s18, s[18:19], 0x0
.LBB82_2:
	s_andn2_b64 vcc, exec, s[0:1]
	s_cbranch_vccnz .LBB82_4
; %bb.3:
	s_load_dword s16, s[16:17], 0x0
.LBB82_4:
	s_waitcnt lgkmcnt(0)
	v_cmp_neq_f32_e64 s[0:1], s18, 0
	v_cmp_neq_f32_e64 s[2:3], s16, 1.0
	s_or_b64 s[0:1], s[0:1], s[2:3]
	s_andn2_b64 vcc, exec, s[0:1]
	s_cbranch_vccnz .LBB82_10
; %bb.5:
	s_load_dwordx2 s[8:9], s[4:5], 0x18
	s_load_dwordx2 s[0:1], s[4:5], 0x0
	v_lshrrev_b32_e32 v1, 4, v0
	v_lshl_or_b32 v4, s6, 3, v1
	s_mov_b64 s[2:3], 0
	s_waitcnt lgkmcnt(0)
	s_cmp_lg_u64 s[8:9], 0
	s_cbranch_scc0 .LBB82_11
; %bb.6:
	s_load_dword s6, s[4:5], 0x10
                                        ; implicit-def: $vgpr1
	s_waitcnt lgkmcnt(0)
	v_cmp_gt_i32_e32 vcc, s6, v4
	s_and_saveexec_b64 s[6:7], vcc
	s_xor_b64 s[6:7], exec, s[6:7]
	s_cbranch_execz .LBB82_8
; %bb.7:
	v_ashrrev_i32_e32 v5, 31, v4
	v_lshlrev_b64 v[1:2], 2, v[4:5]
	v_mov_b32_e32 v3, s9
	v_add_co_u32_e32 v1, vcc, s8, v1
	v_addc_co_u32_e32 v2, vcc, v3, v2, vcc
	global_load_dword v1, v[1:2], off
	s_mov_b64 s[2:3], exec
	s_waitcnt vmcnt(0)
	v_subrev_u32_e32 v1, s20, v1
.LBB82_8:
	s_or_b64 exec, exec, s[6:7]
	s_branch .LBB82_12
.LBB82_9:
	v_cmp_gt_i32_e32 vcc, s0, v4
	s_andn2_b64 s[2:3], s[2:3], exec
	s_and_b64 s[6:7], vcc, exec
	s_or_b64 s[2:3], s[2:3], s[6:7]
	s_and_saveexec_b64 s[6:7], s[2:3]
	s_cbranch_execnz .LBB82_13
.LBB82_10:
	s_endpgm
.LBB82_11:
                                        ; implicit-def: $vgpr1
	s_cbranch_execnz .LBB82_9
.LBB82_12:
	v_mov_b32_e32 v4, v1
	s_and_saveexec_b64 s[6:7], s[2:3]
	s_cbranch_execz .LBB82_10
.LBB82_13:
	s_load_dwordx8 s[8:15], s[4:5], 0x20
	v_ashrrev_i32_e32 v5, 31, v4
	v_lshlrev_b64 v[1:2], 3, v[4:5]
	v_and_b32_e32 v21, 15, v0
	s_load_dwordx2 s[6:7], s[4:5], 0x40
	s_waitcnt lgkmcnt(0)
	v_mov_b32_e32 v3, s9
	v_add_co_u32_e32 v5, vcc, s8, v1
	v_addc_co_u32_e32 v6, vcc, v3, v2, vcc
	v_add_co_u32_e32 v3, vcc, 8, v5
	global_load_dwordx2 v[9:10], v[5:6], off
	v_addc_co_u32_e32 v5, vcc, 0, v6, vcc
	v_mov_b32_e32 v6, s11
	v_add_co_u32_e32 v1, vcc, s10, v1
	s_cmp_eq_u64 s[10:11], 0
	v_addc_co_u32_e32 v2, vcc, v6, v2, vcc
	s_cselect_b64 vcc, -1, 0
	v_cndmask_b32_e32 v2, v2, v5, vcc
	v_cndmask_b32_e32 v1, v1, v3, vcc
	global_load_dwordx2 v[2:3], v[1:2], off
	v_mov_b32_e32 v8, s15
	s_cmp_eq_u32 s1, 1
	v_mov_b32_e32 v7, 0
	s_waitcnt vmcnt(1)
	v_subrev_co_u32_e32 v0, vcc, s20, v9
	v_subbrev_co_u32_e32 v1, vcc, 0, v10, vcc
	v_add_co_u32_e32 v0, vcc, v0, v21
	v_addc_co_u32_e32 v1, vcc, 0, v1, vcc
	v_lshlrev_b64 v[5:6], 4, v[0:1]
	s_waitcnt vmcnt(0)
	v_subrev_co_u32_e32 v2, vcc, s20, v2
	v_subbrev_co_u32_e32 v3, vcc, 0, v3, vcc
	v_cmp_lt_i64_e64 s[0:1], v[0:1], v[2:3]
	v_add_co_u32_e32 v5, vcc, s14, v5
	v_addc_co_u32_e32 v6, vcc, v8, v6, vcc
	s_cbranch_scc1 .LBB82_25
; %bb.14:
	v_mov_b32_e32 v22, 0
	v_mov_b32_e32 v23, 0
	;; [unrolled: 1-line block ×3, first 2 shown]
	s_and_saveexec_b64 s[8:9], s[0:1]
	s_cbranch_execz .LBB82_24
; %bb.15:
	v_or_b32_e32 v7, 16, v21
	v_subrev_co_u32_e32 v7, vcc, s20, v7
	v_subb_co_u32_e64 v8, s[2:3], 0, 0, vcc
	v_add_co_u32_e32 v7, vcc, v7, v9
	v_addc_co_u32_e32 v8, vcc, v8, v10, vcc
	v_cmp_gt_i64_e32 vcc, v[7:8], v[2:3]
	v_not_b32_e32 v12, v9
	v_cndmask_b32_e32 v8, v3, v8, vcc
	v_cndmask_b32_e32 v7, v2, v7, vcc
	v_sub_co_u32_e32 v13, vcc, s20, v21
	v_not_b32_e32 v11, v10
	v_subb_co_u32_e64 v14, s[2:3], 0, 0, vcc
	v_add_co_u32_e32 v12, vcc, v13, v12
	v_addc_co_u32_e32 v11, vcc, v14, v11, vcc
	v_add_co_u32_e32 v15, vcc, v12, v7
	v_addc_co_u32_e32 v16, vcc, v11, v8, vcc
	v_and_b32_e32 v7, 48, v15
	v_mov_b32_e32 v8, 0
	v_cmp_ne_u64_e32 vcc, 48, v[7:8]
	v_mov_b32_e32 v12, v1
	v_mov_b32_e32 v14, v6
	;; [unrolled: 1-line block ×7, first 2 shown]
	s_and_saveexec_b64 s[10:11], vcc
	s_cbranch_execz .LBB82_19
; %bb.16:
	v_lshlrev_b64 v[11:12], 2, v[0:1]
	v_lshrrev_b32_e32 v7, 4, v15
	v_add_u32_e32 v7, 1, v7
	v_mov_b32_e32 v13, s13
	v_add_co_u32_e32 v17, vcc, s12, v11
	v_and_b32_e32 v8, 3, v7
	v_addc_co_u32_e32 v18, vcc, v13, v12, vcc
	v_sub_co_u32_e32 v19, vcc, 0, v8
	v_mov_b32_e32 v14, v6
	v_mov_b32_e32 v12, v1
	;; [unrolled: 1-line block ×3, first 2 shown]
	s_mov_b64 s[14:15], 0
	v_subb_co_u32_e64 v20, s[2:3], 0, 0, vcc
	s_movk_i32 s17, 0x100
	v_mov_b32_e32 v24, s7
	v_mov_b32_e32 v13, v5
	;; [unrolled: 1-line block ×6, first 2 shown]
.LBB82_17:                              ; =>This Inner Loop Header: Depth=1
	global_load_dword v29, v[17:18], off
	global_load_dwordx4 v[25:28], v[13:14], off
	v_add_co_u32_e64 v11, s[2:3], 16, v11
	v_addc_co_u32_e64 v12, s[2:3], 0, v12, s[2:3]
	v_add_co_u32_e64 v17, s[2:3], 64, v17
	v_addc_co_u32_e64 v18, s[2:3], 0, v18, s[2:3]
	;; [unrolled: 2-line block ×3, first 2 shown]
	v_cmp_eq_u64_e64 s[2:3], 0, v[19:20]
	s_or_b64 s[14:15], s[2:3], s[14:15]
	s_waitcnt vmcnt(1)
	v_subrev_u32_e32 v29, s20, v29
	v_lshlrev_b32_e32 v29, 2, v29
	v_ashrrev_i32_e32 v30, 31, v29
	v_add_co_u32_e32 v29, vcc, s6, v29
	v_addc_co_u32_e32 v30, vcc, v24, v30, vcc
	global_load_dword v29, v[29:30], off
	s_waitcnt vmcnt(1)
	v_cvt_f32_i32_sdwa v30, sext(v25) dst_sel:DWORD dst_unused:UNUSED_PAD src0_sel:BYTE_0
	v_cvt_f32_i32_sdwa v33, sext(v26) dst_sel:DWORD dst_unused:UNUSED_PAD src0_sel:BYTE_0
	;; [unrolled: 1-line block ×4, first 2 shown]
	v_cvt_f32_i32_sdwa v31, sext(v25) dst_sel:DWORD dst_unused:UNUSED_PAD src0_sel:BYTE_1
	v_cvt_f32_i32_sdwa v34, sext(v26) dst_sel:DWORD dst_unused:UNUSED_PAD src0_sel:BYTE_1
	;; [unrolled: 1-line block ×4, first 2 shown]
	v_cvt_f32_i32_sdwa v32, sext(v25) dst_sel:DWORD dst_unused:UNUSED_PAD src0_sel:BYTE_2
	v_cvt_f32_i32_sdwa v35, sext(v26) dst_sel:DWORD dst_unused:UNUSED_PAD src0_sel:BYTE_2
	v_cvt_f32_i32_sdwa v38, sext(v27) dst_sel:DWORD dst_unused:UNUSED_PAD src0_sel:BYTE_2
	v_cvt_f32_i32_sdwa v41, sext(v28) dst_sel:DWORD dst_unused:UNUSED_PAD src0_sel:BYTE_2
	v_cvt_f32_i32_sdwa v25, sext(v25) dst_sel:DWORD dst_unused:UNUSED_PAD src0_sel:BYTE_3
	v_cvt_f32_i32_sdwa v26, sext(v26) dst_sel:DWORD dst_unused:UNUSED_PAD src0_sel:BYTE_3
	;; [unrolled: 1-line block ×4, first 2 shown]
	v_add_co_u32_e32 v13, vcc, s17, v13
	v_addc_co_u32_e32 v14, vcc, 0, v14, vcc
	s_waitcnt vmcnt(0)
	v_cvt_f32_i32_sdwa v42, sext(v29) dst_sel:DWORD dst_unused:UNUSED_PAD src0_sel:BYTE_0
	v_cvt_f32_i32_sdwa v43, sext(v29) dst_sel:DWORD dst_unused:UNUSED_PAD src0_sel:BYTE_1
	v_cvt_f32_i32_sdwa v44, sext(v29) dst_sel:DWORD dst_unused:UNUSED_PAD src0_sel:BYTE_2
	v_cvt_f32_i32_sdwa v29, sext(v29) dst_sel:DWORD dst_unused:UNUSED_PAD src0_sel:BYTE_3
	v_fmac_f32_e32 v8, v30, v42
	v_fmac_f32_e32 v23, v33, v42
	;; [unrolled: 1-line block ×16, first 2 shown]
	s_andn2_b64 exec, exec, s[14:15]
	s_cbranch_execnz .LBB82_17
; %bb.18:
	s_or_b64 exec, exec, s[14:15]
.LBB82_19:
	s_or_b64 exec, exec, s[10:11]
	v_cmp_lt_u64_e32 vcc, 47, v[15:16]
	s_and_saveexec_b64 s[2:3], vcc
	s_cbranch_execz .LBB82_23
; %bb.20:
	v_lshlrev_b64 v[15:16], 2, v[11:12]
	v_mov_b32_e32 v17, s13
	v_add_co_u32_e32 v15, vcc, s12, v15
	v_addc_co_u32_e32 v16, vcc, v17, v16, vcc
	v_add_co_u32_e32 v15, vcc, 0x80, v15
	v_addc_co_u32_e32 v16, vcc, 0, v16, vcc
	s_mov_b64 s[10:11], 0
	v_mov_b32_e32 v17, s7
	s_movk_i32 s14, 0x400
.LBB82_21:                              ; =>This Inner Loop Header: Depth=1
	global_load_dword v18, v[15:16], off offset:-128
	global_load_dwordx4 v[24:27], v[13:14], off
	s_waitcnt vmcnt(1)
	v_subrev_u32_e32 v18, s20, v18
	v_lshlrev_b32_e32 v18, 2, v18
	v_ashrrev_i32_e32 v19, 31, v18
	v_add_co_u32_e32 v18, vcc, s6, v18
	v_addc_co_u32_e32 v19, vcc, v17, v19, vcc
	global_load_dword v18, v[18:19], off
	s_waitcnt vmcnt(1)
	v_cvt_f32_i32_sdwa v20, sext(v24) dst_sel:DWORD dst_unused:UNUSED_PAD src0_sel:BYTE_0
	s_waitcnt vmcnt(0)
	v_cvt_f32_i32_sdwa v19, sext(v18) dst_sel:DWORD dst_unused:UNUSED_PAD src0_sel:BYTE_0
	v_cvt_f32_i32_sdwa v28, sext(v18) dst_sel:DWORD dst_unused:UNUSED_PAD src0_sel:BYTE_1
	v_cvt_f32_i32_sdwa v29, sext(v18) dst_sel:DWORD dst_unused:UNUSED_PAD src0_sel:BYTE_2
	v_cvt_f32_i32_sdwa v18, sext(v18) dst_sel:DWORD dst_unused:UNUSED_PAD src0_sel:BYTE_3
	v_fmac_f32_e32 v8, v20, v19
	v_cvt_f32_i32_sdwa v20, sext(v24) dst_sel:DWORD dst_unused:UNUSED_PAD src0_sel:BYTE_1
	v_fmac_f32_e32 v8, v20, v28
	v_cvt_f32_i32_sdwa v20, sext(v24) dst_sel:DWORD dst_unused:UNUSED_PAD src0_sel:BYTE_2
	v_fmac_f32_e32 v8, v20, v29
	v_cvt_f32_i32_sdwa v20, sext(v24) dst_sel:DWORD dst_unused:UNUSED_PAD src0_sel:BYTE_3
	v_fmac_f32_e32 v8, v20, v18
	v_cvt_f32_i32_sdwa v20, sext(v25) dst_sel:DWORD dst_unused:UNUSED_PAD src0_sel:BYTE_0
	v_fmac_f32_e32 v23, v20, v19
	v_cvt_f32_i32_sdwa v20, sext(v25) dst_sel:DWORD dst_unused:UNUSED_PAD src0_sel:BYTE_1
	v_fmac_f32_e32 v23, v20, v28
	v_cvt_f32_i32_sdwa v20, sext(v25) dst_sel:DWORD dst_unused:UNUSED_PAD src0_sel:BYTE_2
	v_fmac_f32_e32 v23, v20, v29
	v_cvt_f32_i32_sdwa v20, sext(v25) dst_sel:DWORD dst_unused:UNUSED_PAD src0_sel:BYTE_3
	v_fmac_f32_e32 v23, v20, v18
	v_cvt_f32_i32_sdwa v20, sext(v26) dst_sel:DWORD dst_unused:UNUSED_PAD src0_sel:BYTE_0
	;; [unrolled: 8-line block ×3, first 2 shown]
	v_fmac_f32_e32 v7, v20, v19
	v_cvt_f32_i32_sdwa v19, sext(v27) dst_sel:DWORD dst_unused:UNUSED_PAD src0_sel:BYTE_1
	v_fmac_f32_e32 v7, v19, v28
	v_cvt_f32_i32_sdwa v19, sext(v27) dst_sel:DWORD dst_unused:UNUSED_PAD src0_sel:BYTE_2
	v_fmac_f32_e32 v7, v19, v29
	v_cvt_f32_i32_sdwa v19, sext(v27) dst_sel:DWORD dst_unused:UNUSED_PAD src0_sel:BYTE_3
	global_load_dwordx4 v[24:27], v[13:14], off offset:256
	v_fmac_f32_e32 v7, v19, v18
	global_load_dword v18, v[15:16], off offset:-64
	s_waitcnt vmcnt(1)
	v_cvt_f32_i32_sdwa v20, sext(v24) dst_sel:DWORD dst_unused:UNUSED_PAD src0_sel:BYTE_0
	s_waitcnt vmcnt(0)
	v_subrev_u32_e32 v18, s20, v18
	v_lshlrev_b32_e32 v18, 2, v18
	v_ashrrev_i32_e32 v19, 31, v18
	v_add_co_u32_e32 v18, vcc, s6, v18
	v_addc_co_u32_e32 v19, vcc, v17, v19, vcc
	global_load_dword v18, v[18:19], off
	s_waitcnt vmcnt(0)
	v_cvt_f32_i32_sdwa v19, sext(v18) dst_sel:DWORD dst_unused:UNUSED_PAD src0_sel:BYTE_0
	v_cvt_f32_i32_sdwa v28, sext(v18) dst_sel:DWORD dst_unused:UNUSED_PAD src0_sel:BYTE_1
	v_cvt_f32_i32_sdwa v29, sext(v18) dst_sel:DWORD dst_unused:UNUSED_PAD src0_sel:BYTE_2
	v_cvt_f32_i32_sdwa v18, sext(v18) dst_sel:DWORD dst_unused:UNUSED_PAD src0_sel:BYTE_3
	v_fmac_f32_e32 v8, v20, v19
	v_cvt_f32_i32_sdwa v20, sext(v24) dst_sel:DWORD dst_unused:UNUSED_PAD src0_sel:BYTE_1
	v_fmac_f32_e32 v8, v20, v28
	v_cvt_f32_i32_sdwa v20, sext(v24) dst_sel:DWORD dst_unused:UNUSED_PAD src0_sel:BYTE_2
	v_fmac_f32_e32 v8, v20, v29
	v_cvt_f32_i32_sdwa v20, sext(v24) dst_sel:DWORD dst_unused:UNUSED_PAD src0_sel:BYTE_3
	v_fmac_f32_e32 v8, v20, v18
	v_cvt_f32_i32_sdwa v20, sext(v25) dst_sel:DWORD dst_unused:UNUSED_PAD src0_sel:BYTE_0
	v_fmac_f32_e32 v23, v20, v19
	v_cvt_f32_i32_sdwa v20, sext(v25) dst_sel:DWORD dst_unused:UNUSED_PAD src0_sel:BYTE_1
	v_fmac_f32_e32 v23, v20, v28
	v_cvt_f32_i32_sdwa v20, sext(v25) dst_sel:DWORD dst_unused:UNUSED_PAD src0_sel:BYTE_2
	v_fmac_f32_e32 v23, v20, v29
	v_cvt_f32_i32_sdwa v20, sext(v25) dst_sel:DWORD dst_unused:UNUSED_PAD src0_sel:BYTE_3
	v_fmac_f32_e32 v23, v20, v18
	v_cvt_f32_i32_sdwa v20, sext(v26) dst_sel:DWORD dst_unused:UNUSED_PAD src0_sel:BYTE_0
	;; [unrolled: 8-line block ×3, first 2 shown]
	v_fmac_f32_e32 v7, v20, v19
	v_cvt_f32_i32_sdwa v19, sext(v27) dst_sel:DWORD dst_unused:UNUSED_PAD src0_sel:BYTE_1
	v_fmac_f32_e32 v7, v19, v28
	v_cvt_f32_i32_sdwa v19, sext(v27) dst_sel:DWORD dst_unused:UNUSED_PAD src0_sel:BYTE_2
	v_fmac_f32_e32 v7, v19, v29
	v_cvt_f32_i32_sdwa v19, sext(v27) dst_sel:DWORD dst_unused:UNUSED_PAD src0_sel:BYTE_3
	global_load_dwordx4 v[24:27], v[13:14], off offset:512
	v_fmac_f32_e32 v7, v19, v18
	global_load_dword v18, v[15:16], off
	s_waitcnt vmcnt(1)
	v_cvt_f32_i32_sdwa v20, sext(v24) dst_sel:DWORD dst_unused:UNUSED_PAD src0_sel:BYTE_0
	s_waitcnt vmcnt(0)
	v_subrev_u32_e32 v18, s20, v18
	v_lshlrev_b32_e32 v18, 2, v18
	v_ashrrev_i32_e32 v19, 31, v18
	v_add_co_u32_e32 v18, vcc, s6, v18
	v_addc_co_u32_e32 v19, vcc, v17, v19, vcc
	global_load_dword v18, v[18:19], off
	s_waitcnt vmcnt(0)
	v_cvt_f32_i32_sdwa v19, sext(v18) dst_sel:DWORD dst_unused:UNUSED_PAD src0_sel:BYTE_0
	v_cvt_f32_i32_sdwa v28, sext(v18) dst_sel:DWORD dst_unused:UNUSED_PAD src0_sel:BYTE_1
	v_cvt_f32_i32_sdwa v29, sext(v18) dst_sel:DWORD dst_unused:UNUSED_PAD src0_sel:BYTE_2
	v_cvt_f32_i32_sdwa v18, sext(v18) dst_sel:DWORD dst_unused:UNUSED_PAD src0_sel:BYTE_3
	v_fmac_f32_e32 v8, v20, v19
	v_cvt_f32_i32_sdwa v20, sext(v24) dst_sel:DWORD dst_unused:UNUSED_PAD src0_sel:BYTE_1
	v_fmac_f32_e32 v8, v20, v28
	v_cvt_f32_i32_sdwa v20, sext(v24) dst_sel:DWORD dst_unused:UNUSED_PAD src0_sel:BYTE_2
	v_fmac_f32_e32 v8, v20, v29
	v_cvt_f32_i32_sdwa v20, sext(v24) dst_sel:DWORD dst_unused:UNUSED_PAD src0_sel:BYTE_3
	v_fmac_f32_e32 v8, v20, v18
	v_cvt_f32_i32_sdwa v20, sext(v25) dst_sel:DWORD dst_unused:UNUSED_PAD src0_sel:BYTE_0
	v_fmac_f32_e32 v23, v20, v19
	v_cvt_f32_i32_sdwa v20, sext(v25) dst_sel:DWORD dst_unused:UNUSED_PAD src0_sel:BYTE_1
	v_fmac_f32_e32 v23, v20, v28
	v_cvt_f32_i32_sdwa v20, sext(v25) dst_sel:DWORD dst_unused:UNUSED_PAD src0_sel:BYTE_2
	v_fmac_f32_e32 v23, v20, v29
	v_cvt_f32_i32_sdwa v20, sext(v25) dst_sel:DWORD dst_unused:UNUSED_PAD src0_sel:BYTE_3
	v_fmac_f32_e32 v23, v20, v18
	v_cvt_f32_i32_sdwa v20, sext(v26) dst_sel:DWORD dst_unused:UNUSED_PAD src0_sel:BYTE_0
	;; [unrolled: 8-line block ×3, first 2 shown]
	v_fmac_f32_e32 v7, v20, v19
	v_cvt_f32_i32_sdwa v19, sext(v27) dst_sel:DWORD dst_unused:UNUSED_PAD src0_sel:BYTE_1
	v_fmac_f32_e32 v7, v19, v28
	v_cvt_f32_i32_sdwa v19, sext(v27) dst_sel:DWORD dst_unused:UNUSED_PAD src0_sel:BYTE_2
	v_fmac_f32_e32 v7, v19, v29
	v_cvt_f32_i32_sdwa v19, sext(v27) dst_sel:DWORD dst_unused:UNUSED_PAD src0_sel:BYTE_3
	global_load_dwordx4 v[24:27], v[13:14], off offset:768
	v_fmac_f32_e32 v7, v19, v18
	global_load_dword v18, v[15:16], off offset:64
	s_waitcnt vmcnt(1)
	v_cvt_f32_i32_sdwa v20, sext(v24) dst_sel:DWORD dst_unused:UNUSED_PAD src0_sel:BYTE_0
	s_waitcnt vmcnt(0)
	v_subrev_u32_e32 v18, s20, v18
	v_lshlrev_b32_e32 v18, 2, v18
	v_ashrrev_i32_e32 v19, 31, v18
	v_add_co_u32_e32 v18, vcc, s6, v18
	v_addc_co_u32_e32 v19, vcc, v17, v19, vcc
	global_load_dword v18, v[18:19], off
	v_add_co_u32_e32 v13, vcc, s14, v13
	v_addc_co_u32_e32 v14, vcc, 0, v14, vcc
	v_add_co_u32_e32 v11, vcc, 64, v11
	v_addc_co_u32_e32 v12, vcc, 0, v12, vcc
	;; [unrolled: 2-line block ×3, first 2 shown]
	v_cmp_ge_i64_e32 vcc, v[11:12], v[2:3]
	s_or_b64 s[10:11], vcc, s[10:11]
	s_waitcnt vmcnt(0)
	v_cvt_f32_i32_sdwa v19, sext(v18) dst_sel:DWORD dst_unused:UNUSED_PAD src0_sel:BYTE_0
	v_cvt_f32_i32_sdwa v28, sext(v18) dst_sel:DWORD dst_unused:UNUSED_PAD src0_sel:BYTE_1
	v_cvt_f32_i32_sdwa v29, sext(v18) dst_sel:DWORD dst_unused:UNUSED_PAD src0_sel:BYTE_2
	v_cvt_f32_i32_sdwa v18, sext(v18) dst_sel:DWORD dst_unused:UNUSED_PAD src0_sel:BYTE_3
	v_fmac_f32_e32 v8, v20, v19
	v_cvt_f32_i32_sdwa v20, sext(v24) dst_sel:DWORD dst_unused:UNUSED_PAD src0_sel:BYTE_1
	v_fmac_f32_e32 v8, v20, v28
	v_cvt_f32_i32_sdwa v20, sext(v24) dst_sel:DWORD dst_unused:UNUSED_PAD src0_sel:BYTE_2
	v_fmac_f32_e32 v8, v20, v29
	v_cvt_f32_i32_sdwa v20, sext(v24) dst_sel:DWORD dst_unused:UNUSED_PAD src0_sel:BYTE_3
	v_fmac_f32_e32 v8, v20, v18
	v_cvt_f32_i32_sdwa v20, sext(v25) dst_sel:DWORD dst_unused:UNUSED_PAD src0_sel:BYTE_0
	v_fmac_f32_e32 v23, v20, v19
	v_cvt_f32_i32_sdwa v20, sext(v25) dst_sel:DWORD dst_unused:UNUSED_PAD src0_sel:BYTE_1
	v_fmac_f32_e32 v23, v20, v28
	v_cvt_f32_i32_sdwa v20, sext(v25) dst_sel:DWORD dst_unused:UNUSED_PAD src0_sel:BYTE_2
	v_fmac_f32_e32 v23, v20, v29
	v_cvt_f32_i32_sdwa v20, sext(v25) dst_sel:DWORD dst_unused:UNUSED_PAD src0_sel:BYTE_3
	v_fmac_f32_e32 v23, v20, v18
	v_cvt_f32_i32_sdwa v20, sext(v26) dst_sel:DWORD dst_unused:UNUSED_PAD src0_sel:BYTE_0
	;; [unrolled: 8-line block ×3, first 2 shown]
	v_fmac_f32_e32 v7, v20, v19
	v_cvt_f32_i32_sdwa v19, sext(v27) dst_sel:DWORD dst_unused:UNUSED_PAD src0_sel:BYTE_1
	v_fmac_f32_e32 v7, v19, v28
	v_cvt_f32_i32_sdwa v19, sext(v27) dst_sel:DWORD dst_unused:UNUSED_PAD src0_sel:BYTE_2
	v_fmac_f32_e32 v7, v19, v29
	v_cvt_f32_i32_sdwa v19, sext(v27) dst_sel:DWORD dst_unused:UNUSED_PAD src0_sel:BYTE_3
	v_fmac_f32_e32 v7, v19, v18
	s_andn2_b64 exec, exec, s[10:11]
	s_cbranch_execnz .LBB82_21
; %bb.22:
	s_or_b64 exec, exec, s[10:11]
.LBB82_23:
	s_or_b64 exec, exec, s[2:3]
.LBB82_24:
	s_or_b64 exec, exec, s[8:9]
	s_cbranch_execz .LBB82_26
	s_branch .LBB82_37
.LBB82_25:
                                        ; implicit-def: $vgpr7
                                        ; implicit-def: $vgpr22
                                        ; implicit-def: $vgpr23
                                        ; implicit-def: $vgpr8
.LBB82_26:
	v_mov_b32_e32 v7, 0
	v_mov_b32_e32 v22, 0
	;; [unrolled: 1-line block ×4, first 2 shown]
	s_and_saveexec_b64 s[2:3], s[0:1]
	s_cbranch_execz .LBB82_36
; %bb.27:
	v_or_b32_e32 v7, 16, v21
	v_subrev_co_u32_e32 v7, vcc, s20, v7
	v_subb_co_u32_e64 v8, s[0:1], 0, 0, vcc
	v_add_co_u32_e32 v7, vcc, v7, v9
	v_addc_co_u32_e32 v8, vcc, v8, v10, vcc
	v_cmp_gt_i64_e32 vcc, v[7:8], v[2:3]
	v_not_b32_e32 v9, v9
	v_cndmask_b32_e32 v8, v3, v8, vcc
	v_cndmask_b32_e32 v7, v2, v7, vcc
	v_sub_co_u32_e32 v11, vcc, s20, v21
	v_not_b32_e32 v10, v10
	v_subb_co_u32_e64 v12, s[0:1], 0, 0, vcc
	v_add_co_u32_e32 v9, vcc, v11, v9
	v_addc_co_u32_e32 v10, vcc, v12, v10, vcc
	v_add_co_u32_e32 v9, vcc, v9, v7
	v_addc_co_u32_e32 v10, vcc, v10, v8, vcc
	v_and_b32_e32 v7, 48, v9
	v_mov_b32_e32 v8, 0
	v_cmp_ne_u64_e32 vcc, 48, v[7:8]
	v_mov_b32_e32 v23, v8
	v_mov_b32_e32 v22, v8
	;; [unrolled: 1-line block ×3, first 2 shown]
	s_and_saveexec_b64 s[8:9], vcc
	s_cbranch_execz .LBB82_31
; %bb.28:
	v_lshlrev_b64 v[11:12], 2, v[0:1]
	v_lshrrev_b32_e32 v7, 4, v9
	v_add_u32_e32 v7, 1, v7
	v_mov_b32_e32 v13, s13
	v_add_co_u32_e32 v11, vcc, s12, v11
	v_and_b32_e32 v8, 3, v7
	v_addc_co_u32_e32 v12, vcc, v13, v12, vcc
	v_sub_co_u32_e32 v13, vcc, 0, v8
	v_mov_b32_e32 v7, 0
	s_mov_b64 s[10:11], 0
	v_subb_co_u32_e64 v14, s[0:1], 0, 0, vcc
	s_movk_i32 s14, 0x100
	v_mov_b32_e32 v15, s7
	v_mov_b32_e32 v22, 0
	;; [unrolled: 1-line block ×4, first 2 shown]
.LBB82_29:                              ; =>This Inner Loop Header: Depth=1
	global_load_dword v20, v[11:12], off
	global_load_dwordx4 v[16:19], v[5:6], off
	v_add_co_u32_e64 v0, s[0:1], 16, v0
	v_addc_co_u32_e64 v1, s[0:1], 0, v1, s[0:1]
	v_add_co_u32_e64 v11, s[0:1], 64, v11
	v_addc_co_u32_e64 v12, s[0:1], 0, v12, s[0:1]
	;; [unrolled: 2-line block ×3, first 2 shown]
	v_cmp_eq_u64_e64 s[0:1], 0, v[13:14]
	s_or_b64 s[10:11], s[0:1], s[10:11]
	s_waitcnt vmcnt(1)
	v_subrev_u32_e32 v20, s20, v20
	v_lshlrev_b32_e32 v20, 2, v20
	v_ashrrev_i32_e32 v25, 31, v20
	v_add_co_u32_e32 v24, vcc, s6, v20
	v_addc_co_u32_e32 v25, vcc, v15, v25, vcc
	global_load_dword v20, v[24:25], off
	s_waitcnt vmcnt(1)
	v_cvt_f32_i32_sdwa v24, sext(v16) dst_sel:DWORD dst_unused:UNUSED_PAD src0_sel:BYTE_0
	v_cvt_f32_i32_sdwa v25, sext(v16) dst_sel:DWORD dst_unused:UNUSED_PAD src0_sel:BYTE_1
	v_cvt_f32_i32_sdwa v26, sext(v16) dst_sel:DWORD dst_unused:UNUSED_PAD src0_sel:BYTE_2
	v_cvt_f32_i32_sdwa v16, sext(v16) dst_sel:DWORD dst_unused:UNUSED_PAD src0_sel:BYTE_3
	v_cvt_f32_i32_sdwa v27, sext(v17) dst_sel:DWORD dst_unused:UNUSED_PAD src0_sel:BYTE_0
	v_cvt_f32_i32_sdwa v28, sext(v17) dst_sel:DWORD dst_unused:UNUSED_PAD src0_sel:BYTE_1
	v_cvt_f32_i32_sdwa v29, sext(v17) dst_sel:DWORD dst_unused:UNUSED_PAD src0_sel:BYTE_2
	v_cvt_f32_i32_sdwa v17, sext(v17) dst_sel:DWORD dst_unused:UNUSED_PAD src0_sel:BYTE_3
	;; [unrolled: 4-line block ×4, first 2 shown]
	v_add_co_u32_e32 v5, vcc, s14, v5
	v_addc_co_u32_e32 v6, vcc, 0, v6, vcc
	s_waitcnt vmcnt(0)
	v_cvt_f32_i32_sdwa v36, sext(v20) dst_sel:DWORD dst_unused:UNUSED_PAD src0_sel:BYTE_0
	v_cvt_f32_i32_sdwa v37, sext(v20) dst_sel:DWORD dst_unused:UNUSED_PAD src0_sel:BYTE_1
	v_cvt_f32_i32_sdwa v38, sext(v20) dst_sel:DWORD dst_unused:UNUSED_PAD src0_sel:BYTE_2
	v_cvt_f32_i32_sdwa v20, sext(v20) dst_sel:DWORD dst_unused:UNUSED_PAD src0_sel:BYTE_3
	v_fmac_f32_e32 v8, v24, v36
	v_fmac_f32_e32 v23, v25, v36
	;; [unrolled: 1-line block ×16, first 2 shown]
	s_andn2_b64 exec, exec, s[10:11]
	s_cbranch_execnz .LBB82_29
; %bb.30:
	s_or_b64 exec, exec, s[10:11]
.LBB82_31:
	s_or_b64 exec, exec, s[8:9]
	v_cmp_lt_u64_e32 vcc, 47, v[9:10]
	s_and_saveexec_b64 s[0:1], vcc
	s_cbranch_execz .LBB82_35
; %bb.32:
	v_lshlrev_b64 v[9:10], 2, v[0:1]
	v_mov_b32_e32 v11, s13
	v_add_co_u32_e32 v9, vcc, s12, v9
	v_addc_co_u32_e32 v10, vcc, v11, v10, vcc
	v_add_co_u32_e32 v9, vcc, 0x80, v9
	v_addc_co_u32_e32 v10, vcc, 0, v10, vcc
	s_mov_b64 s[8:9], 0
	v_mov_b32_e32 v11, s7
	s_movk_i32 s7, 0x400
.LBB82_33:                              ; =>This Inner Loop Header: Depth=1
	global_load_dword v12, v[9:10], off offset:-128
	s_waitcnt vmcnt(0)
	v_subrev_u32_e32 v12, s20, v12
	v_lshlrev_b32_e32 v16, 2, v12
	v_ashrrev_i32_e32 v17, 31, v16
	v_add_co_u32_e32 v16, vcc, s6, v16
	v_addc_co_u32_e32 v17, vcc, v11, v17, vcc
	global_load_dwordx4 v[12:15], v[5:6], off
	s_waitcnt vmcnt(0)
	v_cvt_f32_i32_sdwa v18, sext(v12) dst_sel:DWORD dst_unused:UNUSED_PAD src0_sel:BYTE_0
	global_load_dword v16, v[16:17], off
	s_waitcnt vmcnt(0)
	v_cvt_f32_i32_sdwa v17, sext(v16) dst_sel:DWORD dst_unused:UNUSED_PAD src0_sel:BYTE_0
	v_fmac_f32_e32 v8, v18, v17
	v_cvt_f32_i32_sdwa v18, sext(v12) dst_sel:DWORD dst_unused:UNUSED_PAD src0_sel:BYTE_1
	v_fmac_f32_e32 v23, v18, v17
	v_cvt_f32_i32_sdwa v18, sext(v12) dst_sel:DWORD dst_unused:UNUSED_PAD src0_sel:BYTE_2
	v_cvt_f32_i32_sdwa v12, sext(v12) dst_sel:DWORD dst_unused:UNUSED_PAD src0_sel:BYTE_3
	v_fmac_f32_e32 v22, v18, v17
	v_fmac_f32_e32 v7, v12, v17
	v_cvt_f32_i32_sdwa v12, sext(v13) dst_sel:DWORD dst_unused:UNUSED_PAD src0_sel:BYTE_0
	v_cvt_f32_i32_sdwa v17, sext(v16) dst_sel:DWORD dst_unused:UNUSED_PAD src0_sel:BYTE_1
	v_fmac_f32_e32 v8, v12, v17
	v_cvt_f32_i32_sdwa v12, sext(v13) dst_sel:DWORD dst_unused:UNUSED_PAD src0_sel:BYTE_1
	v_fmac_f32_e32 v23, v12, v17
	v_cvt_f32_i32_sdwa v12, sext(v13) dst_sel:DWORD dst_unused:UNUSED_PAD src0_sel:BYTE_2
	v_fmac_f32_e32 v22, v12, v17
	v_cvt_f32_i32_sdwa v12, sext(v13) dst_sel:DWORD dst_unused:UNUSED_PAD src0_sel:BYTE_3
	v_cvt_f32_i32_sdwa v13, sext(v16) dst_sel:DWORD dst_unused:UNUSED_PAD src0_sel:BYTE_2
	v_fmac_f32_e32 v7, v12, v17
	v_cvt_f32_i32_sdwa v12, sext(v14) dst_sel:DWORD dst_unused:UNUSED_PAD src0_sel:BYTE_0
	v_fmac_f32_e32 v8, v12, v13
	v_cvt_f32_i32_sdwa v12, sext(v14) dst_sel:DWORD dst_unused:UNUSED_PAD src0_sel:BYTE_1
	v_fmac_f32_e32 v23, v12, v13
	v_cvt_f32_i32_sdwa v12, sext(v14) dst_sel:DWORD dst_unused:UNUSED_PAD src0_sel:BYTE_2
	v_fmac_f32_e32 v22, v12, v13
	v_cvt_f32_i32_sdwa v12, sext(v14) dst_sel:DWORD dst_unused:UNUSED_PAD src0_sel:BYTE_3
	v_fmac_f32_e32 v7, v12, v13
	v_cvt_f32_i32_sdwa v12, sext(v15) dst_sel:DWORD dst_unused:UNUSED_PAD src0_sel:BYTE_0
	v_cvt_f32_i32_sdwa v13, sext(v16) dst_sel:DWORD dst_unused:UNUSED_PAD src0_sel:BYTE_3
	v_fmac_f32_e32 v8, v12, v13
	v_cvt_f32_i32_sdwa v12, sext(v15) dst_sel:DWORD dst_unused:UNUSED_PAD src0_sel:BYTE_1
	v_fmac_f32_e32 v23, v12, v13
	v_cvt_f32_i32_sdwa v12, sext(v15) dst_sel:DWORD dst_unused:UNUSED_PAD src0_sel:BYTE_2
	v_fmac_f32_e32 v22, v12, v13
	v_cvt_f32_i32_sdwa v12, sext(v15) dst_sel:DWORD dst_unused:UNUSED_PAD src0_sel:BYTE_3
	v_fmac_f32_e32 v7, v12, v13
	global_load_dword v12, v[9:10], off offset:-64
	s_waitcnt vmcnt(0)
	v_subrev_u32_e32 v12, s20, v12
	v_lshlrev_b32_e32 v16, 2, v12
	v_ashrrev_i32_e32 v17, 31, v16
	v_add_co_u32_e32 v16, vcc, s6, v16
	v_addc_co_u32_e32 v17, vcc, v11, v17, vcc
	global_load_dwordx4 v[12:15], v[5:6], off offset:256
	s_waitcnt vmcnt(0)
	v_cvt_f32_i32_sdwa v18, sext(v12) dst_sel:DWORD dst_unused:UNUSED_PAD src0_sel:BYTE_0
	global_load_dword v16, v[16:17], off
	s_waitcnt vmcnt(0)
	v_cvt_f32_i32_sdwa v17, sext(v16) dst_sel:DWORD dst_unused:UNUSED_PAD src0_sel:BYTE_0
	v_fmac_f32_e32 v8, v18, v17
	v_cvt_f32_i32_sdwa v18, sext(v12) dst_sel:DWORD dst_unused:UNUSED_PAD src0_sel:BYTE_1
	v_fmac_f32_e32 v23, v18, v17
	v_cvt_f32_i32_sdwa v18, sext(v12) dst_sel:DWORD dst_unused:UNUSED_PAD src0_sel:BYTE_2
	v_cvt_f32_i32_sdwa v12, sext(v12) dst_sel:DWORD dst_unused:UNUSED_PAD src0_sel:BYTE_3
	v_fmac_f32_e32 v22, v18, v17
	v_fmac_f32_e32 v7, v12, v17
	v_cvt_f32_i32_sdwa v12, sext(v13) dst_sel:DWORD dst_unused:UNUSED_PAD src0_sel:BYTE_0
	v_cvt_f32_i32_sdwa v17, sext(v16) dst_sel:DWORD dst_unused:UNUSED_PAD src0_sel:BYTE_1
	v_fmac_f32_e32 v8, v12, v17
	v_cvt_f32_i32_sdwa v12, sext(v13) dst_sel:DWORD dst_unused:UNUSED_PAD src0_sel:BYTE_1
	v_fmac_f32_e32 v23, v12, v17
	v_cvt_f32_i32_sdwa v12, sext(v13) dst_sel:DWORD dst_unused:UNUSED_PAD src0_sel:BYTE_2
	v_fmac_f32_e32 v22, v12, v17
	v_cvt_f32_i32_sdwa v12, sext(v13) dst_sel:DWORD dst_unused:UNUSED_PAD src0_sel:BYTE_3
	v_cvt_f32_i32_sdwa v13, sext(v16) dst_sel:DWORD dst_unused:UNUSED_PAD src0_sel:BYTE_2
	v_fmac_f32_e32 v7, v12, v17
	v_cvt_f32_i32_sdwa v12, sext(v14) dst_sel:DWORD dst_unused:UNUSED_PAD src0_sel:BYTE_0
	v_fmac_f32_e32 v8, v12, v13
	v_cvt_f32_i32_sdwa v12, sext(v14) dst_sel:DWORD dst_unused:UNUSED_PAD src0_sel:BYTE_1
	v_fmac_f32_e32 v23, v12, v13
	v_cvt_f32_i32_sdwa v12, sext(v14) dst_sel:DWORD dst_unused:UNUSED_PAD src0_sel:BYTE_2
	v_fmac_f32_e32 v22, v12, v13
	v_cvt_f32_i32_sdwa v12, sext(v14) dst_sel:DWORD dst_unused:UNUSED_PAD src0_sel:BYTE_3
	v_fmac_f32_e32 v7, v12, v13
	v_cvt_f32_i32_sdwa v12, sext(v15) dst_sel:DWORD dst_unused:UNUSED_PAD src0_sel:BYTE_0
	v_cvt_f32_i32_sdwa v13, sext(v16) dst_sel:DWORD dst_unused:UNUSED_PAD src0_sel:BYTE_3
	v_fmac_f32_e32 v8, v12, v13
	v_cvt_f32_i32_sdwa v12, sext(v15) dst_sel:DWORD dst_unused:UNUSED_PAD src0_sel:BYTE_1
	v_fmac_f32_e32 v23, v12, v13
	v_cvt_f32_i32_sdwa v12, sext(v15) dst_sel:DWORD dst_unused:UNUSED_PAD src0_sel:BYTE_2
	v_fmac_f32_e32 v22, v12, v13
	v_cvt_f32_i32_sdwa v12, sext(v15) dst_sel:DWORD dst_unused:UNUSED_PAD src0_sel:BYTE_3
	v_fmac_f32_e32 v7, v12, v13
	global_load_dword v12, v[9:10], off
	s_waitcnt vmcnt(0)
	v_subrev_u32_e32 v12, s20, v12
	v_lshlrev_b32_e32 v16, 2, v12
	v_ashrrev_i32_e32 v17, 31, v16
	v_add_co_u32_e32 v16, vcc, s6, v16
	v_addc_co_u32_e32 v17, vcc, v11, v17, vcc
	global_load_dwordx4 v[12:15], v[5:6], off offset:512
	s_waitcnt vmcnt(0)
	v_cvt_f32_i32_sdwa v18, sext(v12) dst_sel:DWORD dst_unused:UNUSED_PAD src0_sel:BYTE_0
	global_load_dword v16, v[16:17], off
	s_waitcnt vmcnt(0)
	v_cvt_f32_i32_sdwa v17, sext(v16) dst_sel:DWORD dst_unused:UNUSED_PAD src0_sel:BYTE_0
	v_fmac_f32_e32 v8, v18, v17
	v_cvt_f32_i32_sdwa v18, sext(v12) dst_sel:DWORD dst_unused:UNUSED_PAD src0_sel:BYTE_1
	v_fmac_f32_e32 v23, v18, v17
	v_cvt_f32_i32_sdwa v18, sext(v12) dst_sel:DWORD dst_unused:UNUSED_PAD src0_sel:BYTE_2
	v_cvt_f32_i32_sdwa v12, sext(v12) dst_sel:DWORD dst_unused:UNUSED_PAD src0_sel:BYTE_3
	v_fmac_f32_e32 v22, v18, v17
	v_fmac_f32_e32 v7, v12, v17
	v_cvt_f32_i32_sdwa v12, sext(v13) dst_sel:DWORD dst_unused:UNUSED_PAD src0_sel:BYTE_0
	v_cvt_f32_i32_sdwa v17, sext(v16) dst_sel:DWORD dst_unused:UNUSED_PAD src0_sel:BYTE_1
	v_fmac_f32_e32 v8, v12, v17
	v_cvt_f32_i32_sdwa v12, sext(v13) dst_sel:DWORD dst_unused:UNUSED_PAD src0_sel:BYTE_1
	v_fmac_f32_e32 v23, v12, v17
	v_cvt_f32_i32_sdwa v12, sext(v13) dst_sel:DWORD dst_unused:UNUSED_PAD src0_sel:BYTE_2
	v_fmac_f32_e32 v22, v12, v17
	v_cvt_f32_i32_sdwa v12, sext(v13) dst_sel:DWORD dst_unused:UNUSED_PAD src0_sel:BYTE_3
	v_cvt_f32_i32_sdwa v13, sext(v16) dst_sel:DWORD dst_unused:UNUSED_PAD src0_sel:BYTE_2
	v_fmac_f32_e32 v7, v12, v17
	v_cvt_f32_i32_sdwa v12, sext(v14) dst_sel:DWORD dst_unused:UNUSED_PAD src0_sel:BYTE_0
	v_fmac_f32_e32 v8, v12, v13
	v_cvt_f32_i32_sdwa v12, sext(v14) dst_sel:DWORD dst_unused:UNUSED_PAD src0_sel:BYTE_1
	v_fmac_f32_e32 v23, v12, v13
	v_cvt_f32_i32_sdwa v12, sext(v14) dst_sel:DWORD dst_unused:UNUSED_PAD src0_sel:BYTE_2
	v_fmac_f32_e32 v22, v12, v13
	v_cvt_f32_i32_sdwa v12, sext(v14) dst_sel:DWORD dst_unused:UNUSED_PAD src0_sel:BYTE_3
	v_fmac_f32_e32 v7, v12, v13
	v_cvt_f32_i32_sdwa v12, sext(v15) dst_sel:DWORD dst_unused:UNUSED_PAD src0_sel:BYTE_0
	v_cvt_f32_i32_sdwa v13, sext(v16) dst_sel:DWORD dst_unused:UNUSED_PAD src0_sel:BYTE_3
	v_fmac_f32_e32 v8, v12, v13
	v_cvt_f32_i32_sdwa v12, sext(v15) dst_sel:DWORD dst_unused:UNUSED_PAD src0_sel:BYTE_1
	v_fmac_f32_e32 v23, v12, v13
	v_cvt_f32_i32_sdwa v12, sext(v15) dst_sel:DWORD dst_unused:UNUSED_PAD src0_sel:BYTE_2
	v_fmac_f32_e32 v22, v12, v13
	v_cvt_f32_i32_sdwa v12, sext(v15) dst_sel:DWORD dst_unused:UNUSED_PAD src0_sel:BYTE_3
	v_fmac_f32_e32 v7, v12, v13
	global_load_dword v12, v[9:10], off offset:64
	s_waitcnt vmcnt(0)
	v_subrev_u32_e32 v12, s20, v12
	v_lshlrev_b32_e32 v16, 2, v12
	v_ashrrev_i32_e32 v17, 31, v16
	v_add_co_u32_e32 v16, vcc, s6, v16
	v_addc_co_u32_e32 v17, vcc, v11, v17, vcc
	global_load_dwordx4 v[12:15], v[5:6], off offset:768
	v_add_co_u32_e32 v5, vcc, s7, v5
	global_load_dword v16, v[16:17], off
	v_addc_co_u32_e32 v6, vcc, 0, v6, vcc
	v_add_co_u32_e32 v0, vcc, 64, v0
	v_addc_co_u32_e32 v1, vcc, 0, v1, vcc
	v_add_co_u32_e32 v9, vcc, 0x100, v9
	v_addc_co_u32_e32 v10, vcc, 0, v10, vcc
	v_cmp_ge_i64_e32 vcc, v[0:1], v[2:3]
	s_or_b64 s[8:9], vcc, s[8:9]
	s_waitcnt vmcnt(1)
	v_cvt_f32_i32_sdwa v18, sext(v12) dst_sel:DWORD dst_unused:UNUSED_PAD src0_sel:BYTE_0
	s_waitcnt vmcnt(0)
	v_cvt_f32_i32_sdwa v17, sext(v16) dst_sel:DWORD dst_unused:UNUSED_PAD src0_sel:BYTE_0
	v_fmac_f32_e32 v8, v18, v17
	v_cvt_f32_i32_sdwa v18, sext(v12) dst_sel:DWORD dst_unused:UNUSED_PAD src0_sel:BYTE_1
	v_fmac_f32_e32 v23, v18, v17
	v_cvt_f32_i32_sdwa v18, sext(v12) dst_sel:DWORD dst_unused:UNUSED_PAD src0_sel:BYTE_2
	v_cvt_f32_i32_sdwa v12, sext(v12) dst_sel:DWORD dst_unused:UNUSED_PAD src0_sel:BYTE_3
	v_fmac_f32_e32 v22, v18, v17
	v_fmac_f32_e32 v7, v12, v17
	v_cvt_f32_i32_sdwa v12, sext(v13) dst_sel:DWORD dst_unused:UNUSED_PAD src0_sel:BYTE_0
	v_cvt_f32_i32_sdwa v17, sext(v16) dst_sel:DWORD dst_unused:UNUSED_PAD src0_sel:BYTE_1
	v_fmac_f32_e32 v8, v12, v17
	v_cvt_f32_i32_sdwa v12, sext(v13) dst_sel:DWORD dst_unused:UNUSED_PAD src0_sel:BYTE_1
	v_fmac_f32_e32 v23, v12, v17
	v_cvt_f32_i32_sdwa v12, sext(v13) dst_sel:DWORD dst_unused:UNUSED_PAD src0_sel:BYTE_2
	v_fmac_f32_e32 v22, v12, v17
	v_cvt_f32_i32_sdwa v12, sext(v13) dst_sel:DWORD dst_unused:UNUSED_PAD src0_sel:BYTE_3
	v_cvt_f32_i32_sdwa v13, sext(v16) dst_sel:DWORD dst_unused:UNUSED_PAD src0_sel:BYTE_2
	v_fmac_f32_e32 v7, v12, v17
	v_cvt_f32_i32_sdwa v12, sext(v14) dst_sel:DWORD dst_unused:UNUSED_PAD src0_sel:BYTE_0
	v_fmac_f32_e32 v8, v12, v13
	v_cvt_f32_i32_sdwa v12, sext(v14) dst_sel:DWORD dst_unused:UNUSED_PAD src0_sel:BYTE_1
	v_fmac_f32_e32 v23, v12, v13
	v_cvt_f32_i32_sdwa v12, sext(v14) dst_sel:DWORD dst_unused:UNUSED_PAD src0_sel:BYTE_2
	v_fmac_f32_e32 v22, v12, v13
	v_cvt_f32_i32_sdwa v12, sext(v14) dst_sel:DWORD dst_unused:UNUSED_PAD src0_sel:BYTE_3
	v_fmac_f32_e32 v7, v12, v13
	v_cvt_f32_i32_sdwa v12, sext(v15) dst_sel:DWORD dst_unused:UNUSED_PAD src0_sel:BYTE_0
	v_cvt_f32_i32_sdwa v13, sext(v16) dst_sel:DWORD dst_unused:UNUSED_PAD src0_sel:BYTE_3
	v_fmac_f32_e32 v8, v12, v13
	v_cvt_f32_i32_sdwa v12, sext(v15) dst_sel:DWORD dst_unused:UNUSED_PAD src0_sel:BYTE_1
	v_fmac_f32_e32 v23, v12, v13
	v_cvt_f32_i32_sdwa v12, sext(v15) dst_sel:DWORD dst_unused:UNUSED_PAD src0_sel:BYTE_2
	v_fmac_f32_e32 v22, v12, v13
	v_cvt_f32_i32_sdwa v12, sext(v15) dst_sel:DWORD dst_unused:UNUSED_PAD src0_sel:BYTE_3
	v_fmac_f32_e32 v7, v12, v13
	s_andn2_b64 exec, exec, s[8:9]
	s_cbranch_execnz .LBB82_33
; %bb.34:
	s_or_b64 exec, exec, s[8:9]
.LBB82_35:
	s_or_b64 exec, exec, s[0:1]
.LBB82_36:
	s_or_b64 exec, exec, s[2:3]
.LBB82_37:
	v_mov_b32_dpp v0, v8 row_shr:1 row_mask:0xf bank_mask:0xf
	v_add_f32_e32 v0, v8, v0
	v_mov_b32_dpp v2, v23 row_shr:1 row_mask:0xf bank_mask:0xf
	v_mov_b32_dpp v5, v22 row_shr:1 row_mask:0xf bank_mask:0xf
	;; [unrolled: 1-line block ×3, first 2 shown]
	v_add_f32_e32 v2, v23, v2
	v_add_f32_e32 v5, v22, v5
	;; [unrolled: 1-line block ×3, first 2 shown]
	v_mov_b32_dpp v1, v0 row_shr:2 row_mask:0xf bank_mask:0xf
	v_mov_b32_dpp v3, v2 row_shr:2 row_mask:0xf bank_mask:0xf
	;; [unrolled: 1-line block ×4, first 2 shown]
	v_add_f32_e32 v0, v0, v1
	v_add_f32_e32 v2, v2, v3
	;; [unrolled: 1-line block ×4, first 2 shown]
	v_mov_b32_dpp v1, v0 row_shr:4 row_mask:0xf bank_mask:0xe
	v_mov_b32_dpp v3, v2 row_shr:4 row_mask:0xf bank_mask:0xe
	;; [unrolled: 1-line block ×4, first 2 shown]
	v_add_f32_e32 v0, v0, v1
	v_add_f32_e32 v2, v2, v3
	;; [unrolled: 1-line block ×4, first 2 shown]
	v_mov_b32_dpp v1, v0 row_shr:8 row_mask:0xf bank_mask:0xc
	v_mov_b32_dpp v3, v2 row_shr:8 row_mask:0xf bank_mask:0xc
	;; [unrolled: 1-line block ×4, first 2 shown]
	v_cmp_eq_u32_e32 vcc, 15, v21
	s_and_b64 exec, exec, vcc
	s_cbranch_execz .LBB82_10
; %bb.38:
	s_load_dwordx2 s[0:1], s[4:5], 0x50
	v_add_f32_e32 v0, v0, v1
	v_add_f32_e32 v1, v2, v3
	;; [unrolled: 1-line block ×4, first 2 shown]
	v_cmp_eq_f32_e64 s[2:3], s16, 0
	s_and_b64 vcc, exec, s[2:3]
	v_mul_f32_e32 v0, s18, v0
	v_mul_f32_e32 v1, s18, v1
	;; [unrolled: 1-line block ×4, first 2 shown]
	v_lshlrev_b32_e32 v4, 2, v4
	s_cbranch_vccz .LBB82_40
; %bb.39:
	v_ashrrev_i32_e32 v5, 31, v4
	v_lshlrev_b64 v[5:6], 2, v[4:5]
	s_waitcnt lgkmcnt(0)
	v_mov_b32_e32 v7, s1
	v_add_co_u32_e32 v5, vcc, s0, v5
	v_addc_co_u32_e32 v6, vcc, v7, v6, vcc
	global_store_dwordx4 v[5:6], v[0:3], off
	s_cbranch_execnz .LBB82_10
	s_branch .LBB82_41
.LBB82_40:
.LBB82_41:
	v_ashrrev_i32_e32 v5, 31, v4
	v_lshlrev_b64 v[4:5], 2, v[4:5]
	s_waitcnt lgkmcnt(0)
	v_mov_b32_e32 v6, s1
	v_add_co_u32_e32 v8, vcc, s0, v4
	v_addc_co_u32_e32 v9, vcc, v6, v5, vcc
	global_load_dwordx4 v[4:7], v[8:9], off
	s_waitcnt vmcnt(0)
	v_fmac_f32_e32 v0, s16, v4
	v_fmac_f32_e32 v1, s16, v5
	;; [unrolled: 1-line block ×4, first 2 shown]
	global_store_dwordx4 v[8:9], v[0:3], off
	s_endpgm
	.section	.rodata,"a",@progbits
	.p2align	6, 0x0
	.amdhsa_kernel _ZN9rocsparseL18bsrxmvn_4x4_kernelILj128ELj16EfliaafEEvT3_20rocsparse_direction_NS_24const_host_device_scalarIT1_EES1_PKS1_PKT2_SA_S7_PKT4_PKT5_S5_PT6_21rocsparse_index_base_b
		.amdhsa_group_segment_fixed_size 0
		.amdhsa_private_segment_fixed_size 0
		.amdhsa_kernarg_size 96
		.amdhsa_user_sgpr_count 6
		.amdhsa_user_sgpr_private_segment_buffer 1
		.amdhsa_user_sgpr_dispatch_ptr 0
		.amdhsa_user_sgpr_queue_ptr 0
		.amdhsa_user_sgpr_kernarg_segment_ptr 1
		.amdhsa_user_sgpr_dispatch_id 0
		.amdhsa_user_sgpr_flat_scratch_init 0
		.amdhsa_user_sgpr_private_segment_size 0
		.amdhsa_uses_dynamic_stack 0
		.amdhsa_system_sgpr_private_segment_wavefront_offset 0
		.amdhsa_system_sgpr_workgroup_id_x 1
		.amdhsa_system_sgpr_workgroup_id_y 0
		.amdhsa_system_sgpr_workgroup_id_z 0
		.amdhsa_system_sgpr_workgroup_info 0
		.amdhsa_system_vgpr_workitem_id 0
		.amdhsa_next_free_vgpr 45
		.amdhsa_next_free_sgpr 22
		.amdhsa_reserve_vcc 1
		.amdhsa_reserve_flat_scratch 0
		.amdhsa_float_round_mode_32 0
		.amdhsa_float_round_mode_16_64 0
		.amdhsa_float_denorm_mode_32 3
		.amdhsa_float_denorm_mode_16_64 3
		.amdhsa_dx10_clamp 1
		.amdhsa_ieee_mode 1
		.amdhsa_fp16_overflow 0
		.amdhsa_exception_fp_ieee_invalid_op 0
		.amdhsa_exception_fp_denorm_src 0
		.amdhsa_exception_fp_ieee_div_zero 0
		.amdhsa_exception_fp_ieee_overflow 0
		.amdhsa_exception_fp_ieee_underflow 0
		.amdhsa_exception_fp_ieee_inexact 0
		.amdhsa_exception_int_div_zero 0
	.end_amdhsa_kernel
	.section	.text._ZN9rocsparseL18bsrxmvn_4x4_kernelILj128ELj16EfliaafEEvT3_20rocsparse_direction_NS_24const_host_device_scalarIT1_EES1_PKS1_PKT2_SA_S7_PKT4_PKT5_S5_PT6_21rocsparse_index_base_b,"axG",@progbits,_ZN9rocsparseL18bsrxmvn_4x4_kernelILj128ELj16EfliaafEEvT3_20rocsparse_direction_NS_24const_host_device_scalarIT1_EES1_PKS1_PKT2_SA_S7_PKT4_PKT5_S5_PT6_21rocsparse_index_base_b,comdat
.Lfunc_end82:
	.size	_ZN9rocsparseL18bsrxmvn_4x4_kernelILj128ELj16EfliaafEEvT3_20rocsparse_direction_NS_24const_host_device_scalarIT1_EES1_PKS1_PKT2_SA_S7_PKT4_PKT5_S5_PT6_21rocsparse_index_base_b, .Lfunc_end82-_ZN9rocsparseL18bsrxmvn_4x4_kernelILj128ELj16EfliaafEEvT3_20rocsparse_direction_NS_24const_host_device_scalarIT1_EES1_PKS1_PKT2_SA_S7_PKT4_PKT5_S5_PT6_21rocsparse_index_base_b
                                        ; -- End function
	.set _ZN9rocsparseL18bsrxmvn_4x4_kernelILj128ELj16EfliaafEEvT3_20rocsparse_direction_NS_24const_host_device_scalarIT1_EES1_PKS1_PKT2_SA_S7_PKT4_PKT5_S5_PT6_21rocsparse_index_base_b.num_vgpr, 45
	.set _ZN9rocsparseL18bsrxmvn_4x4_kernelILj128ELj16EfliaafEEvT3_20rocsparse_direction_NS_24const_host_device_scalarIT1_EES1_PKS1_PKT2_SA_S7_PKT4_PKT5_S5_PT6_21rocsparse_index_base_b.num_agpr, 0
	.set _ZN9rocsparseL18bsrxmvn_4x4_kernelILj128ELj16EfliaafEEvT3_20rocsparse_direction_NS_24const_host_device_scalarIT1_EES1_PKS1_PKT2_SA_S7_PKT4_PKT5_S5_PT6_21rocsparse_index_base_b.numbered_sgpr, 22
	.set _ZN9rocsparseL18bsrxmvn_4x4_kernelILj128ELj16EfliaafEEvT3_20rocsparse_direction_NS_24const_host_device_scalarIT1_EES1_PKS1_PKT2_SA_S7_PKT4_PKT5_S5_PT6_21rocsparse_index_base_b.num_named_barrier, 0
	.set _ZN9rocsparseL18bsrxmvn_4x4_kernelILj128ELj16EfliaafEEvT3_20rocsparse_direction_NS_24const_host_device_scalarIT1_EES1_PKS1_PKT2_SA_S7_PKT4_PKT5_S5_PT6_21rocsparse_index_base_b.private_seg_size, 0
	.set _ZN9rocsparseL18bsrxmvn_4x4_kernelILj128ELj16EfliaafEEvT3_20rocsparse_direction_NS_24const_host_device_scalarIT1_EES1_PKS1_PKT2_SA_S7_PKT4_PKT5_S5_PT6_21rocsparse_index_base_b.uses_vcc, 1
	.set _ZN9rocsparseL18bsrxmvn_4x4_kernelILj128ELj16EfliaafEEvT3_20rocsparse_direction_NS_24const_host_device_scalarIT1_EES1_PKS1_PKT2_SA_S7_PKT4_PKT5_S5_PT6_21rocsparse_index_base_b.uses_flat_scratch, 0
	.set _ZN9rocsparseL18bsrxmvn_4x4_kernelILj128ELj16EfliaafEEvT3_20rocsparse_direction_NS_24const_host_device_scalarIT1_EES1_PKS1_PKT2_SA_S7_PKT4_PKT5_S5_PT6_21rocsparse_index_base_b.has_dyn_sized_stack, 0
	.set _ZN9rocsparseL18bsrxmvn_4x4_kernelILj128ELj16EfliaafEEvT3_20rocsparse_direction_NS_24const_host_device_scalarIT1_EES1_PKS1_PKT2_SA_S7_PKT4_PKT5_S5_PT6_21rocsparse_index_base_b.has_recursion, 0
	.set _ZN9rocsparseL18bsrxmvn_4x4_kernelILj128ELj16EfliaafEEvT3_20rocsparse_direction_NS_24const_host_device_scalarIT1_EES1_PKS1_PKT2_SA_S7_PKT4_PKT5_S5_PT6_21rocsparse_index_base_b.has_indirect_call, 0
	.section	.AMDGPU.csdata,"",@progbits
; Kernel info:
; codeLenInByte = 4432
; TotalNumSgprs: 26
; NumVgprs: 45
; ScratchSize: 0
; MemoryBound: 0
; FloatMode: 240
; IeeeMode: 1
; LDSByteSize: 0 bytes/workgroup (compile time only)
; SGPRBlocks: 3
; VGPRBlocks: 11
; NumSGPRsForWavesPerEU: 26
; NumVGPRsForWavesPerEU: 45
; Occupancy: 5
; WaveLimiterHint : 1
; COMPUTE_PGM_RSRC2:SCRATCH_EN: 0
; COMPUTE_PGM_RSRC2:USER_SGPR: 6
; COMPUTE_PGM_RSRC2:TRAP_HANDLER: 0
; COMPUTE_PGM_RSRC2:TGID_X_EN: 1
; COMPUTE_PGM_RSRC2:TGID_Y_EN: 0
; COMPUTE_PGM_RSRC2:TGID_Z_EN: 0
; COMPUTE_PGM_RSRC2:TIDIG_COMP_CNT: 0
	.section	.text._ZN9rocsparseL18bsrxmvn_4x4_kernelILj128ELj32EfliaafEEvT3_20rocsparse_direction_NS_24const_host_device_scalarIT1_EES1_PKS1_PKT2_SA_S7_PKT4_PKT5_S5_PT6_21rocsparse_index_base_b,"axG",@progbits,_ZN9rocsparseL18bsrxmvn_4x4_kernelILj128ELj32EfliaafEEvT3_20rocsparse_direction_NS_24const_host_device_scalarIT1_EES1_PKS1_PKT2_SA_S7_PKT4_PKT5_S5_PT6_21rocsparse_index_base_b,comdat
	.globl	_ZN9rocsparseL18bsrxmvn_4x4_kernelILj128ELj32EfliaafEEvT3_20rocsparse_direction_NS_24const_host_device_scalarIT1_EES1_PKS1_PKT2_SA_S7_PKT4_PKT5_S5_PT6_21rocsparse_index_base_b ; -- Begin function _ZN9rocsparseL18bsrxmvn_4x4_kernelILj128ELj32EfliaafEEvT3_20rocsparse_direction_NS_24const_host_device_scalarIT1_EES1_PKS1_PKT2_SA_S7_PKT4_PKT5_S5_PT6_21rocsparse_index_base_b
	.p2align	8
	.type	_ZN9rocsparseL18bsrxmvn_4x4_kernelILj128ELj32EfliaafEEvT3_20rocsparse_direction_NS_24const_host_device_scalarIT1_EES1_PKS1_PKT2_SA_S7_PKT4_PKT5_S5_PT6_21rocsparse_index_base_b,@function
_ZN9rocsparseL18bsrxmvn_4x4_kernelILj128ELj32EfliaafEEvT3_20rocsparse_direction_NS_24const_host_device_scalarIT1_EES1_PKS1_PKT2_SA_S7_PKT4_PKT5_S5_PT6_21rocsparse_index_base_b: ; @_ZN9rocsparseL18bsrxmvn_4x4_kernelILj128ELj32EfliaafEEvT3_20rocsparse_direction_NS_24const_host_device_scalarIT1_EES1_PKS1_PKT2_SA_S7_PKT4_PKT5_S5_PT6_21rocsparse_index_base_b
; %bb.0:
	s_load_dwordx2 s[20:21], s[4:5], 0x58
	s_load_dwordx2 s[18:19], s[4:5], 0x8
	;; [unrolled: 1-line block ×3, first 2 shown]
	s_waitcnt lgkmcnt(0)
	s_bitcmp1_b32 s21, 0
	s_cselect_b64 s[2:3], -1, 0
	s_xor_b64 s[0:1], s[2:3], -1
	s_and_b64 vcc, exec, s[2:3]
	s_cbranch_vccnz .LBB83_2
; %bb.1:
	s_load_dword s18, s[18:19], 0x0
.LBB83_2:
	s_andn2_b64 vcc, exec, s[0:1]
	s_cbranch_vccnz .LBB83_4
; %bb.3:
	s_load_dword s16, s[16:17], 0x0
.LBB83_4:
	s_waitcnt lgkmcnt(0)
	v_cmp_neq_f32_e64 s[0:1], s18, 0
	v_cmp_neq_f32_e64 s[2:3], s16, 1.0
	s_or_b64 s[0:1], s[0:1], s[2:3]
	s_andn2_b64 vcc, exec, s[0:1]
	s_cbranch_vccnz .LBB83_10
; %bb.5:
	s_load_dwordx2 s[8:9], s[4:5], 0x18
	s_load_dwordx2 s[0:1], s[4:5], 0x0
	v_lshrrev_b32_e32 v1, 5, v0
	v_lshl_or_b32 v4, s6, 2, v1
	s_mov_b64 s[2:3], 0
	s_waitcnt lgkmcnt(0)
	s_cmp_lg_u64 s[8:9], 0
	s_cbranch_scc0 .LBB83_11
; %bb.6:
	s_load_dword s6, s[4:5], 0x10
                                        ; implicit-def: $vgpr1
	s_waitcnt lgkmcnt(0)
	v_cmp_gt_i32_e32 vcc, s6, v4
	s_and_saveexec_b64 s[6:7], vcc
	s_xor_b64 s[6:7], exec, s[6:7]
	s_cbranch_execz .LBB83_8
; %bb.7:
	v_ashrrev_i32_e32 v5, 31, v4
	v_lshlrev_b64 v[1:2], 2, v[4:5]
	v_mov_b32_e32 v3, s9
	v_add_co_u32_e32 v1, vcc, s8, v1
	v_addc_co_u32_e32 v2, vcc, v3, v2, vcc
	global_load_dword v1, v[1:2], off
	s_mov_b64 s[2:3], exec
	s_waitcnt vmcnt(0)
	v_subrev_u32_e32 v1, s20, v1
.LBB83_8:
	s_or_b64 exec, exec, s[6:7]
	s_branch .LBB83_12
.LBB83_9:
	v_cmp_gt_i32_e32 vcc, s0, v4
	s_andn2_b64 s[2:3], s[2:3], exec
	s_and_b64 s[6:7], vcc, exec
	s_or_b64 s[2:3], s[2:3], s[6:7]
	s_and_saveexec_b64 s[6:7], s[2:3]
	s_cbranch_execnz .LBB83_13
.LBB83_10:
	s_endpgm
.LBB83_11:
                                        ; implicit-def: $vgpr1
	s_cbranch_execnz .LBB83_9
.LBB83_12:
	v_mov_b32_e32 v4, v1
	s_and_saveexec_b64 s[6:7], s[2:3]
	s_cbranch_execz .LBB83_10
.LBB83_13:
	s_load_dwordx8 s[8:15], s[4:5], 0x20
	v_ashrrev_i32_e32 v5, 31, v4
	v_lshlrev_b64 v[1:2], 3, v[4:5]
	v_and_b32_e32 v21, 31, v0
	s_load_dwordx2 s[6:7], s[4:5], 0x40
	s_waitcnt lgkmcnt(0)
	v_mov_b32_e32 v3, s9
	v_add_co_u32_e32 v5, vcc, s8, v1
	v_addc_co_u32_e32 v6, vcc, v3, v2, vcc
	v_add_co_u32_e32 v3, vcc, 8, v5
	global_load_dwordx2 v[9:10], v[5:6], off
	v_addc_co_u32_e32 v5, vcc, 0, v6, vcc
	v_mov_b32_e32 v6, s11
	v_add_co_u32_e32 v1, vcc, s10, v1
	s_cmp_eq_u64 s[10:11], 0
	v_addc_co_u32_e32 v2, vcc, v6, v2, vcc
	s_cselect_b64 vcc, -1, 0
	v_cndmask_b32_e32 v2, v2, v5, vcc
	v_cndmask_b32_e32 v1, v1, v3, vcc
	global_load_dwordx2 v[2:3], v[1:2], off
	v_mov_b32_e32 v8, s15
	s_cmp_eq_u32 s1, 1
	v_mov_b32_e32 v7, 0
	s_waitcnt vmcnt(1)
	v_subrev_co_u32_e32 v0, vcc, s20, v9
	v_subbrev_co_u32_e32 v1, vcc, 0, v10, vcc
	v_add_co_u32_e32 v0, vcc, v0, v21
	v_addc_co_u32_e32 v1, vcc, 0, v1, vcc
	v_lshlrev_b64 v[5:6], 4, v[0:1]
	s_waitcnt vmcnt(0)
	v_subrev_co_u32_e32 v2, vcc, s20, v2
	v_subbrev_co_u32_e32 v3, vcc, 0, v3, vcc
	v_cmp_lt_i64_e64 s[0:1], v[0:1], v[2:3]
	v_add_co_u32_e32 v5, vcc, s14, v5
	v_addc_co_u32_e32 v6, vcc, v8, v6, vcc
	s_cbranch_scc1 .LBB83_25
; %bb.14:
	v_mov_b32_e32 v22, 0
	v_mov_b32_e32 v23, 0
	;; [unrolled: 1-line block ×3, first 2 shown]
	s_and_saveexec_b64 s[8:9], s[0:1]
	s_cbranch_execz .LBB83_24
; %bb.15:
	v_or_b32_e32 v7, 32, v21
	v_subrev_co_u32_e32 v7, vcc, s20, v7
	v_subb_co_u32_e64 v8, s[2:3], 0, 0, vcc
	v_add_co_u32_e32 v7, vcc, v7, v9
	v_addc_co_u32_e32 v8, vcc, v8, v10, vcc
	v_cmp_gt_i64_e32 vcc, v[7:8], v[2:3]
	v_not_b32_e32 v12, v9
	v_cndmask_b32_e32 v8, v3, v8, vcc
	v_cndmask_b32_e32 v7, v2, v7, vcc
	v_sub_co_u32_e32 v13, vcc, s20, v21
	v_not_b32_e32 v11, v10
	v_subb_co_u32_e64 v14, s[2:3], 0, 0, vcc
	v_add_co_u32_e32 v12, vcc, v13, v12
	v_addc_co_u32_e32 v11, vcc, v14, v11, vcc
	v_add_co_u32_e32 v15, vcc, v12, v7
	v_addc_co_u32_e32 v16, vcc, v11, v8, vcc
	v_and_b32_e32 v7, 0x60, v15
	v_mov_b32_e32 v8, 0
	s_mov_b64 s[2:3], 0x60
	v_cmp_ne_u64_e32 vcc, s[2:3], v[7:8]
	v_mov_b32_e32 v12, v1
	v_mov_b32_e32 v14, v6
	;; [unrolled: 1-line block ×7, first 2 shown]
	s_and_saveexec_b64 s[10:11], vcc
	s_cbranch_execz .LBB83_19
; %bb.16:
	v_lshlrev_b64 v[11:12], 2, v[0:1]
	v_lshrrev_b32_e32 v7, 5, v15
	v_add_u32_e32 v7, 1, v7
	v_mov_b32_e32 v13, s13
	v_add_co_u32_e32 v17, vcc, s12, v11
	v_and_b32_e32 v8, 3, v7
	v_addc_co_u32_e32 v18, vcc, v13, v12, vcc
	v_sub_co_u32_e32 v19, vcc, 0, v8
	v_mov_b32_e32 v14, v6
	v_mov_b32_e32 v12, v1
	;; [unrolled: 1-line block ×3, first 2 shown]
	s_mov_b64 s[14:15], 0
	v_subb_co_u32_e64 v20, s[2:3], 0, 0, vcc
	s_movk_i32 s17, 0x200
	v_mov_b32_e32 v24, s7
	v_mov_b32_e32 v13, v5
	;; [unrolled: 1-line block ×6, first 2 shown]
.LBB83_17:                              ; =>This Inner Loop Header: Depth=1
	global_load_dword v29, v[17:18], off
	global_load_dwordx4 v[25:28], v[13:14], off
	s_waitcnt vmcnt(1)
	v_subrev_u32_e32 v29, s20, v29
	v_lshlrev_b32_e32 v29, 2, v29
	v_ashrrev_i32_e32 v30, 31, v29
	v_add_co_u32_e32 v29, vcc, s6, v29
	v_addc_co_u32_e32 v30, vcc, v24, v30, vcc
	global_load_dword v29, v[29:30], off
	v_add_co_u32_e32 v13, vcc, s17, v13
	s_waitcnt vmcnt(1)
	v_cvt_f32_i32_sdwa v30, sext(v25) dst_sel:DWORD dst_unused:UNUSED_PAD src0_sel:BYTE_0
	v_cvt_f32_i32_sdwa v33, sext(v26) dst_sel:DWORD dst_unused:UNUSED_PAD src0_sel:BYTE_0
	;; [unrolled: 1-line block ×4, first 2 shown]
	s_mov_b64 s[2:3], vcc
	v_add_co_u32_e32 v11, vcc, 32, v11
	v_cvt_f32_i32_sdwa v31, sext(v25) dst_sel:DWORD dst_unused:UNUSED_PAD src0_sel:BYTE_1
	v_cvt_f32_i32_sdwa v34, sext(v26) dst_sel:DWORD dst_unused:UNUSED_PAD src0_sel:BYTE_1
	;; [unrolled: 1-line block ×4, first 2 shown]
	v_addc_co_u32_e32 v12, vcc, 0, v12, vcc
	v_cvt_f32_i32_sdwa v32, sext(v25) dst_sel:DWORD dst_unused:UNUSED_PAD src0_sel:BYTE_2
	v_cvt_f32_i32_sdwa v35, sext(v26) dst_sel:DWORD dst_unused:UNUSED_PAD src0_sel:BYTE_2
	v_cvt_f32_i32_sdwa v38, sext(v27) dst_sel:DWORD dst_unused:UNUSED_PAD src0_sel:BYTE_2
	v_cvt_f32_i32_sdwa v41, sext(v28) dst_sel:DWORD dst_unused:UNUSED_PAD src0_sel:BYTE_2
	v_add_co_u32_e32 v19, vcc, 1, v19
	v_cvt_f32_i32_sdwa v25, sext(v25) dst_sel:DWORD dst_unused:UNUSED_PAD src0_sel:BYTE_3
	v_cvt_f32_i32_sdwa v26, sext(v26) dst_sel:DWORD dst_unused:UNUSED_PAD src0_sel:BYTE_3
	;; [unrolled: 1-line block ×4, first 2 shown]
	v_addc_co_u32_e32 v20, vcc, 0, v20, vcc
	v_addc_co_u32_e64 v14, s[2:3], 0, v14, s[2:3]
	v_cmp_eq_u64_e64 s[2:3], 0, v[19:20]
	v_add_co_u32_e32 v17, vcc, 0x80, v17
	v_addc_co_u32_e32 v18, vcc, 0, v18, vcc
	s_or_b64 s[14:15], s[2:3], s[14:15]
	s_waitcnt vmcnt(0)
	v_cvt_f32_i32_sdwa v42, sext(v29) dst_sel:DWORD dst_unused:UNUSED_PAD src0_sel:BYTE_0
	v_cvt_f32_i32_sdwa v43, sext(v29) dst_sel:DWORD dst_unused:UNUSED_PAD src0_sel:BYTE_1
	v_cvt_f32_i32_sdwa v44, sext(v29) dst_sel:DWORD dst_unused:UNUSED_PAD src0_sel:BYTE_2
	v_cvt_f32_i32_sdwa v29, sext(v29) dst_sel:DWORD dst_unused:UNUSED_PAD src0_sel:BYTE_3
	v_fmac_f32_e32 v8, v30, v42
	v_fmac_f32_e32 v23, v33, v42
	;; [unrolled: 1-line block ×16, first 2 shown]
	s_andn2_b64 exec, exec, s[14:15]
	s_cbranch_execnz .LBB83_17
; %bb.18:
	s_or_b64 exec, exec, s[14:15]
.LBB83_19:
	s_or_b64 exec, exec, s[10:11]
	s_mov_b64 s[2:3], 0x5f
	v_cmp_lt_u64_e32 vcc, s[2:3], v[15:16]
	s_and_saveexec_b64 s[2:3], vcc
	s_cbranch_execz .LBB83_23
; %bb.20:
	v_lshlrev_b64 v[15:16], 2, v[11:12]
	v_mov_b32_e32 v17, s13
	v_add_co_u32_e32 v15, vcc, s12, v15
	v_addc_co_u32_e32 v16, vcc, v17, v16, vcc
	v_add_co_u32_e32 v15, vcc, 0x100, v15
	v_addc_co_u32_e32 v16, vcc, 0, v16, vcc
	s_mov_b64 s[10:11], 0
	v_mov_b32_e32 v17, s7
	s_movk_i32 s14, 0x800
.LBB83_21:                              ; =>This Inner Loop Header: Depth=1
	global_load_dword v18, v[15:16], off offset:-256
	global_load_dwordx4 v[24:27], v[13:14], off
	s_waitcnt vmcnt(1)
	v_subrev_u32_e32 v18, s20, v18
	v_lshlrev_b32_e32 v18, 2, v18
	v_ashrrev_i32_e32 v19, 31, v18
	v_add_co_u32_e32 v18, vcc, s6, v18
	v_addc_co_u32_e32 v19, vcc, v17, v19, vcc
	global_load_dword v18, v[18:19], off
	s_waitcnt vmcnt(1)
	v_cvt_f32_i32_sdwa v20, sext(v24) dst_sel:DWORD dst_unused:UNUSED_PAD src0_sel:BYTE_0
	s_waitcnt vmcnt(0)
	v_cvt_f32_i32_sdwa v19, sext(v18) dst_sel:DWORD dst_unused:UNUSED_PAD src0_sel:BYTE_0
	v_cvt_f32_i32_sdwa v28, sext(v18) dst_sel:DWORD dst_unused:UNUSED_PAD src0_sel:BYTE_1
	v_cvt_f32_i32_sdwa v29, sext(v18) dst_sel:DWORD dst_unused:UNUSED_PAD src0_sel:BYTE_2
	v_cvt_f32_i32_sdwa v18, sext(v18) dst_sel:DWORD dst_unused:UNUSED_PAD src0_sel:BYTE_3
	v_fmac_f32_e32 v8, v20, v19
	v_cvt_f32_i32_sdwa v20, sext(v24) dst_sel:DWORD dst_unused:UNUSED_PAD src0_sel:BYTE_1
	v_fmac_f32_e32 v8, v20, v28
	v_cvt_f32_i32_sdwa v20, sext(v24) dst_sel:DWORD dst_unused:UNUSED_PAD src0_sel:BYTE_2
	v_fmac_f32_e32 v8, v20, v29
	v_cvt_f32_i32_sdwa v20, sext(v24) dst_sel:DWORD dst_unused:UNUSED_PAD src0_sel:BYTE_3
	v_fmac_f32_e32 v8, v20, v18
	v_cvt_f32_i32_sdwa v20, sext(v25) dst_sel:DWORD dst_unused:UNUSED_PAD src0_sel:BYTE_0
	v_fmac_f32_e32 v23, v20, v19
	v_cvt_f32_i32_sdwa v20, sext(v25) dst_sel:DWORD dst_unused:UNUSED_PAD src0_sel:BYTE_1
	v_fmac_f32_e32 v23, v20, v28
	v_cvt_f32_i32_sdwa v20, sext(v25) dst_sel:DWORD dst_unused:UNUSED_PAD src0_sel:BYTE_2
	v_fmac_f32_e32 v23, v20, v29
	v_cvt_f32_i32_sdwa v20, sext(v25) dst_sel:DWORD dst_unused:UNUSED_PAD src0_sel:BYTE_3
	v_fmac_f32_e32 v23, v20, v18
	v_cvt_f32_i32_sdwa v20, sext(v26) dst_sel:DWORD dst_unused:UNUSED_PAD src0_sel:BYTE_0
	;; [unrolled: 8-line block ×3, first 2 shown]
	v_fmac_f32_e32 v7, v20, v19
	v_cvt_f32_i32_sdwa v19, sext(v27) dst_sel:DWORD dst_unused:UNUSED_PAD src0_sel:BYTE_1
	v_fmac_f32_e32 v7, v19, v28
	v_cvt_f32_i32_sdwa v19, sext(v27) dst_sel:DWORD dst_unused:UNUSED_PAD src0_sel:BYTE_2
	v_fmac_f32_e32 v7, v19, v29
	v_cvt_f32_i32_sdwa v19, sext(v27) dst_sel:DWORD dst_unused:UNUSED_PAD src0_sel:BYTE_3
	global_load_dwordx4 v[24:27], v[13:14], off offset:512
	v_fmac_f32_e32 v7, v19, v18
	global_load_dword v18, v[15:16], off offset:-128
	s_waitcnt vmcnt(1)
	v_cvt_f32_i32_sdwa v20, sext(v24) dst_sel:DWORD dst_unused:UNUSED_PAD src0_sel:BYTE_0
	s_waitcnt vmcnt(0)
	v_subrev_u32_e32 v18, s20, v18
	v_lshlrev_b32_e32 v18, 2, v18
	v_ashrrev_i32_e32 v19, 31, v18
	v_add_co_u32_e32 v18, vcc, s6, v18
	v_addc_co_u32_e32 v19, vcc, v17, v19, vcc
	global_load_dword v18, v[18:19], off
	s_waitcnt vmcnt(0)
	v_cvt_f32_i32_sdwa v19, sext(v18) dst_sel:DWORD dst_unused:UNUSED_PAD src0_sel:BYTE_0
	v_cvt_f32_i32_sdwa v28, sext(v18) dst_sel:DWORD dst_unused:UNUSED_PAD src0_sel:BYTE_1
	v_cvt_f32_i32_sdwa v29, sext(v18) dst_sel:DWORD dst_unused:UNUSED_PAD src0_sel:BYTE_2
	v_cvt_f32_i32_sdwa v18, sext(v18) dst_sel:DWORD dst_unused:UNUSED_PAD src0_sel:BYTE_3
	v_fmac_f32_e32 v8, v20, v19
	v_cvt_f32_i32_sdwa v20, sext(v24) dst_sel:DWORD dst_unused:UNUSED_PAD src0_sel:BYTE_1
	v_fmac_f32_e32 v8, v20, v28
	v_cvt_f32_i32_sdwa v20, sext(v24) dst_sel:DWORD dst_unused:UNUSED_PAD src0_sel:BYTE_2
	v_fmac_f32_e32 v8, v20, v29
	v_cvt_f32_i32_sdwa v20, sext(v24) dst_sel:DWORD dst_unused:UNUSED_PAD src0_sel:BYTE_3
	v_fmac_f32_e32 v8, v20, v18
	v_cvt_f32_i32_sdwa v20, sext(v25) dst_sel:DWORD dst_unused:UNUSED_PAD src0_sel:BYTE_0
	v_fmac_f32_e32 v23, v20, v19
	v_cvt_f32_i32_sdwa v20, sext(v25) dst_sel:DWORD dst_unused:UNUSED_PAD src0_sel:BYTE_1
	v_fmac_f32_e32 v23, v20, v28
	v_cvt_f32_i32_sdwa v20, sext(v25) dst_sel:DWORD dst_unused:UNUSED_PAD src0_sel:BYTE_2
	v_fmac_f32_e32 v23, v20, v29
	v_cvt_f32_i32_sdwa v20, sext(v25) dst_sel:DWORD dst_unused:UNUSED_PAD src0_sel:BYTE_3
	v_fmac_f32_e32 v23, v20, v18
	v_cvt_f32_i32_sdwa v20, sext(v26) dst_sel:DWORD dst_unused:UNUSED_PAD src0_sel:BYTE_0
	;; [unrolled: 8-line block ×3, first 2 shown]
	v_fmac_f32_e32 v7, v20, v19
	v_cvt_f32_i32_sdwa v19, sext(v27) dst_sel:DWORD dst_unused:UNUSED_PAD src0_sel:BYTE_1
	v_fmac_f32_e32 v7, v19, v28
	v_cvt_f32_i32_sdwa v19, sext(v27) dst_sel:DWORD dst_unused:UNUSED_PAD src0_sel:BYTE_2
	v_fmac_f32_e32 v7, v19, v29
	v_cvt_f32_i32_sdwa v19, sext(v27) dst_sel:DWORD dst_unused:UNUSED_PAD src0_sel:BYTE_3
	global_load_dwordx4 v[24:27], v[13:14], off offset:1024
	v_fmac_f32_e32 v7, v19, v18
	global_load_dword v18, v[15:16], off
	s_waitcnt vmcnt(1)
	v_cvt_f32_i32_sdwa v20, sext(v24) dst_sel:DWORD dst_unused:UNUSED_PAD src0_sel:BYTE_0
	s_waitcnt vmcnt(0)
	v_subrev_u32_e32 v18, s20, v18
	v_lshlrev_b32_e32 v18, 2, v18
	v_ashrrev_i32_e32 v19, 31, v18
	v_add_co_u32_e32 v18, vcc, s6, v18
	v_addc_co_u32_e32 v19, vcc, v17, v19, vcc
	global_load_dword v18, v[18:19], off
	s_waitcnt vmcnt(0)
	v_cvt_f32_i32_sdwa v19, sext(v18) dst_sel:DWORD dst_unused:UNUSED_PAD src0_sel:BYTE_0
	v_cvt_f32_i32_sdwa v28, sext(v18) dst_sel:DWORD dst_unused:UNUSED_PAD src0_sel:BYTE_1
	v_cvt_f32_i32_sdwa v29, sext(v18) dst_sel:DWORD dst_unused:UNUSED_PAD src0_sel:BYTE_2
	v_cvt_f32_i32_sdwa v18, sext(v18) dst_sel:DWORD dst_unused:UNUSED_PAD src0_sel:BYTE_3
	v_fmac_f32_e32 v8, v20, v19
	v_cvt_f32_i32_sdwa v20, sext(v24) dst_sel:DWORD dst_unused:UNUSED_PAD src0_sel:BYTE_1
	v_fmac_f32_e32 v8, v20, v28
	v_cvt_f32_i32_sdwa v20, sext(v24) dst_sel:DWORD dst_unused:UNUSED_PAD src0_sel:BYTE_2
	v_fmac_f32_e32 v8, v20, v29
	v_cvt_f32_i32_sdwa v20, sext(v24) dst_sel:DWORD dst_unused:UNUSED_PAD src0_sel:BYTE_3
	v_fmac_f32_e32 v8, v20, v18
	v_cvt_f32_i32_sdwa v20, sext(v25) dst_sel:DWORD dst_unused:UNUSED_PAD src0_sel:BYTE_0
	v_fmac_f32_e32 v23, v20, v19
	v_cvt_f32_i32_sdwa v20, sext(v25) dst_sel:DWORD dst_unused:UNUSED_PAD src0_sel:BYTE_1
	v_fmac_f32_e32 v23, v20, v28
	v_cvt_f32_i32_sdwa v20, sext(v25) dst_sel:DWORD dst_unused:UNUSED_PAD src0_sel:BYTE_2
	v_fmac_f32_e32 v23, v20, v29
	v_cvt_f32_i32_sdwa v20, sext(v25) dst_sel:DWORD dst_unused:UNUSED_PAD src0_sel:BYTE_3
	v_fmac_f32_e32 v23, v20, v18
	v_cvt_f32_i32_sdwa v20, sext(v26) dst_sel:DWORD dst_unused:UNUSED_PAD src0_sel:BYTE_0
	;; [unrolled: 8-line block ×3, first 2 shown]
	v_fmac_f32_e32 v7, v20, v19
	v_cvt_f32_i32_sdwa v19, sext(v27) dst_sel:DWORD dst_unused:UNUSED_PAD src0_sel:BYTE_1
	v_fmac_f32_e32 v7, v19, v28
	v_cvt_f32_i32_sdwa v19, sext(v27) dst_sel:DWORD dst_unused:UNUSED_PAD src0_sel:BYTE_2
	v_fmac_f32_e32 v7, v19, v29
	v_cvt_f32_i32_sdwa v19, sext(v27) dst_sel:DWORD dst_unused:UNUSED_PAD src0_sel:BYTE_3
	global_load_dwordx4 v[24:27], v[13:14], off offset:1536
	v_fmac_f32_e32 v7, v19, v18
	global_load_dword v18, v[15:16], off offset:128
	s_waitcnt vmcnt(1)
	v_cvt_f32_i32_sdwa v20, sext(v24) dst_sel:DWORD dst_unused:UNUSED_PAD src0_sel:BYTE_0
	s_waitcnt vmcnt(0)
	v_subrev_u32_e32 v18, s20, v18
	v_lshlrev_b32_e32 v18, 2, v18
	v_ashrrev_i32_e32 v19, 31, v18
	v_add_co_u32_e32 v18, vcc, s6, v18
	v_addc_co_u32_e32 v19, vcc, v17, v19, vcc
	global_load_dword v18, v[18:19], off
	v_add_co_u32_e32 v13, vcc, s14, v13
	v_addc_co_u32_e32 v14, vcc, 0, v14, vcc
	v_add_co_u32_e32 v11, vcc, 0x80, v11
	v_addc_co_u32_e32 v12, vcc, 0, v12, vcc
	;; [unrolled: 2-line block ×3, first 2 shown]
	v_cmp_ge_i64_e32 vcc, v[11:12], v[2:3]
	s_or_b64 s[10:11], vcc, s[10:11]
	s_waitcnt vmcnt(0)
	v_cvt_f32_i32_sdwa v19, sext(v18) dst_sel:DWORD dst_unused:UNUSED_PAD src0_sel:BYTE_0
	v_cvt_f32_i32_sdwa v28, sext(v18) dst_sel:DWORD dst_unused:UNUSED_PAD src0_sel:BYTE_1
	v_cvt_f32_i32_sdwa v29, sext(v18) dst_sel:DWORD dst_unused:UNUSED_PAD src0_sel:BYTE_2
	v_cvt_f32_i32_sdwa v18, sext(v18) dst_sel:DWORD dst_unused:UNUSED_PAD src0_sel:BYTE_3
	v_fmac_f32_e32 v8, v20, v19
	v_cvt_f32_i32_sdwa v20, sext(v24) dst_sel:DWORD dst_unused:UNUSED_PAD src0_sel:BYTE_1
	v_fmac_f32_e32 v8, v20, v28
	v_cvt_f32_i32_sdwa v20, sext(v24) dst_sel:DWORD dst_unused:UNUSED_PAD src0_sel:BYTE_2
	v_fmac_f32_e32 v8, v20, v29
	v_cvt_f32_i32_sdwa v20, sext(v24) dst_sel:DWORD dst_unused:UNUSED_PAD src0_sel:BYTE_3
	v_fmac_f32_e32 v8, v20, v18
	v_cvt_f32_i32_sdwa v20, sext(v25) dst_sel:DWORD dst_unused:UNUSED_PAD src0_sel:BYTE_0
	v_fmac_f32_e32 v23, v20, v19
	v_cvt_f32_i32_sdwa v20, sext(v25) dst_sel:DWORD dst_unused:UNUSED_PAD src0_sel:BYTE_1
	v_fmac_f32_e32 v23, v20, v28
	v_cvt_f32_i32_sdwa v20, sext(v25) dst_sel:DWORD dst_unused:UNUSED_PAD src0_sel:BYTE_2
	v_fmac_f32_e32 v23, v20, v29
	v_cvt_f32_i32_sdwa v20, sext(v25) dst_sel:DWORD dst_unused:UNUSED_PAD src0_sel:BYTE_3
	v_fmac_f32_e32 v23, v20, v18
	v_cvt_f32_i32_sdwa v20, sext(v26) dst_sel:DWORD dst_unused:UNUSED_PAD src0_sel:BYTE_0
	;; [unrolled: 8-line block ×3, first 2 shown]
	v_fmac_f32_e32 v7, v20, v19
	v_cvt_f32_i32_sdwa v19, sext(v27) dst_sel:DWORD dst_unused:UNUSED_PAD src0_sel:BYTE_1
	v_fmac_f32_e32 v7, v19, v28
	v_cvt_f32_i32_sdwa v19, sext(v27) dst_sel:DWORD dst_unused:UNUSED_PAD src0_sel:BYTE_2
	v_fmac_f32_e32 v7, v19, v29
	v_cvt_f32_i32_sdwa v19, sext(v27) dst_sel:DWORD dst_unused:UNUSED_PAD src0_sel:BYTE_3
	v_fmac_f32_e32 v7, v19, v18
	s_andn2_b64 exec, exec, s[10:11]
	s_cbranch_execnz .LBB83_21
; %bb.22:
	s_or_b64 exec, exec, s[10:11]
.LBB83_23:
	s_or_b64 exec, exec, s[2:3]
.LBB83_24:
	s_or_b64 exec, exec, s[8:9]
	s_cbranch_execz .LBB83_26
	s_branch .LBB83_37
.LBB83_25:
                                        ; implicit-def: $vgpr7
                                        ; implicit-def: $vgpr22
                                        ; implicit-def: $vgpr23
                                        ; implicit-def: $vgpr8
.LBB83_26:
	v_mov_b32_e32 v7, 0
	v_mov_b32_e32 v22, 0
	;; [unrolled: 1-line block ×4, first 2 shown]
	s_and_saveexec_b64 s[2:3], s[0:1]
	s_cbranch_execz .LBB83_36
; %bb.27:
	v_or_b32_e32 v7, 32, v21
	v_subrev_co_u32_e32 v7, vcc, s20, v7
	v_subb_co_u32_e64 v8, s[0:1], 0, 0, vcc
	v_add_co_u32_e32 v7, vcc, v7, v9
	v_addc_co_u32_e32 v8, vcc, v8, v10, vcc
	v_cmp_gt_i64_e32 vcc, v[7:8], v[2:3]
	v_not_b32_e32 v9, v9
	v_cndmask_b32_e32 v8, v3, v8, vcc
	v_cndmask_b32_e32 v7, v2, v7, vcc
	v_sub_co_u32_e32 v11, vcc, s20, v21
	v_not_b32_e32 v10, v10
	v_subb_co_u32_e64 v12, s[0:1], 0, 0, vcc
	v_add_co_u32_e32 v9, vcc, v11, v9
	v_addc_co_u32_e32 v10, vcc, v12, v10, vcc
	v_add_co_u32_e32 v9, vcc, v9, v7
	v_addc_co_u32_e32 v10, vcc, v10, v8, vcc
	v_and_b32_e32 v7, 0x60, v9
	v_mov_b32_e32 v8, 0
	s_mov_b64 s[0:1], 0x60
	v_cmp_ne_u64_e32 vcc, s[0:1], v[7:8]
	v_mov_b32_e32 v23, v8
	v_mov_b32_e32 v22, v8
	;; [unrolled: 1-line block ×3, first 2 shown]
	s_and_saveexec_b64 s[8:9], vcc
	s_cbranch_execz .LBB83_31
; %bb.28:
	v_lshlrev_b64 v[11:12], 2, v[0:1]
	v_lshrrev_b32_e32 v7, 5, v9
	v_add_u32_e32 v7, 1, v7
	v_mov_b32_e32 v13, s13
	v_add_co_u32_e32 v11, vcc, s12, v11
	v_and_b32_e32 v8, 3, v7
	v_addc_co_u32_e32 v12, vcc, v13, v12, vcc
	v_sub_co_u32_e32 v13, vcc, 0, v8
	v_mov_b32_e32 v7, 0
	s_mov_b64 s[10:11], 0
	v_subb_co_u32_e64 v14, s[0:1], 0, 0, vcc
	s_movk_i32 s14, 0x200
	v_mov_b32_e32 v15, s7
	v_mov_b32_e32 v22, 0
	;; [unrolled: 1-line block ×4, first 2 shown]
.LBB83_29:                              ; =>This Inner Loop Header: Depth=1
	global_load_dword v20, v[11:12], off
	global_load_dwordx4 v[16:19], v[5:6], off
	v_add_co_u32_e64 v0, s[0:1], 32, v0
	v_addc_co_u32_e64 v1, s[0:1], 0, v1, s[0:1]
	v_add_co_u32_e64 v13, s[0:1], 1, v13
	v_addc_co_u32_e64 v14, s[0:1], 0, v14, s[0:1]
	v_cmp_eq_u64_e64 s[0:1], 0, v[13:14]
	s_or_b64 s[10:11], s[0:1], s[10:11]
	s_waitcnt vmcnt(1)
	v_subrev_u32_e32 v20, s20, v20
	v_lshlrev_b32_e32 v20, 2, v20
	v_ashrrev_i32_e32 v25, 31, v20
	v_add_co_u32_e32 v24, vcc, s6, v20
	v_addc_co_u32_e32 v25, vcc, v15, v25, vcc
	global_load_dword v20, v[24:25], off
	s_waitcnt vmcnt(1)
	v_cvt_f32_i32_sdwa v24, sext(v16) dst_sel:DWORD dst_unused:UNUSED_PAD src0_sel:BYTE_0
	v_cvt_f32_i32_sdwa v25, sext(v16) dst_sel:DWORD dst_unused:UNUSED_PAD src0_sel:BYTE_1
	v_cvt_f32_i32_sdwa v26, sext(v16) dst_sel:DWORD dst_unused:UNUSED_PAD src0_sel:BYTE_2
	v_cvt_f32_i32_sdwa v16, sext(v16) dst_sel:DWORD dst_unused:UNUSED_PAD src0_sel:BYTE_3
	v_cvt_f32_i32_sdwa v27, sext(v17) dst_sel:DWORD dst_unused:UNUSED_PAD src0_sel:BYTE_0
	v_cvt_f32_i32_sdwa v28, sext(v17) dst_sel:DWORD dst_unused:UNUSED_PAD src0_sel:BYTE_1
	v_cvt_f32_i32_sdwa v29, sext(v17) dst_sel:DWORD dst_unused:UNUSED_PAD src0_sel:BYTE_2
	v_cvt_f32_i32_sdwa v17, sext(v17) dst_sel:DWORD dst_unused:UNUSED_PAD src0_sel:BYTE_3
	;; [unrolled: 4-line block ×4, first 2 shown]
	v_add_co_u32_e32 v5, vcc, s14, v5
	v_addc_co_u32_e32 v6, vcc, 0, v6, vcc
	v_add_co_u32_e32 v11, vcc, 0x80, v11
	v_addc_co_u32_e32 v12, vcc, 0, v12, vcc
	s_waitcnt vmcnt(0)
	v_cvt_f32_i32_sdwa v36, sext(v20) dst_sel:DWORD dst_unused:UNUSED_PAD src0_sel:BYTE_0
	v_cvt_f32_i32_sdwa v37, sext(v20) dst_sel:DWORD dst_unused:UNUSED_PAD src0_sel:BYTE_1
	v_cvt_f32_i32_sdwa v38, sext(v20) dst_sel:DWORD dst_unused:UNUSED_PAD src0_sel:BYTE_2
	v_cvt_f32_i32_sdwa v20, sext(v20) dst_sel:DWORD dst_unused:UNUSED_PAD src0_sel:BYTE_3
	v_fmac_f32_e32 v8, v24, v36
	v_fmac_f32_e32 v23, v25, v36
	;; [unrolled: 1-line block ×16, first 2 shown]
	s_andn2_b64 exec, exec, s[10:11]
	s_cbranch_execnz .LBB83_29
; %bb.30:
	s_or_b64 exec, exec, s[10:11]
.LBB83_31:
	s_or_b64 exec, exec, s[8:9]
	s_mov_b64 s[0:1], 0x5f
	v_cmp_lt_u64_e32 vcc, s[0:1], v[9:10]
	s_and_saveexec_b64 s[0:1], vcc
	s_cbranch_execz .LBB83_35
; %bb.32:
	v_lshlrev_b64 v[9:10], 2, v[0:1]
	v_mov_b32_e32 v11, s13
	v_add_co_u32_e32 v9, vcc, s12, v9
	v_addc_co_u32_e32 v10, vcc, v11, v10, vcc
	v_add_co_u32_e32 v9, vcc, 0x100, v9
	v_addc_co_u32_e32 v10, vcc, 0, v10, vcc
	s_mov_b64 s[8:9], 0
	v_mov_b32_e32 v11, s7
	s_movk_i32 s7, 0x800
.LBB83_33:                              ; =>This Inner Loop Header: Depth=1
	global_load_dword v12, v[9:10], off offset:-256
	s_waitcnt vmcnt(0)
	v_subrev_u32_e32 v12, s20, v12
	v_lshlrev_b32_e32 v16, 2, v12
	v_ashrrev_i32_e32 v17, 31, v16
	v_add_co_u32_e32 v16, vcc, s6, v16
	v_addc_co_u32_e32 v17, vcc, v11, v17, vcc
	global_load_dwordx4 v[12:15], v[5:6], off
	s_waitcnt vmcnt(0)
	v_cvt_f32_i32_sdwa v18, sext(v12) dst_sel:DWORD dst_unused:UNUSED_PAD src0_sel:BYTE_0
	global_load_dword v16, v[16:17], off
	s_waitcnt vmcnt(0)
	v_cvt_f32_i32_sdwa v17, sext(v16) dst_sel:DWORD dst_unused:UNUSED_PAD src0_sel:BYTE_0
	v_fmac_f32_e32 v8, v18, v17
	v_cvt_f32_i32_sdwa v18, sext(v12) dst_sel:DWORD dst_unused:UNUSED_PAD src0_sel:BYTE_1
	v_fmac_f32_e32 v23, v18, v17
	v_cvt_f32_i32_sdwa v18, sext(v12) dst_sel:DWORD dst_unused:UNUSED_PAD src0_sel:BYTE_2
	v_cvt_f32_i32_sdwa v12, sext(v12) dst_sel:DWORD dst_unused:UNUSED_PAD src0_sel:BYTE_3
	v_fmac_f32_e32 v22, v18, v17
	v_fmac_f32_e32 v7, v12, v17
	v_cvt_f32_i32_sdwa v12, sext(v13) dst_sel:DWORD dst_unused:UNUSED_PAD src0_sel:BYTE_0
	v_cvt_f32_i32_sdwa v17, sext(v16) dst_sel:DWORD dst_unused:UNUSED_PAD src0_sel:BYTE_1
	v_fmac_f32_e32 v8, v12, v17
	v_cvt_f32_i32_sdwa v12, sext(v13) dst_sel:DWORD dst_unused:UNUSED_PAD src0_sel:BYTE_1
	v_fmac_f32_e32 v23, v12, v17
	v_cvt_f32_i32_sdwa v12, sext(v13) dst_sel:DWORD dst_unused:UNUSED_PAD src0_sel:BYTE_2
	v_fmac_f32_e32 v22, v12, v17
	v_cvt_f32_i32_sdwa v12, sext(v13) dst_sel:DWORD dst_unused:UNUSED_PAD src0_sel:BYTE_3
	v_cvt_f32_i32_sdwa v13, sext(v16) dst_sel:DWORD dst_unused:UNUSED_PAD src0_sel:BYTE_2
	v_fmac_f32_e32 v7, v12, v17
	v_cvt_f32_i32_sdwa v12, sext(v14) dst_sel:DWORD dst_unused:UNUSED_PAD src0_sel:BYTE_0
	v_fmac_f32_e32 v8, v12, v13
	v_cvt_f32_i32_sdwa v12, sext(v14) dst_sel:DWORD dst_unused:UNUSED_PAD src0_sel:BYTE_1
	v_fmac_f32_e32 v23, v12, v13
	v_cvt_f32_i32_sdwa v12, sext(v14) dst_sel:DWORD dst_unused:UNUSED_PAD src0_sel:BYTE_2
	v_fmac_f32_e32 v22, v12, v13
	v_cvt_f32_i32_sdwa v12, sext(v14) dst_sel:DWORD dst_unused:UNUSED_PAD src0_sel:BYTE_3
	v_fmac_f32_e32 v7, v12, v13
	v_cvt_f32_i32_sdwa v12, sext(v15) dst_sel:DWORD dst_unused:UNUSED_PAD src0_sel:BYTE_0
	v_cvt_f32_i32_sdwa v13, sext(v16) dst_sel:DWORD dst_unused:UNUSED_PAD src0_sel:BYTE_3
	v_fmac_f32_e32 v8, v12, v13
	v_cvt_f32_i32_sdwa v12, sext(v15) dst_sel:DWORD dst_unused:UNUSED_PAD src0_sel:BYTE_1
	v_fmac_f32_e32 v23, v12, v13
	v_cvt_f32_i32_sdwa v12, sext(v15) dst_sel:DWORD dst_unused:UNUSED_PAD src0_sel:BYTE_2
	v_fmac_f32_e32 v22, v12, v13
	v_cvt_f32_i32_sdwa v12, sext(v15) dst_sel:DWORD dst_unused:UNUSED_PAD src0_sel:BYTE_3
	v_fmac_f32_e32 v7, v12, v13
	global_load_dword v12, v[9:10], off offset:-128
	s_waitcnt vmcnt(0)
	v_subrev_u32_e32 v12, s20, v12
	v_lshlrev_b32_e32 v16, 2, v12
	v_ashrrev_i32_e32 v17, 31, v16
	v_add_co_u32_e32 v16, vcc, s6, v16
	v_addc_co_u32_e32 v17, vcc, v11, v17, vcc
	global_load_dwordx4 v[12:15], v[5:6], off offset:512
	s_waitcnt vmcnt(0)
	v_cvt_f32_i32_sdwa v18, sext(v12) dst_sel:DWORD dst_unused:UNUSED_PAD src0_sel:BYTE_0
	global_load_dword v16, v[16:17], off
	s_waitcnt vmcnt(0)
	v_cvt_f32_i32_sdwa v17, sext(v16) dst_sel:DWORD dst_unused:UNUSED_PAD src0_sel:BYTE_0
	v_fmac_f32_e32 v8, v18, v17
	v_cvt_f32_i32_sdwa v18, sext(v12) dst_sel:DWORD dst_unused:UNUSED_PAD src0_sel:BYTE_1
	v_fmac_f32_e32 v23, v18, v17
	v_cvt_f32_i32_sdwa v18, sext(v12) dst_sel:DWORD dst_unused:UNUSED_PAD src0_sel:BYTE_2
	v_cvt_f32_i32_sdwa v12, sext(v12) dst_sel:DWORD dst_unused:UNUSED_PAD src0_sel:BYTE_3
	v_fmac_f32_e32 v22, v18, v17
	v_fmac_f32_e32 v7, v12, v17
	v_cvt_f32_i32_sdwa v12, sext(v13) dst_sel:DWORD dst_unused:UNUSED_PAD src0_sel:BYTE_0
	v_cvt_f32_i32_sdwa v17, sext(v16) dst_sel:DWORD dst_unused:UNUSED_PAD src0_sel:BYTE_1
	v_fmac_f32_e32 v8, v12, v17
	v_cvt_f32_i32_sdwa v12, sext(v13) dst_sel:DWORD dst_unused:UNUSED_PAD src0_sel:BYTE_1
	v_fmac_f32_e32 v23, v12, v17
	v_cvt_f32_i32_sdwa v12, sext(v13) dst_sel:DWORD dst_unused:UNUSED_PAD src0_sel:BYTE_2
	v_fmac_f32_e32 v22, v12, v17
	v_cvt_f32_i32_sdwa v12, sext(v13) dst_sel:DWORD dst_unused:UNUSED_PAD src0_sel:BYTE_3
	v_cvt_f32_i32_sdwa v13, sext(v16) dst_sel:DWORD dst_unused:UNUSED_PAD src0_sel:BYTE_2
	v_fmac_f32_e32 v7, v12, v17
	v_cvt_f32_i32_sdwa v12, sext(v14) dst_sel:DWORD dst_unused:UNUSED_PAD src0_sel:BYTE_0
	v_fmac_f32_e32 v8, v12, v13
	v_cvt_f32_i32_sdwa v12, sext(v14) dst_sel:DWORD dst_unused:UNUSED_PAD src0_sel:BYTE_1
	v_fmac_f32_e32 v23, v12, v13
	v_cvt_f32_i32_sdwa v12, sext(v14) dst_sel:DWORD dst_unused:UNUSED_PAD src0_sel:BYTE_2
	v_fmac_f32_e32 v22, v12, v13
	v_cvt_f32_i32_sdwa v12, sext(v14) dst_sel:DWORD dst_unused:UNUSED_PAD src0_sel:BYTE_3
	v_fmac_f32_e32 v7, v12, v13
	v_cvt_f32_i32_sdwa v12, sext(v15) dst_sel:DWORD dst_unused:UNUSED_PAD src0_sel:BYTE_0
	v_cvt_f32_i32_sdwa v13, sext(v16) dst_sel:DWORD dst_unused:UNUSED_PAD src0_sel:BYTE_3
	v_fmac_f32_e32 v8, v12, v13
	v_cvt_f32_i32_sdwa v12, sext(v15) dst_sel:DWORD dst_unused:UNUSED_PAD src0_sel:BYTE_1
	v_fmac_f32_e32 v23, v12, v13
	v_cvt_f32_i32_sdwa v12, sext(v15) dst_sel:DWORD dst_unused:UNUSED_PAD src0_sel:BYTE_2
	v_fmac_f32_e32 v22, v12, v13
	v_cvt_f32_i32_sdwa v12, sext(v15) dst_sel:DWORD dst_unused:UNUSED_PAD src0_sel:BYTE_3
	v_fmac_f32_e32 v7, v12, v13
	global_load_dword v12, v[9:10], off
	s_waitcnt vmcnt(0)
	v_subrev_u32_e32 v12, s20, v12
	v_lshlrev_b32_e32 v16, 2, v12
	v_ashrrev_i32_e32 v17, 31, v16
	v_add_co_u32_e32 v16, vcc, s6, v16
	v_addc_co_u32_e32 v17, vcc, v11, v17, vcc
	global_load_dwordx4 v[12:15], v[5:6], off offset:1024
	s_waitcnt vmcnt(0)
	v_cvt_f32_i32_sdwa v18, sext(v12) dst_sel:DWORD dst_unused:UNUSED_PAD src0_sel:BYTE_0
	global_load_dword v16, v[16:17], off
	s_waitcnt vmcnt(0)
	v_cvt_f32_i32_sdwa v17, sext(v16) dst_sel:DWORD dst_unused:UNUSED_PAD src0_sel:BYTE_0
	v_fmac_f32_e32 v8, v18, v17
	v_cvt_f32_i32_sdwa v18, sext(v12) dst_sel:DWORD dst_unused:UNUSED_PAD src0_sel:BYTE_1
	v_fmac_f32_e32 v23, v18, v17
	v_cvt_f32_i32_sdwa v18, sext(v12) dst_sel:DWORD dst_unused:UNUSED_PAD src0_sel:BYTE_2
	v_cvt_f32_i32_sdwa v12, sext(v12) dst_sel:DWORD dst_unused:UNUSED_PAD src0_sel:BYTE_3
	v_fmac_f32_e32 v22, v18, v17
	v_fmac_f32_e32 v7, v12, v17
	v_cvt_f32_i32_sdwa v12, sext(v13) dst_sel:DWORD dst_unused:UNUSED_PAD src0_sel:BYTE_0
	v_cvt_f32_i32_sdwa v17, sext(v16) dst_sel:DWORD dst_unused:UNUSED_PAD src0_sel:BYTE_1
	v_fmac_f32_e32 v8, v12, v17
	v_cvt_f32_i32_sdwa v12, sext(v13) dst_sel:DWORD dst_unused:UNUSED_PAD src0_sel:BYTE_1
	v_fmac_f32_e32 v23, v12, v17
	v_cvt_f32_i32_sdwa v12, sext(v13) dst_sel:DWORD dst_unused:UNUSED_PAD src0_sel:BYTE_2
	v_fmac_f32_e32 v22, v12, v17
	v_cvt_f32_i32_sdwa v12, sext(v13) dst_sel:DWORD dst_unused:UNUSED_PAD src0_sel:BYTE_3
	v_cvt_f32_i32_sdwa v13, sext(v16) dst_sel:DWORD dst_unused:UNUSED_PAD src0_sel:BYTE_2
	v_fmac_f32_e32 v7, v12, v17
	v_cvt_f32_i32_sdwa v12, sext(v14) dst_sel:DWORD dst_unused:UNUSED_PAD src0_sel:BYTE_0
	v_fmac_f32_e32 v8, v12, v13
	v_cvt_f32_i32_sdwa v12, sext(v14) dst_sel:DWORD dst_unused:UNUSED_PAD src0_sel:BYTE_1
	v_fmac_f32_e32 v23, v12, v13
	v_cvt_f32_i32_sdwa v12, sext(v14) dst_sel:DWORD dst_unused:UNUSED_PAD src0_sel:BYTE_2
	v_fmac_f32_e32 v22, v12, v13
	v_cvt_f32_i32_sdwa v12, sext(v14) dst_sel:DWORD dst_unused:UNUSED_PAD src0_sel:BYTE_3
	v_fmac_f32_e32 v7, v12, v13
	v_cvt_f32_i32_sdwa v12, sext(v15) dst_sel:DWORD dst_unused:UNUSED_PAD src0_sel:BYTE_0
	v_cvt_f32_i32_sdwa v13, sext(v16) dst_sel:DWORD dst_unused:UNUSED_PAD src0_sel:BYTE_3
	v_fmac_f32_e32 v8, v12, v13
	v_cvt_f32_i32_sdwa v12, sext(v15) dst_sel:DWORD dst_unused:UNUSED_PAD src0_sel:BYTE_1
	v_fmac_f32_e32 v23, v12, v13
	v_cvt_f32_i32_sdwa v12, sext(v15) dst_sel:DWORD dst_unused:UNUSED_PAD src0_sel:BYTE_2
	v_fmac_f32_e32 v22, v12, v13
	v_cvt_f32_i32_sdwa v12, sext(v15) dst_sel:DWORD dst_unused:UNUSED_PAD src0_sel:BYTE_3
	v_fmac_f32_e32 v7, v12, v13
	global_load_dword v12, v[9:10], off offset:128
	s_waitcnt vmcnt(0)
	v_subrev_u32_e32 v12, s20, v12
	v_lshlrev_b32_e32 v16, 2, v12
	v_ashrrev_i32_e32 v17, 31, v16
	v_add_co_u32_e32 v16, vcc, s6, v16
	v_addc_co_u32_e32 v17, vcc, v11, v17, vcc
	global_load_dwordx4 v[12:15], v[5:6], off offset:1536
	v_add_co_u32_e32 v5, vcc, s7, v5
	global_load_dword v16, v[16:17], off
	v_addc_co_u32_e32 v6, vcc, 0, v6, vcc
	v_add_co_u32_e32 v0, vcc, 0x80, v0
	v_addc_co_u32_e32 v1, vcc, 0, v1, vcc
	v_add_co_u32_e32 v9, vcc, 0x200, v9
	v_addc_co_u32_e32 v10, vcc, 0, v10, vcc
	v_cmp_ge_i64_e32 vcc, v[0:1], v[2:3]
	s_or_b64 s[8:9], vcc, s[8:9]
	s_waitcnt vmcnt(1)
	v_cvt_f32_i32_sdwa v18, sext(v12) dst_sel:DWORD dst_unused:UNUSED_PAD src0_sel:BYTE_0
	s_waitcnt vmcnt(0)
	v_cvt_f32_i32_sdwa v17, sext(v16) dst_sel:DWORD dst_unused:UNUSED_PAD src0_sel:BYTE_0
	v_fmac_f32_e32 v8, v18, v17
	v_cvt_f32_i32_sdwa v18, sext(v12) dst_sel:DWORD dst_unused:UNUSED_PAD src0_sel:BYTE_1
	v_fmac_f32_e32 v23, v18, v17
	v_cvt_f32_i32_sdwa v18, sext(v12) dst_sel:DWORD dst_unused:UNUSED_PAD src0_sel:BYTE_2
	v_cvt_f32_i32_sdwa v12, sext(v12) dst_sel:DWORD dst_unused:UNUSED_PAD src0_sel:BYTE_3
	v_fmac_f32_e32 v22, v18, v17
	v_fmac_f32_e32 v7, v12, v17
	v_cvt_f32_i32_sdwa v12, sext(v13) dst_sel:DWORD dst_unused:UNUSED_PAD src0_sel:BYTE_0
	v_cvt_f32_i32_sdwa v17, sext(v16) dst_sel:DWORD dst_unused:UNUSED_PAD src0_sel:BYTE_1
	v_fmac_f32_e32 v8, v12, v17
	v_cvt_f32_i32_sdwa v12, sext(v13) dst_sel:DWORD dst_unused:UNUSED_PAD src0_sel:BYTE_1
	v_fmac_f32_e32 v23, v12, v17
	v_cvt_f32_i32_sdwa v12, sext(v13) dst_sel:DWORD dst_unused:UNUSED_PAD src0_sel:BYTE_2
	v_fmac_f32_e32 v22, v12, v17
	v_cvt_f32_i32_sdwa v12, sext(v13) dst_sel:DWORD dst_unused:UNUSED_PAD src0_sel:BYTE_3
	v_cvt_f32_i32_sdwa v13, sext(v16) dst_sel:DWORD dst_unused:UNUSED_PAD src0_sel:BYTE_2
	v_fmac_f32_e32 v7, v12, v17
	v_cvt_f32_i32_sdwa v12, sext(v14) dst_sel:DWORD dst_unused:UNUSED_PAD src0_sel:BYTE_0
	v_fmac_f32_e32 v8, v12, v13
	v_cvt_f32_i32_sdwa v12, sext(v14) dst_sel:DWORD dst_unused:UNUSED_PAD src0_sel:BYTE_1
	v_fmac_f32_e32 v23, v12, v13
	v_cvt_f32_i32_sdwa v12, sext(v14) dst_sel:DWORD dst_unused:UNUSED_PAD src0_sel:BYTE_2
	v_fmac_f32_e32 v22, v12, v13
	v_cvt_f32_i32_sdwa v12, sext(v14) dst_sel:DWORD dst_unused:UNUSED_PAD src0_sel:BYTE_3
	v_fmac_f32_e32 v7, v12, v13
	v_cvt_f32_i32_sdwa v12, sext(v15) dst_sel:DWORD dst_unused:UNUSED_PAD src0_sel:BYTE_0
	v_cvt_f32_i32_sdwa v13, sext(v16) dst_sel:DWORD dst_unused:UNUSED_PAD src0_sel:BYTE_3
	v_fmac_f32_e32 v8, v12, v13
	v_cvt_f32_i32_sdwa v12, sext(v15) dst_sel:DWORD dst_unused:UNUSED_PAD src0_sel:BYTE_1
	v_fmac_f32_e32 v23, v12, v13
	v_cvt_f32_i32_sdwa v12, sext(v15) dst_sel:DWORD dst_unused:UNUSED_PAD src0_sel:BYTE_2
	v_fmac_f32_e32 v22, v12, v13
	v_cvt_f32_i32_sdwa v12, sext(v15) dst_sel:DWORD dst_unused:UNUSED_PAD src0_sel:BYTE_3
	v_fmac_f32_e32 v7, v12, v13
	s_andn2_b64 exec, exec, s[8:9]
	s_cbranch_execnz .LBB83_33
; %bb.34:
	s_or_b64 exec, exec, s[8:9]
.LBB83_35:
	s_or_b64 exec, exec, s[0:1]
.LBB83_36:
	s_or_b64 exec, exec, s[2:3]
.LBB83_37:
	v_mov_b32_dpp v0, v8 row_shr:1 row_mask:0xf bank_mask:0xf
	v_add_f32_e32 v0, v8, v0
	v_mov_b32_dpp v2, v23 row_shr:1 row_mask:0xf bank_mask:0xf
	v_mov_b32_dpp v5, v22 row_shr:1 row_mask:0xf bank_mask:0xf
	;; [unrolled: 1-line block ×3, first 2 shown]
	v_add_f32_e32 v2, v23, v2
	v_add_f32_e32 v5, v22, v5
	v_add_f32_e32 v7, v7, v8
	v_mov_b32_dpp v1, v0 row_shr:2 row_mask:0xf bank_mask:0xf
	v_mov_b32_dpp v3, v2 row_shr:2 row_mask:0xf bank_mask:0xf
	v_mov_b32_dpp v6, v5 row_shr:2 row_mask:0xf bank_mask:0xf
	v_mov_b32_dpp v8, v7 row_shr:2 row_mask:0xf bank_mask:0xf
	v_add_f32_e32 v0, v0, v1
	v_add_f32_e32 v2, v2, v3
	v_add_f32_e32 v5, v5, v6
	v_add_f32_e32 v7, v7, v8
	v_mov_b32_dpp v1, v0 row_shr:4 row_mask:0xf bank_mask:0xe
	v_mov_b32_dpp v3, v2 row_shr:4 row_mask:0xf bank_mask:0xe
	v_mov_b32_dpp v6, v5 row_shr:4 row_mask:0xf bank_mask:0xe
	v_mov_b32_dpp v8, v7 row_shr:4 row_mask:0xf bank_mask:0xe
	v_add_f32_e32 v0, v0, v1
	;; [unrolled: 8-line block ×3, first 2 shown]
	v_add_f32_e32 v2, v2, v3
	v_add_f32_e32 v5, v5, v6
	;; [unrolled: 1-line block ×3, first 2 shown]
	v_mov_b32_dpp v1, v0 row_bcast:15 row_mask:0xa bank_mask:0xf
	v_mov_b32_dpp v3, v2 row_bcast:15 row_mask:0xa bank_mask:0xf
	;; [unrolled: 1-line block ×4, first 2 shown]
	v_cmp_eq_u32_e32 vcc, 31, v21
	s_and_b64 exec, exec, vcc
	s_cbranch_execz .LBB83_10
; %bb.38:
	s_load_dwordx2 s[0:1], s[4:5], 0x50
	v_add_f32_e32 v0, v0, v1
	v_add_f32_e32 v1, v2, v3
	;; [unrolled: 1-line block ×4, first 2 shown]
	v_cmp_eq_f32_e64 s[2:3], s16, 0
	s_and_b64 vcc, exec, s[2:3]
	v_mul_f32_e32 v0, s18, v0
	v_mul_f32_e32 v1, s18, v1
	;; [unrolled: 1-line block ×4, first 2 shown]
	v_lshlrev_b32_e32 v4, 2, v4
	s_cbranch_vccz .LBB83_40
; %bb.39:
	v_ashrrev_i32_e32 v5, 31, v4
	v_lshlrev_b64 v[5:6], 2, v[4:5]
	s_waitcnt lgkmcnt(0)
	v_mov_b32_e32 v7, s1
	v_add_co_u32_e32 v5, vcc, s0, v5
	v_addc_co_u32_e32 v6, vcc, v7, v6, vcc
	global_store_dwordx4 v[5:6], v[0:3], off
	s_cbranch_execnz .LBB83_10
	s_branch .LBB83_41
.LBB83_40:
.LBB83_41:
	v_ashrrev_i32_e32 v5, 31, v4
	v_lshlrev_b64 v[4:5], 2, v[4:5]
	s_waitcnt lgkmcnt(0)
	v_mov_b32_e32 v6, s1
	v_add_co_u32_e32 v8, vcc, s0, v4
	v_addc_co_u32_e32 v9, vcc, v6, v5, vcc
	global_load_dwordx4 v[4:7], v[8:9], off
	s_waitcnt vmcnt(0)
	v_fmac_f32_e32 v0, s16, v4
	v_fmac_f32_e32 v1, s16, v5
	;; [unrolled: 1-line block ×4, first 2 shown]
	global_store_dwordx4 v[8:9], v[0:3], off
	s_endpgm
	.section	.rodata,"a",@progbits
	.p2align	6, 0x0
	.amdhsa_kernel _ZN9rocsparseL18bsrxmvn_4x4_kernelILj128ELj32EfliaafEEvT3_20rocsparse_direction_NS_24const_host_device_scalarIT1_EES1_PKS1_PKT2_SA_S7_PKT4_PKT5_S5_PT6_21rocsparse_index_base_b
		.amdhsa_group_segment_fixed_size 0
		.amdhsa_private_segment_fixed_size 0
		.amdhsa_kernarg_size 96
		.amdhsa_user_sgpr_count 6
		.amdhsa_user_sgpr_private_segment_buffer 1
		.amdhsa_user_sgpr_dispatch_ptr 0
		.amdhsa_user_sgpr_queue_ptr 0
		.amdhsa_user_sgpr_kernarg_segment_ptr 1
		.amdhsa_user_sgpr_dispatch_id 0
		.amdhsa_user_sgpr_flat_scratch_init 0
		.amdhsa_user_sgpr_private_segment_size 0
		.amdhsa_uses_dynamic_stack 0
		.amdhsa_system_sgpr_private_segment_wavefront_offset 0
		.amdhsa_system_sgpr_workgroup_id_x 1
		.amdhsa_system_sgpr_workgroup_id_y 0
		.amdhsa_system_sgpr_workgroup_id_z 0
		.amdhsa_system_sgpr_workgroup_info 0
		.amdhsa_system_vgpr_workitem_id 0
		.amdhsa_next_free_vgpr 45
		.amdhsa_next_free_sgpr 22
		.amdhsa_reserve_vcc 1
		.amdhsa_reserve_flat_scratch 0
		.amdhsa_float_round_mode_32 0
		.amdhsa_float_round_mode_16_64 0
		.amdhsa_float_denorm_mode_32 3
		.amdhsa_float_denorm_mode_16_64 3
		.amdhsa_dx10_clamp 1
		.amdhsa_ieee_mode 1
		.amdhsa_fp16_overflow 0
		.amdhsa_exception_fp_ieee_invalid_op 0
		.amdhsa_exception_fp_denorm_src 0
		.amdhsa_exception_fp_ieee_div_zero 0
		.amdhsa_exception_fp_ieee_overflow 0
		.amdhsa_exception_fp_ieee_underflow 0
		.amdhsa_exception_fp_ieee_inexact 0
		.amdhsa_exception_int_div_zero 0
	.end_amdhsa_kernel
	.section	.text._ZN9rocsparseL18bsrxmvn_4x4_kernelILj128ELj32EfliaafEEvT3_20rocsparse_direction_NS_24const_host_device_scalarIT1_EES1_PKS1_PKT2_SA_S7_PKT4_PKT5_S5_PT6_21rocsparse_index_base_b,"axG",@progbits,_ZN9rocsparseL18bsrxmvn_4x4_kernelILj128ELj32EfliaafEEvT3_20rocsparse_direction_NS_24const_host_device_scalarIT1_EES1_PKS1_PKT2_SA_S7_PKT4_PKT5_S5_PT6_21rocsparse_index_base_b,comdat
.Lfunc_end83:
	.size	_ZN9rocsparseL18bsrxmvn_4x4_kernelILj128ELj32EfliaafEEvT3_20rocsparse_direction_NS_24const_host_device_scalarIT1_EES1_PKS1_PKT2_SA_S7_PKT4_PKT5_S5_PT6_21rocsparse_index_base_b, .Lfunc_end83-_ZN9rocsparseL18bsrxmvn_4x4_kernelILj128ELj32EfliaafEEvT3_20rocsparse_direction_NS_24const_host_device_scalarIT1_EES1_PKS1_PKT2_SA_S7_PKT4_PKT5_S5_PT6_21rocsparse_index_base_b
                                        ; -- End function
	.set _ZN9rocsparseL18bsrxmvn_4x4_kernelILj128ELj32EfliaafEEvT3_20rocsparse_direction_NS_24const_host_device_scalarIT1_EES1_PKS1_PKT2_SA_S7_PKT4_PKT5_S5_PT6_21rocsparse_index_base_b.num_vgpr, 45
	.set _ZN9rocsparseL18bsrxmvn_4x4_kernelILj128ELj32EfliaafEEvT3_20rocsparse_direction_NS_24const_host_device_scalarIT1_EES1_PKS1_PKT2_SA_S7_PKT4_PKT5_S5_PT6_21rocsparse_index_base_b.num_agpr, 0
	.set _ZN9rocsparseL18bsrxmvn_4x4_kernelILj128ELj32EfliaafEEvT3_20rocsparse_direction_NS_24const_host_device_scalarIT1_EES1_PKS1_PKT2_SA_S7_PKT4_PKT5_S5_PT6_21rocsparse_index_base_b.numbered_sgpr, 22
	.set _ZN9rocsparseL18bsrxmvn_4x4_kernelILj128ELj32EfliaafEEvT3_20rocsparse_direction_NS_24const_host_device_scalarIT1_EES1_PKS1_PKT2_SA_S7_PKT4_PKT5_S5_PT6_21rocsparse_index_base_b.num_named_barrier, 0
	.set _ZN9rocsparseL18bsrxmvn_4x4_kernelILj128ELj32EfliaafEEvT3_20rocsparse_direction_NS_24const_host_device_scalarIT1_EES1_PKS1_PKT2_SA_S7_PKT4_PKT5_S5_PT6_21rocsparse_index_base_b.private_seg_size, 0
	.set _ZN9rocsparseL18bsrxmvn_4x4_kernelILj128ELj32EfliaafEEvT3_20rocsparse_direction_NS_24const_host_device_scalarIT1_EES1_PKS1_PKT2_SA_S7_PKT4_PKT5_S5_PT6_21rocsparse_index_base_b.uses_vcc, 1
	.set _ZN9rocsparseL18bsrxmvn_4x4_kernelILj128ELj32EfliaafEEvT3_20rocsparse_direction_NS_24const_host_device_scalarIT1_EES1_PKS1_PKT2_SA_S7_PKT4_PKT5_S5_PT6_21rocsparse_index_base_b.uses_flat_scratch, 0
	.set _ZN9rocsparseL18bsrxmvn_4x4_kernelILj128ELj32EfliaafEEvT3_20rocsparse_direction_NS_24const_host_device_scalarIT1_EES1_PKS1_PKT2_SA_S7_PKT4_PKT5_S5_PT6_21rocsparse_index_base_b.has_dyn_sized_stack, 0
	.set _ZN9rocsparseL18bsrxmvn_4x4_kernelILj128ELj32EfliaafEEvT3_20rocsparse_direction_NS_24const_host_device_scalarIT1_EES1_PKS1_PKT2_SA_S7_PKT4_PKT5_S5_PT6_21rocsparse_index_base_b.has_recursion, 0
	.set _ZN9rocsparseL18bsrxmvn_4x4_kernelILj128ELj32EfliaafEEvT3_20rocsparse_direction_NS_24const_host_device_scalarIT1_EES1_PKS1_PKT2_SA_S7_PKT4_PKT5_S5_PT6_21rocsparse_index_base_b.has_indirect_call, 0
	.section	.AMDGPU.csdata,"",@progbits
; Kernel info:
; codeLenInByte = 4512
; TotalNumSgprs: 26
; NumVgprs: 45
; ScratchSize: 0
; MemoryBound: 0
; FloatMode: 240
; IeeeMode: 1
; LDSByteSize: 0 bytes/workgroup (compile time only)
; SGPRBlocks: 3
; VGPRBlocks: 11
; NumSGPRsForWavesPerEU: 26
; NumVGPRsForWavesPerEU: 45
; Occupancy: 5
; WaveLimiterHint : 1
; COMPUTE_PGM_RSRC2:SCRATCH_EN: 0
; COMPUTE_PGM_RSRC2:USER_SGPR: 6
; COMPUTE_PGM_RSRC2:TRAP_HANDLER: 0
; COMPUTE_PGM_RSRC2:TGID_X_EN: 1
; COMPUTE_PGM_RSRC2:TGID_Y_EN: 0
; COMPUTE_PGM_RSRC2:TGID_Z_EN: 0
; COMPUTE_PGM_RSRC2:TIDIG_COMP_CNT: 0
	.section	.text._ZN9rocsparseL18bsrxmvn_4x4_kernelILj128ELj64EfliaafEEvT3_20rocsparse_direction_NS_24const_host_device_scalarIT1_EES1_PKS1_PKT2_SA_S7_PKT4_PKT5_S5_PT6_21rocsparse_index_base_b,"axG",@progbits,_ZN9rocsparseL18bsrxmvn_4x4_kernelILj128ELj64EfliaafEEvT3_20rocsparse_direction_NS_24const_host_device_scalarIT1_EES1_PKS1_PKT2_SA_S7_PKT4_PKT5_S5_PT6_21rocsparse_index_base_b,comdat
	.globl	_ZN9rocsparseL18bsrxmvn_4x4_kernelILj128ELj64EfliaafEEvT3_20rocsparse_direction_NS_24const_host_device_scalarIT1_EES1_PKS1_PKT2_SA_S7_PKT4_PKT5_S5_PT6_21rocsparse_index_base_b ; -- Begin function _ZN9rocsparseL18bsrxmvn_4x4_kernelILj128ELj64EfliaafEEvT3_20rocsparse_direction_NS_24const_host_device_scalarIT1_EES1_PKS1_PKT2_SA_S7_PKT4_PKT5_S5_PT6_21rocsparse_index_base_b
	.p2align	8
	.type	_ZN9rocsparseL18bsrxmvn_4x4_kernelILj128ELj64EfliaafEEvT3_20rocsparse_direction_NS_24const_host_device_scalarIT1_EES1_PKS1_PKT2_SA_S7_PKT4_PKT5_S5_PT6_21rocsparse_index_base_b,@function
_ZN9rocsparseL18bsrxmvn_4x4_kernelILj128ELj64EfliaafEEvT3_20rocsparse_direction_NS_24const_host_device_scalarIT1_EES1_PKS1_PKT2_SA_S7_PKT4_PKT5_S5_PT6_21rocsparse_index_base_b: ; @_ZN9rocsparseL18bsrxmvn_4x4_kernelILj128ELj64EfliaafEEvT3_20rocsparse_direction_NS_24const_host_device_scalarIT1_EES1_PKS1_PKT2_SA_S7_PKT4_PKT5_S5_PT6_21rocsparse_index_base_b
; %bb.0:
	s_load_dwordx2 s[20:21], s[4:5], 0x58
	s_load_dwordx2 s[18:19], s[4:5], 0x8
	s_load_dwordx2 s[16:17], s[4:5], 0x48
	s_waitcnt lgkmcnt(0)
	s_bitcmp1_b32 s21, 0
	s_cselect_b64 s[2:3], -1, 0
	s_xor_b64 s[0:1], s[2:3], -1
	s_and_b64 vcc, exec, s[2:3]
	s_cbranch_vccnz .LBB84_2
; %bb.1:
	s_load_dword s18, s[18:19], 0x0
.LBB84_2:
	s_andn2_b64 vcc, exec, s[0:1]
	s_cbranch_vccnz .LBB84_4
; %bb.3:
	s_load_dword s16, s[16:17], 0x0
.LBB84_4:
	s_waitcnt lgkmcnt(0)
	v_cmp_neq_f32_e64 s[0:1], s18, 0
	v_cmp_neq_f32_e64 s[2:3], s16, 1.0
	s_or_b64 s[0:1], s[0:1], s[2:3]
	s_andn2_b64 vcc, exec, s[0:1]
	s_cbranch_vccnz .LBB84_10
; %bb.5:
	s_load_dwordx2 s[8:9], s[4:5], 0x18
	s_load_dwordx2 s[0:1], s[4:5], 0x0
	v_lshrrev_b32_e32 v1, 6, v0
	v_lshl_or_b32 v4, s6, 1, v1
	s_mov_b64 s[2:3], 0
	s_waitcnt lgkmcnt(0)
	s_cmp_lg_u64 s[8:9], 0
	s_cbranch_scc0 .LBB84_11
; %bb.6:
	s_load_dword s6, s[4:5], 0x10
                                        ; implicit-def: $vgpr1
	s_waitcnt lgkmcnt(0)
	v_cmp_gt_i32_e32 vcc, s6, v4
	s_and_saveexec_b64 s[6:7], vcc
	s_xor_b64 s[6:7], exec, s[6:7]
	s_cbranch_execz .LBB84_8
; %bb.7:
	v_ashrrev_i32_e32 v5, 31, v4
	v_lshlrev_b64 v[1:2], 2, v[4:5]
	v_mov_b32_e32 v3, s9
	v_add_co_u32_e32 v1, vcc, s8, v1
	v_addc_co_u32_e32 v2, vcc, v3, v2, vcc
	global_load_dword v1, v[1:2], off
	s_mov_b64 s[2:3], exec
	s_waitcnt vmcnt(0)
	v_subrev_u32_e32 v1, s20, v1
.LBB84_8:
	s_or_b64 exec, exec, s[6:7]
	s_branch .LBB84_12
.LBB84_9:
	v_cmp_gt_i32_e32 vcc, s0, v4
	s_andn2_b64 s[2:3], s[2:3], exec
	s_and_b64 s[6:7], vcc, exec
	s_or_b64 s[2:3], s[2:3], s[6:7]
	s_and_saveexec_b64 s[6:7], s[2:3]
	s_cbranch_execnz .LBB84_13
.LBB84_10:
	s_endpgm
.LBB84_11:
                                        ; implicit-def: $vgpr1
	s_cbranch_execnz .LBB84_9
.LBB84_12:
	v_mov_b32_e32 v4, v1
	s_and_saveexec_b64 s[6:7], s[2:3]
	s_cbranch_execz .LBB84_10
.LBB84_13:
	s_load_dwordx8 s[8:15], s[4:5], 0x20
	v_ashrrev_i32_e32 v5, 31, v4
	v_lshlrev_b64 v[1:2], 3, v[4:5]
	v_and_b32_e32 v21, 63, v0
	s_load_dwordx2 s[6:7], s[4:5], 0x40
	s_waitcnt lgkmcnt(0)
	v_mov_b32_e32 v3, s9
	v_add_co_u32_e32 v5, vcc, s8, v1
	v_addc_co_u32_e32 v6, vcc, v3, v2, vcc
	v_add_co_u32_e32 v3, vcc, 8, v5
	global_load_dwordx2 v[9:10], v[5:6], off
	v_addc_co_u32_e32 v5, vcc, 0, v6, vcc
	v_mov_b32_e32 v6, s11
	v_add_co_u32_e32 v1, vcc, s10, v1
	s_cmp_eq_u64 s[10:11], 0
	v_addc_co_u32_e32 v2, vcc, v6, v2, vcc
	s_cselect_b64 vcc, -1, 0
	v_cndmask_b32_e32 v2, v2, v5, vcc
	v_cndmask_b32_e32 v1, v1, v3, vcc
	global_load_dwordx2 v[2:3], v[1:2], off
	v_mov_b32_e32 v8, s15
	s_cmp_eq_u32 s1, 1
	v_mov_b32_e32 v7, 0
	s_waitcnt vmcnt(1)
	v_subrev_co_u32_e32 v0, vcc, s20, v9
	v_subbrev_co_u32_e32 v1, vcc, 0, v10, vcc
	v_add_co_u32_e32 v0, vcc, v0, v21
	v_addc_co_u32_e32 v1, vcc, 0, v1, vcc
	v_lshlrev_b64 v[5:6], 4, v[0:1]
	s_waitcnt vmcnt(0)
	v_subrev_co_u32_e32 v2, vcc, s20, v2
	v_subbrev_co_u32_e32 v3, vcc, 0, v3, vcc
	v_cmp_lt_i64_e64 s[0:1], v[0:1], v[2:3]
	v_add_co_u32_e32 v5, vcc, s14, v5
	v_addc_co_u32_e32 v6, vcc, v8, v6, vcc
	s_cbranch_scc1 .LBB84_25
; %bb.14:
	v_mov_b32_e32 v22, 0
	v_mov_b32_e32 v23, 0
	;; [unrolled: 1-line block ×3, first 2 shown]
	s_and_saveexec_b64 s[8:9], s[0:1]
	s_cbranch_execz .LBB84_24
; %bb.15:
	v_or_b32_e32 v7, 64, v21
	v_subrev_co_u32_e32 v7, vcc, s20, v7
	v_subb_co_u32_e64 v8, s[2:3], 0, 0, vcc
	v_add_co_u32_e32 v7, vcc, v7, v9
	v_addc_co_u32_e32 v8, vcc, v8, v10, vcc
	v_cmp_gt_i64_e32 vcc, v[7:8], v[2:3]
	v_not_b32_e32 v12, v9
	v_cndmask_b32_e32 v8, v3, v8, vcc
	v_cndmask_b32_e32 v7, v2, v7, vcc
	v_sub_co_u32_e32 v13, vcc, s20, v21
	v_not_b32_e32 v11, v10
	v_subb_co_u32_e64 v14, s[2:3], 0, 0, vcc
	v_add_co_u32_e32 v12, vcc, v13, v12
	v_addc_co_u32_e32 v11, vcc, v14, v11, vcc
	v_add_co_u32_e32 v15, vcc, v12, v7
	v_addc_co_u32_e32 v16, vcc, v11, v8, vcc
	v_and_b32_e32 v7, 0xc0, v15
	v_mov_b32_e32 v8, 0
	s_mov_b64 s[2:3], 0xc0
	v_cmp_ne_u64_e32 vcc, s[2:3], v[7:8]
	v_mov_b32_e32 v12, v1
	v_mov_b32_e32 v14, v6
	;; [unrolled: 1-line block ×7, first 2 shown]
	s_and_saveexec_b64 s[10:11], vcc
	s_cbranch_execz .LBB84_19
; %bb.16:
	v_lshlrev_b64 v[11:12], 2, v[0:1]
	v_lshrrev_b32_e32 v7, 6, v15
	v_add_u32_e32 v7, 1, v7
	v_mov_b32_e32 v13, s13
	v_add_co_u32_e32 v17, vcc, s12, v11
	v_and_b32_e32 v8, 3, v7
	v_addc_co_u32_e32 v18, vcc, v13, v12, vcc
	v_sub_co_u32_e32 v19, vcc, 0, v8
	v_mov_b32_e32 v14, v6
	v_mov_b32_e32 v12, v1
	;; [unrolled: 1-line block ×3, first 2 shown]
	s_mov_b64 s[14:15], 0
	v_subb_co_u32_e64 v20, s[2:3], 0, 0, vcc
	s_movk_i32 s17, 0x400
	v_mov_b32_e32 v24, s7
	v_mov_b32_e32 v13, v5
	v_mov_b32_e32 v11, v0
	v_mov_b32_e32 v22, 0
	v_mov_b32_e32 v23, 0
	v_mov_b32_e32 v8, 0
.LBB84_17:                              ; =>This Inner Loop Header: Depth=1
	global_load_dword v29, v[17:18], off
	global_load_dwordx4 v[25:28], v[13:14], off
	s_waitcnt vmcnt(1)
	v_subrev_u32_e32 v29, s20, v29
	v_lshlrev_b32_e32 v29, 2, v29
	v_ashrrev_i32_e32 v30, 31, v29
	v_add_co_u32_e32 v29, vcc, s6, v29
	v_addc_co_u32_e32 v30, vcc, v24, v30, vcc
	global_load_dword v29, v[29:30], off
	v_add_co_u32_e32 v13, vcc, s17, v13
	s_waitcnt vmcnt(1)
	v_cvt_f32_i32_sdwa v30, sext(v25) dst_sel:DWORD dst_unused:UNUSED_PAD src0_sel:BYTE_0
	v_cvt_f32_i32_sdwa v33, sext(v26) dst_sel:DWORD dst_unused:UNUSED_PAD src0_sel:BYTE_0
	;; [unrolled: 1-line block ×4, first 2 shown]
	s_mov_b64 s[2:3], vcc
	v_add_co_u32_e32 v11, vcc, 64, v11
	v_cvt_f32_i32_sdwa v31, sext(v25) dst_sel:DWORD dst_unused:UNUSED_PAD src0_sel:BYTE_1
	v_cvt_f32_i32_sdwa v34, sext(v26) dst_sel:DWORD dst_unused:UNUSED_PAD src0_sel:BYTE_1
	;; [unrolled: 1-line block ×4, first 2 shown]
	v_addc_co_u32_e32 v12, vcc, 0, v12, vcc
	v_cvt_f32_i32_sdwa v32, sext(v25) dst_sel:DWORD dst_unused:UNUSED_PAD src0_sel:BYTE_2
	v_cvt_f32_i32_sdwa v35, sext(v26) dst_sel:DWORD dst_unused:UNUSED_PAD src0_sel:BYTE_2
	;; [unrolled: 1-line block ×4, first 2 shown]
	v_add_co_u32_e32 v19, vcc, 1, v19
	v_cvt_f32_i32_sdwa v25, sext(v25) dst_sel:DWORD dst_unused:UNUSED_PAD src0_sel:BYTE_3
	v_cvt_f32_i32_sdwa v26, sext(v26) dst_sel:DWORD dst_unused:UNUSED_PAD src0_sel:BYTE_3
	;; [unrolled: 1-line block ×4, first 2 shown]
	v_addc_co_u32_e32 v20, vcc, 0, v20, vcc
	v_addc_co_u32_e64 v14, s[2:3], 0, v14, s[2:3]
	v_cmp_eq_u64_e64 s[2:3], 0, v[19:20]
	v_add_co_u32_e32 v17, vcc, 0x100, v17
	v_addc_co_u32_e32 v18, vcc, 0, v18, vcc
	s_or_b64 s[14:15], s[2:3], s[14:15]
	s_waitcnt vmcnt(0)
	v_cvt_f32_i32_sdwa v42, sext(v29) dst_sel:DWORD dst_unused:UNUSED_PAD src0_sel:BYTE_0
	v_cvt_f32_i32_sdwa v43, sext(v29) dst_sel:DWORD dst_unused:UNUSED_PAD src0_sel:BYTE_1
	v_cvt_f32_i32_sdwa v44, sext(v29) dst_sel:DWORD dst_unused:UNUSED_PAD src0_sel:BYTE_2
	v_cvt_f32_i32_sdwa v29, sext(v29) dst_sel:DWORD dst_unused:UNUSED_PAD src0_sel:BYTE_3
	v_fmac_f32_e32 v8, v30, v42
	v_fmac_f32_e32 v23, v33, v42
	;; [unrolled: 1-line block ×16, first 2 shown]
	s_andn2_b64 exec, exec, s[14:15]
	s_cbranch_execnz .LBB84_17
; %bb.18:
	s_or_b64 exec, exec, s[14:15]
.LBB84_19:
	s_or_b64 exec, exec, s[10:11]
	s_mov_b64 s[2:3], 0xbf
	v_cmp_lt_u64_e32 vcc, s[2:3], v[15:16]
	s_and_saveexec_b64 s[2:3], vcc
	s_cbranch_execz .LBB84_23
; %bb.20:
	v_lshlrev_b64 v[15:16], 2, v[11:12]
	v_mov_b32_e32 v17, s13
	v_add_co_u32_e32 v15, vcc, s12, v15
	v_addc_co_u32_e32 v16, vcc, v17, v16, vcc
	v_add_co_u32_e32 v15, vcc, 0x200, v15
	v_addc_co_u32_e32 v16, vcc, 0, v16, vcc
	s_mov_b64 s[10:11], 0
	v_mov_b32_e32 v17, s7
	s_movk_i32 s14, 0x1000
.LBB84_21:                              ; =>This Inner Loop Header: Depth=1
	global_load_dword v18, v[15:16], off offset:-512
	global_load_dwordx4 v[24:27], v[13:14], off
	s_waitcnt vmcnt(1)
	v_subrev_u32_e32 v18, s20, v18
	v_lshlrev_b32_e32 v18, 2, v18
	v_ashrrev_i32_e32 v19, 31, v18
	v_add_co_u32_e32 v18, vcc, s6, v18
	v_addc_co_u32_e32 v19, vcc, v17, v19, vcc
	global_load_dword v18, v[18:19], off
	s_waitcnt vmcnt(1)
	v_cvt_f32_i32_sdwa v20, sext(v24) dst_sel:DWORD dst_unused:UNUSED_PAD src0_sel:BYTE_0
	s_waitcnt vmcnt(0)
	v_cvt_f32_i32_sdwa v19, sext(v18) dst_sel:DWORD dst_unused:UNUSED_PAD src0_sel:BYTE_0
	v_cvt_f32_i32_sdwa v28, sext(v18) dst_sel:DWORD dst_unused:UNUSED_PAD src0_sel:BYTE_1
	v_cvt_f32_i32_sdwa v29, sext(v18) dst_sel:DWORD dst_unused:UNUSED_PAD src0_sel:BYTE_2
	v_cvt_f32_i32_sdwa v18, sext(v18) dst_sel:DWORD dst_unused:UNUSED_PAD src0_sel:BYTE_3
	v_fmac_f32_e32 v8, v20, v19
	v_cvt_f32_i32_sdwa v20, sext(v24) dst_sel:DWORD dst_unused:UNUSED_PAD src0_sel:BYTE_1
	v_fmac_f32_e32 v8, v20, v28
	v_cvt_f32_i32_sdwa v20, sext(v24) dst_sel:DWORD dst_unused:UNUSED_PAD src0_sel:BYTE_2
	v_fmac_f32_e32 v8, v20, v29
	v_cvt_f32_i32_sdwa v20, sext(v24) dst_sel:DWORD dst_unused:UNUSED_PAD src0_sel:BYTE_3
	v_fmac_f32_e32 v8, v20, v18
	v_cvt_f32_i32_sdwa v20, sext(v25) dst_sel:DWORD dst_unused:UNUSED_PAD src0_sel:BYTE_0
	v_fmac_f32_e32 v23, v20, v19
	v_cvt_f32_i32_sdwa v20, sext(v25) dst_sel:DWORD dst_unused:UNUSED_PAD src0_sel:BYTE_1
	v_fmac_f32_e32 v23, v20, v28
	v_cvt_f32_i32_sdwa v20, sext(v25) dst_sel:DWORD dst_unused:UNUSED_PAD src0_sel:BYTE_2
	v_fmac_f32_e32 v23, v20, v29
	v_cvt_f32_i32_sdwa v20, sext(v25) dst_sel:DWORD dst_unused:UNUSED_PAD src0_sel:BYTE_3
	v_fmac_f32_e32 v23, v20, v18
	v_cvt_f32_i32_sdwa v20, sext(v26) dst_sel:DWORD dst_unused:UNUSED_PAD src0_sel:BYTE_0
	;; [unrolled: 8-line block ×3, first 2 shown]
	v_fmac_f32_e32 v7, v20, v19
	v_cvt_f32_i32_sdwa v19, sext(v27) dst_sel:DWORD dst_unused:UNUSED_PAD src0_sel:BYTE_1
	v_fmac_f32_e32 v7, v19, v28
	v_cvt_f32_i32_sdwa v19, sext(v27) dst_sel:DWORD dst_unused:UNUSED_PAD src0_sel:BYTE_2
	v_fmac_f32_e32 v7, v19, v29
	v_cvt_f32_i32_sdwa v19, sext(v27) dst_sel:DWORD dst_unused:UNUSED_PAD src0_sel:BYTE_3
	global_load_dwordx4 v[24:27], v[13:14], off offset:1024
	v_fmac_f32_e32 v7, v19, v18
	global_load_dword v18, v[15:16], off offset:-256
	s_waitcnt vmcnt(1)
	v_cvt_f32_i32_sdwa v20, sext(v24) dst_sel:DWORD dst_unused:UNUSED_PAD src0_sel:BYTE_0
	s_waitcnt vmcnt(0)
	v_subrev_u32_e32 v18, s20, v18
	v_lshlrev_b32_e32 v18, 2, v18
	v_ashrrev_i32_e32 v19, 31, v18
	v_add_co_u32_e32 v18, vcc, s6, v18
	v_addc_co_u32_e32 v19, vcc, v17, v19, vcc
	global_load_dword v18, v[18:19], off
	s_waitcnt vmcnt(0)
	v_cvt_f32_i32_sdwa v19, sext(v18) dst_sel:DWORD dst_unused:UNUSED_PAD src0_sel:BYTE_0
	v_cvt_f32_i32_sdwa v28, sext(v18) dst_sel:DWORD dst_unused:UNUSED_PAD src0_sel:BYTE_1
	v_cvt_f32_i32_sdwa v29, sext(v18) dst_sel:DWORD dst_unused:UNUSED_PAD src0_sel:BYTE_2
	v_cvt_f32_i32_sdwa v18, sext(v18) dst_sel:DWORD dst_unused:UNUSED_PAD src0_sel:BYTE_3
	v_fmac_f32_e32 v8, v20, v19
	v_cvt_f32_i32_sdwa v20, sext(v24) dst_sel:DWORD dst_unused:UNUSED_PAD src0_sel:BYTE_1
	v_fmac_f32_e32 v8, v20, v28
	v_cvt_f32_i32_sdwa v20, sext(v24) dst_sel:DWORD dst_unused:UNUSED_PAD src0_sel:BYTE_2
	v_fmac_f32_e32 v8, v20, v29
	v_cvt_f32_i32_sdwa v20, sext(v24) dst_sel:DWORD dst_unused:UNUSED_PAD src0_sel:BYTE_3
	v_fmac_f32_e32 v8, v20, v18
	v_cvt_f32_i32_sdwa v20, sext(v25) dst_sel:DWORD dst_unused:UNUSED_PAD src0_sel:BYTE_0
	v_fmac_f32_e32 v23, v20, v19
	v_cvt_f32_i32_sdwa v20, sext(v25) dst_sel:DWORD dst_unused:UNUSED_PAD src0_sel:BYTE_1
	v_fmac_f32_e32 v23, v20, v28
	v_cvt_f32_i32_sdwa v20, sext(v25) dst_sel:DWORD dst_unused:UNUSED_PAD src0_sel:BYTE_2
	v_fmac_f32_e32 v23, v20, v29
	v_cvt_f32_i32_sdwa v20, sext(v25) dst_sel:DWORD dst_unused:UNUSED_PAD src0_sel:BYTE_3
	v_fmac_f32_e32 v23, v20, v18
	v_cvt_f32_i32_sdwa v20, sext(v26) dst_sel:DWORD dst_unused:UNUSED_PAD src0_sel:BYTE_0
	v_fmac_f32_e32 v22, v20, v19
	v_cvt_f32_i32_sdwa v20, sext(v26) dst_sel:DWORD dst_unused:UNUSED_PAD src0_sel:BYTE_1
	v_fmac_f32_e32 v22, v20, v28
	v_cvt_f32_i32_sdwa v20, sext(v26) dst_sel:DWORD dst_unused:UNUSED_PAD src0_sel:BYTE_2
	v_fmac_f32_e32 v22, v20, v29
	v_cvt_f32_i32_sdwa v20, sext(v26) dst_sel:DWORD dst_unused:UNUSED_PAD src0_sel:BYTE_3
	v_fmac_f32_e32 v22, v20, v18
	v_cvt_f32_i32_sdwa v20, sext(v27) dst_sel:DWORD dst_unused:UNUSED_PAD src0_sel:BYTE_0
	v_fmac_f32_e32 v7, v20, v19
	v_cvt_f32_i32_sdwa v19, sext(v27) dst_sel:DWORD dst_unused:UNUSED_PAD src0_sel:BYTE_1
	v_fmac_f32_e32 v7, v19, v28
	v_cvt_f32_i32_sdwa v19, sext(v27) dst_sel:DWORD dst_unused:UNUSED_PAD src0_sel:BYTE_2
	v_fmac_f32_e32 v7, v19, v29
	v_cvt_f32_i32_sdwa v19, sext(v27) dst_sel:DWORD dst_unused:UNUSED_PAD src0_sel:BYTE_3
	global_load_dwordx4 v[24:27], v[13:14], off offset:2048
	v_fmac_f32_e32 v7, v19, v18
	global_load_dword v18, v[15:16], off
	s_waitcnt vmcnt(1)
	v_cvt_f32_i32_sdwa v20, sext(v24) dst_sel:DWORD dst_unused:UNUSED_PAD src0_sel:BYTE_0
	s_waitcnt vmcnt(0)
	v_subrev_u32_e32 v18, s20, v18
	v_lshlrev_b32_e32 v18, 2, v18
	v_ashrrev_i32_e32 v19, 31, v18
	v_add_co_u32_e32 v18, vcc, s6, v18
	v_addc_co_u32_e32 v19, vcc, v17, v19, vcc
	global_load_dword v18, v[18:19], off
	s_waitcnt vmcnt(0)
	v_cvt_f32_i32_sdwa v19, sext(v18) dst_sel:DWORD dst_unused:UNUSED_PAD src0_sel:BYTE_0
	v_cvt_f32_i32_sdwa v28, sext(v18) dst_sel:DWORD dst_unused:UNUSED_PAD src0_sel:BYTE_1
	v_cvt_f32_i32_sdwa v29, sext(v18) dst_sel:DWORD dst_unused:UNUSED_PAD src0_sel:BYTE_2
	v_cvt_f32_i32_sdwa v18, sext(v18) dst_sel:DWORD dst_unused:UNUSED_PAD src0_sel:BYTE_3
	v_fmac_f32_e32 v8, v20, v19
	v_cvt_f32_i32_sdwa v20, sext(v24) dst_sel:DWORD dst_unused:UNUSED_PAD src0_sel:BYTE_1
	v_fmac_f32_e32 v8, v20, v28
	v_cvt_f32_i32_sdwa v20, sext(v24) dst_sel:DWORD dst_unused:UNUSED_PAD src0_sel:BYTE_2
	v_fmac_f32_e32 v8, v20, v29
	v_cvt_f32_i32_sdwa v20, sext(v24) dst_sel:DWORD dst_unused:UNUSED_PAD src0_sel:BYTE_3
	v_fmac_f32_e32 v8, v20, v18
	v_cvt_f32_i32_sdwa v20, sext(v25) dst_sel:DWORD dst_unused:UNUSED_PAD src0_sel:BYTE_0
	v_fmac_f32_e32 v23, v20, v19
	v_cvt_f32_i32_sdwa v20, sext(v25) dst_sel:DWORD dst_unused:UNUSED_PAD src0_sel:BYTE_1
	v_fmac_f32_e32 v23, v20, v28
	v_cvt_f32_i32_sdwa v20, sext(v25) dst_sel:DWORD dst_unused:UNUSED_PAD src0_sel:BYTE_2
	v_fmac_f32_e32 v23, v20, v29
	v_cvt_f32_i32_sdwa v20, sext(v25) dst_sel:DWORD dst_unused:UNUSED_PAD src0_sel:BYTE_3
	v_fmac_f32_e32 v23, v20, v18
	v_cvt_f32_i32_sdwa v20, sext(v26) dst_sel:DWORD dst_unused:UNUSED_PAD src0_sel:BYTE_0
	;; [unrolled: 8-line block ×3, first 2 shown]
	v_fmac_f32_e32 v7, v20, v19
	v_cvt_f32_i32_sdwa v19, sext(v27) dst_sel:DWORD dst_unused:UNUSED_PAD src0_sel:BYTE_1
	v_fmac_f32_e32 v7, v19, v28
	v_cvt_f32_i32_sdwa v19, sext(v27) dst_sel:DWORD dst_unused:UNUSED_PAD src0_sel:BYTE_2
	v_fmac_f32_e32 v7, v19, v29
	v_cvt_f32_i32_sdwa v19, sext(v27) dst_sel:DWORD dst_unused:UNUSED_PAD src0_sel:BYTE_3
	global_load_dwordx4 v[24:27], v[13:14], off offset:3072
	v_fmac_f32_e32 v7, v19, v18
	global_load_dword v18, v[15:16], off offset:256
	s_waitcnt vmcnt(1)
	v_cvt_f32_i32_sdwa v20, sext(v24) dst_sel:DWORD dst_unused:UNUSED_PAD src0_sel:BYTE_0
	s_waitcnt vmcnt(0)
	v_subrev_u32_e32 v18, s20, v18
	v_lshlrev_b32_e32 v18, 2, v18
	v_ashrrev_i32_e32 v19, 31, v18
	v_add_co_u32_e32 v18, vcc, s6, v18
	v_addc_co_u32_e32 v19, vcc, v17, v19, vcc
	global_load_dword v18, v[18:19], off
	v_add_co_u32_e32 v13, vcc, s14, v13
	v_addc_co_u32_e32 v14, vcc, 0, v14, vcc
	v_add_co_u32_e32 v11, vcc, 0x100, v11
	v_addc_co_u32_e32 v12, vcc, 0, v12, vcc
	;; [unrolled: 2-line block ×3, first 2 shown]
	v_cmp_ge_i64_e32 vcc, v[11:12], v[2:3]
	s_or_b64 s[10:11], vcc, s[10:11]
	s_waitcnt vmcnt(0)
	v_cvt_f32_i32_sdwa v19, sext(v18) dst_sel:DWORD dst_unused:UNUSED_PAD src0_sel:BYTE_0
	v_cvt_f32_i32_sdwa v28, sext(v18) dst_sel:DWORD dst_unused:UNUSED_PAD src0_sel:BYTE_1
	v_cvt_f32_i32_sdwa v29, sext(v18) dst_sel:DWORD dst_unused:UNUSED_PAD src0_sel:BYTE_2
	v_cvt_f32_i32_sdwa v18, sext(v18) dst_sel:DWORD dst_unused:UNUSED_PAD src0_sel:BYTE_3
	v_fmac_f32_e32 v8, v20, v19
	v_cvt_f32_i32_sdwa v20, sext(v24) dst_sel:DWORD dst_unused:UNUSED_PAD src0_sel:BYTE_1
	v_fmac_f32_e32 v8, v20, v28
	v_cvt_f32_i32_sdwa v20, sext(v24) dst_sel:DWORD dst_unused:UNUSED_PAD src0_sel:BYTE_2
	v_fmac_f32_e32 v8, v20, v29
	v_cvt_f32_i32_sdwa v20, sext(v24) dst_sel:DWORD dst_unused:UNUSED_PAD src0_sel:BYTE_3
	v_fmac_f32_e32 v8, v20, v18
	v_cvt_f32_i32_sdwa v20, sext(v25) dst_sel:DWORD dst_unused:UNUSED_PAD src0_sel:BYTE_0
	v_fmac_f32_e32 v23, v20, v19
	v_cvt_f32_i32_sdwa v20, sext(v25) dst_sel:DWORD dst_unused:UNUSED_PAD src0_sel:BYTE_1
	v_fmac_f32_e32 v23, v20, v28
	v_cvt_f32_i32_sdwa v20, sext(v25) dst_sel:DWORD dst_unused:UNUSED_PAD src0_sel:BYTE_2
	v_fmac_f32_e32 v23, v20, v29
	v_cvt_f32_i32_sdwa v20, sext(v25) dst_sel:DWORD dst_unused:UNUSED_PAD src0_sel:BYTE_3
	v_fmac_f32_e32 v23, v20, v18
	v_cvt_f32_i32_sdwa v20, sext(v26) dst_sel:DWORD dst_unused:UNUSED_PAD src0_sel:BYTE_0
	;; [unrolled: 8-line block ×3, first 2 shown]
	v_fmac_f32_e32 v7, v20, v19
	v_cvt_f32_i32_sdwa v19, sext(v27) dst_sel:DWORD dst_unused:UNUSED_PAD src0_sel:BYTE_1
	v_fmac_f32_e32 v7, v19, v28
	v_cvt_f32_i32_sdwa v19, sext(v27) dst_sel:DWORD dst_unused:UNUSED_PAD src0_sel:BYTE_2
	v_fmac_f32_e32 v7, v19, v29
	v_cvt_f32_i32_sdwa v19, sext(v27) dst_sel:DWORD dst_unused:UNUSED_PAD src0_sel:BYTE_3
	v_fmac_f32_e32 v7, v19, v18
	s_andn2_b64 exec, exec, s[10:11]
	s_cbranch_execnz .LBB84_21
; %bb.22:
	s_or_b64 exec, exec, s[10:11]
.LBB84_23:
	s_or_b64 exec, exec, s[2:3]
.LBB84_24:
	s_or_b64 exec, exec, s[8:9]
	s_cbranch_execz .LBB84_26
	s_branch .LBB84_37
.LBB84_25:
                                        ; implicit-def: $vgpr7
                                        ; implicit-def: $vgpr22
                                        ; implicit-def: $vgpr23
                                        ; implicit-def: $vgpr8
.LBB84_26:
	v_mov_b32_e32 v7, 0
	v_mov_b32_e32 v22, 0
	;; [unrolled: 1-line block ×4, first 2 shown]
	s_and_saveexec_b64 s[2:3], s[0:1]
	s_cbranch_execz .LBB84_36
; %bb.27:
	v_or_b32_e32 v7, 64, v21
	v_subrev_co_u32_e32 v7, vcc, s20, v7
	v_subb_co_u32_e64 v8, s[0:1], 0, 0, vcc
	v_add_co_u32_e32 v7, vcc, v7, v9
	v_addc_co_u32_e32 v8, vcc, v8, v10, vcc
	v_cmp_gt_i64_e32 vcc, v[7:8], v[2:3]
	v_not_b32_e32 v9, v9
	v_cndmask_b32_e32 v8, v3, v8, vcc
	v_cndmask_b32_e32 v7, v2, v7, vcc
	v_sub_co_u32_e32 v11, vcc, s20, v21
	v_not_b32_e32 v10, v10
	v_subb_co_u32_e64 v12, s[0:1], 0, 0, vcc
	v_add_co_u32_e32 v9, vcc, v11, v9
	v_addc_co_u32_e32 v10, vcc, v12, v10, vcc
	v_add_co_u32_e32 v9, vcc, v9, v7
	v_addc_co_u32_e32 v10, vcc, v10, v8, vcc
	v_and_b32_e32 v7, 0xc0, v9
	v_mov_b32_e32 v8, 0
	s_mov_b64 s[0:1], 0xc0
	v_cmp_ne_u64_e32 vcc, s[0:1], v[7:8]
	v_mov_b32_e32 v23, v8
	v_mov_b32_e32 v22, v8
	;; [unrolled: 1-line block ×3, first 2 shown]
	s_and_saveexec_b64 s[8:9], vcc
	s_cbranch_execz .LBB84_31
; %bb.28:
	v_lshlrev_b64 v[11:12], 2, v[0:1]
	v_lshrrev_b32_e32 v7, 6, v9
	v_add_u32_e32 v7, 1, v7
	v_mov_b32_e32 v13, s13
	v_add_co_u32_e32 v11, vcc, s12, v11
	v_and_b32_e32 v8, 3, v7
	v_addc_co_u32_e32 v12, vcc, v13, v12, vcc
	v_sub_co_u32_e32 v13, vcc, 0, v8
	v_mov_b32_e32 v7, 0
	s_mov_b64 s[10:11], 0
	v_subb_co_u32_e64 v14, s[0:1], 0, 0, vcc
	s_movk_i32 s14, 0x400
	v_mov_b32_e32 v15, s7
	v_mov_b32_e32 v22, 0
	;; [unrolled: 1-line block ×4, first 2 shown]
.LBB84_29:                              ; =>This Inner Loop Header: Depth=1
	global_load_dword v20, v[11:12], off
	global_load_dwordx4 v[16:19], v[5:6], off
	v_add_co_u32_e64 v0, s[0:1], 64, v0
	v_addc_co_u32_e64 v1, s[0:1], 0, v1, s[0:1]
	v_add_co_u32_e64 v13, s[0:1], 1, v13
	v_addc_co_u32_e64 v14, s[0:1], 0, v14, s[0:1]
	v_cmp_eq_u64_e64 s[0:1], 0, v[13:14]
	s_or_b64 s[10:11], s[0:1], s[10:11]
	s_waitcnt vmcnt(1)
	v_subrev_u32_e32 v20, s20, v20
	v_lshlrev_b32_e32 v20, 2, v20
	v_ashrrev_i32_e32 v25, 31, v20
	v_add_co_u32_e32 v24, vcc, s6, v20
	v_addc_co_u32_e32 v25, vcc, v15, v25, vcc
	global_load_dword v20, v[24:25], off
	s_waitcnt vmcnt(1)
	v_cvt_f32_i32_sdwa v24, sext(v16) dst_sel:DWORD dst_unused:UNUSED_PAD src0_sel:BYTE_0
	v_cvt_f32_i32_sdwa v25, sext(v16) dst_sel:DWORD dst_unused:UNUSED_PAD src0_sel:BYTE_1
	v_cvt_f32_i32_sdwa v26, sext(v16) dst_sel:DWORD dst_unused:UNUSED_PAD src0_sel:BYTE_2
	v_cvt_f32_i32_sdwa v16, sext(v16) dst_sel:DWORD dst_unused:UNUSED_PAD src0_sel:BYTE_3
	v_cvt_f32_i32_sdwa v27, sext(v17) dst_sel:DWORD dst_unused:UNUSED_PAD src0_sel:BYTE_0
	v_cvt_f32_i32_sdwa v28, sext(v17) dst_sel:DWORD dst_unused:UNUSED_PAD src0_sel:BYTE_1
	v_cvt_f32_i32_sdwa v29, sext(v17) dst_sel:DWORD dst_unused:UNUSED_PAD src0_sel:BYTE_2
	v_cvt_f32_i32_sdwa v17, sext(v17) dst_sel:DWORD dst_unused:UNUSED_PAD src0_sel:BYTE_3
	;; [unrolled: 4-line block ×4, first 2 shown]
	v_add_co_u32_e32 v5, vcc, s14, v5
	v_addc_co_u32_e32 v6, vcc, 0, v6, vcc
	v_add_co_u32_e32 v11, vcc, 0x100, v11
	v_addc_co_u32_e32 v12, vcc, 0, v12, vcc
	s_waitcnt vmcnt(0)
	v_cvt_f32_i32_sdwa v36, sext(v20) dst_sel:DWORD dst_unused:UNUSED_PAD src0_sel:BYTE_0
	v_cvt_f32_i32_sdwa v37, sext(v20) dst_sel:DWORD dst_unused:UNUSED_PAD src0_sel:BYTE_1
	v_cvt_f32_i32_sdwa v38, sext(v20) dst_sel:DWORD dst_unused:UNUSED_PAD src0_sel:BYTE_2
	v_cvt_f32_i32_sdwa v20, sext(v20) dst_sel:DWORD dst_unused:UNUSED_PAD src0_sel:BYTE_3
	v_fmac_f32_e32 v8, v24, v36
	v_fmac_f32_e32 v23, v25, v36
	;; [unrolled: 1-line block ×16, first 2 shown]
	s_andn2_b64 exec, exec, s[10:11]
	s_cbranch_execnz .LBB84_29
; %bb.30:
	s_or_b64 exec, exec, s[10:11]
.LBB84_31:
	s_or_b64 exec, exec, s[8:9]
	s_mov_b64 s[0:1], 0xbf
	v_cmp_lt_u64_e32 vcc, s[0:1], v[9:10]
	s_and_saveexec_b64 s[0:1], vcc
	s_cbranch_execz .LBB84_35
; %bb.32:
	v_lshlrev_b64 v[9:10], 2, v[0:1]
	v_mov_b32_e32 v11, s13
	v_add_co_u32_e32 v9, vcc, s12, v9
	v_addc_co_u32_e32 v10, vcc, v11, v10, vcc
	v_add_co_u32_e32 v9, vcc, 0x200, v9
	v_addc_co_u32_e32 v10, vcc, 0, v10, vcc
	s_mov_b64 s[8:9], 0
	v_mov_b32_e32 v11, s7
	s_movk_i32 s7, 0x1000
.LBB84_33:                              ; =>This Inner Loop Header: Depth=1
	global_load_dword v12, v[9:10], off offset:-512
	s_waitcnt vmcnt(0)
	v_subrev_u32_e32 v12, s20, v12
	v_lshlrev_b32_e32 v16, 2, v12
	v_ashrrev_i32_e32 v17, 31, v16
	v_add_co_u32_e32 v16, vcc, s6, v16
	v_addc_co_u32_e32 v17, vcc, v11, v17, vcc
	global_load_dwordx4 v[12:15], v[5:6], off
	s_waitcnt vmcnt(0)
	v_cvt_f32_i32_sdwa v18, sext(v12) dst_sel:DWORD dst_unused:UNUSED_PAD src0_sel:BYTE_0
	global_load_dword v16, v[16:17], off
	s_waitcnt vmcnt(0)
	v_cvt_f32_i32_sdwa v17, sext(v16) dst_sel:DWORD dst_unused:UNUSED_PAD src0_sel:BYTE_0
	v_fmac_f32_e32 v8, v18, v17
	v_cvt_f32_i32_sdwa v18, sext(v12) dst_sel:DWORD dst_unused:UNUSED_PAD src0_sel:BYTE_1
	v_fmac_f32_e32 v23, v18, v17
	v_cvt_f32_i32_sdwa v18, sext(v12) dst_sel:DWORD dst_unused:UNUSED_PAD src0_sel:BYTE_2
	v_cvt_f32_i32_sdwa v12, sext(v12) dst_sel:DWORD dst_unused:UNUSED_PAD src0_sel:BYTE_3
	v_fmac_f32_e32 v22, v18, v17
	v_fmac_f32_e32 v7, v12, v17
	v_cvt_f32_i32_sdwa v12, sext(v13) dst_sel:DWORD dst_unused:UNUSED_PAD src0_sel:BYTE_0
	v_cvt_f32_i32_sdwa v17, sext(v16) dst_sel:DWORD dst_unused:UNUSED_PAD src0_sel:BYTE_1
	v_fmac_f32_e32 v8, v12, v17
	v_cvt_f32_i32_sdwa v12, sext(v13) dst_sel:DWORD dst_unused:UNUSED_PAD src0_sel:BYTE_1
	v_fmac_f32_e32 v23, v12, v17
	v_cvt_f32_i32_sdwa v12, sext(v13) dst_sel:DWORD dst_unused:UNUSED_PAD src0_sel:BYTE_2
	v_fmac_f32_e32 v22, v12, v17
	v_cvt_f32_i32_sdwa v12, sext(v13) dst_sel:DWORD dst_unused:UNUSED_PAD src0_sel:BYTE_3
	v_cvt_f32_i32_sdwa v13, sext(v16) dst_sel:DWORD dst_unused:UNUSED_PAD src0_sel:BYTE_2
	v_fmac_f32_e32 v7, v12, v17
	v_cvt_f32_i32_sdwa v12, sext(v14) dst_sel:DWORD dst_unused:UNUSED_PAD src0_sel:BYTE_0
	v_fmac_f32_e32 v8, v12, v13
	v_cvt_f32_i32_sdwa v12, sext(v14) dst_sel:DWORD dst_unused:UNUSED_PAD src0_sel:BYTE_1
	v_fmac_f32_e32 v23, v12, v13
	v_cvt_f32_i32_sdwa v12, sext(v14) dst_sel:DWORD dst_unused:UNUSED_PAD src0_sel:BYTE_2
	v_fmac_f32_e32 v22, v12, v13
	v_cvt_f32_i32_sdwa v12, sext(v14) dst_sel:DWORD dst_unused:UNUSED_PAD src0_sel:BYTE_3
	v_fmac_f32_e32 v7, v12, v13
	v_cvt_f32_i32_sdwa v12, sext(v15) dst_sel:DWORD dst_unused:UNUSED_PAD src0_sel:BYTE_0
	v_cvt_f32_i32_sdwa v13, sext(v16) dst_sel:DWORD dst_unused:UNUSED_PAD src0_sel:BYTE_3
	v_fmac_f32_e32 v8, v12, v13
	v_cvt_f32_i32_sdwa v12, sext(v15) dst_sel:DWORD dst_unused:UNUSED_PAD src0_sel:BYTE_1
	v_fmac_f32_e32 v23, v12, v13
	v_cvt_f32_i32_sdwa v12, sext(v15) dst_sel:DWORD dst_unused:UNUSED_PAD src0_sel:BYTE_2
	v_fmac_f32_e32 v22, v12, v13
	v_cvt_f32_i32_sdwa v12, sext(v15) dst_sel:DWORD dst_unused:UNUSED_PAD src0_sel:BYTE_3
	v_fmac_f32_e32 v7, v12, v13
	global_load_dword v12, v[9:10], off offset:-256
	s_waitcnt vmcnt(0)
	v_subrev_u32_e32 v12, s20, v12
	v_lshlrev_b32_e32 v16, 2, v12
	v_ashrrev_i32_e32 v17, 31, v16
	v_add_co_u32_e32 v16, vcc, s6, v16
	v_addc_co_u32_e32 v17, vcc, v11, v17, vcc
	global_load_dwordx4 v[12:15], v[5:6], off offset:1024
	s_waitcnt vmcnt(0)
	v_cvt_f32_i32_sdwa v18, sext(v12) dst_sel:DWORD dst_unused:UNUSED_PAD src0_sel:BYTE_0
	global_load_dword v16, v[16:17], off
	s_waitcnt vmcnt(0)
	v_cvt_f32_i32_sdwa v17, sext(v16) dst_sel:DWORD dst_unused:UNUSED_PAD src0_sel:BYTE_0
	v_fmac_f32_e32 v8, v18, v17
	v_cvt_f32_i32_sdwa v18, sext(v12) dst_sel:DWORD dst_unused:UNUSED_PAD src0_sel:BYTE_1
	v_fmac_f32_e32 v23, v18, v17
	v_cvt_f32_i32_sdwa v18, sext(v12) dst_sel:DWORD dst_unused:UNUSED_PAD src0_sel:BYTE_2
	v_cvt_f32_i32_sdwa v12, sext(v12) dst_sel:DWORD dst_unused:UNUSED_PAD src0_sel:BYTE_3
	v_fmac_f32_e32 v22, v18, v17
	v_fmac_f32_e32 v7, v12, v17
	v_cvt_f32_i32_sdwa v12, sext(v13) dst_sel:DWORD dst_unused:UNUSED_PAD src0_sel:BYTE_0
	v_cvt_f32_i32_sdwa v17, sext(v16) dst_sel:DWORD dst_unused:UNUSED_PAD src0_sel:BYTE_1
	v_fmac_f32_e32 v8, v12, v17
	v_cvt_f32_i32_sdwa v12, sext(v13) dst_sel:DWORD dst_unused:UNUSED_PAD src0_sel:BYTE_1
	v_fmac_f32_e32 v23, v12, v17
	v_cvt_f32_i32_sdwa v12, sext(v13) dst_sel:DWORD dst_unused:UNUSED_PAD src0_sel:BYTE_2
	v_fmac_f32_e32 v22, v12, v17
	v_cvt_f32_i32_sdwa v12, sext(v13) dst_sel:DWORD dst_unused:UNUSED_PAD src0_sel:BYTE_3
	v_cvt_f32_i32_sdwa v13, sext(v16) dst_sel:DWORD dst_unused:UNUSED_PAD src0_sel:BYTE_2
	v_fmac_f32_e32 v7, v12, v17
	v_cvt_f32_i32_sdwa v12, sext(v14) dst_sel:DWORD dst_unused:UNUSED_PAD src0_sel:BYTE_0
	v_fmac_f32_e32 v8, v12, v13
	v_cvt_f32_i32_sdwa v12, sext(v14) dst_sel:DWORD dst_unused:UNUSED_PAD src0_sel:BYTE_1
	v_fmac_f32_e32 v23, v12, v13
	v_cvt_f32_i32_sdwa v12, sext(v14) dst_sel:DWORD dst_unused:UNUSED_PAD src0_sel:BYTE_2
	v_fmac_f32_e32 v22, v12, v13
	v_cvt_f32_i32_sdwa v12, sext(v14) dst_sel:DWORD dst_unused:UNUSED_PAD src0_sel:BYTE_3
	v_fmac_f32_e32 v7, v12, v13
	v_cvt_f32_i32_sdwa v12, sext(v15) dst_sel:DWORD dst_unused:UNUSED_PAD src0_sel:BYTE_0
	v_cvt_f32_i32_sdwa v13, sext(v16) dst_sel:DWORD dst_unused:UNUSED_PAD src0_sel:BYTE_3
	v_fmac_f32_e32 v8, v12, v13
	v_cvt_f32_i32_sdwa v12, sext(v15) dst_sel:DWORD dst_unused:UNUSED_PAD src0_sel:BYTE_1
	v_fmac_f32_e32 v23, v12, v13
	v_cvt_f32_i32_sdwa v12, sext(v15) dst_sel:DWORD dst_unused:UNUSED_PAD src0_sel:BYTE_2
	v_fmac_f32_e32 v22, v12, v13
	v_cvt_f32_i32_sdwa v12, sext(v15) dst_sel:DWORD dst_unused:UNUSED_PAD src0_sel:BYTE_3
	v_fmac_f32_e32 v7, v12, v13
	global_load_dword v12, v[9:10], off
	s_waitcnt vmcnt(0)
	v_subrev_u32_e32 v12, s20, v12
	v_lshlrev_b32_e32 v16, 2, v12
	v_ashrrev_i32_e32 v17, 31, v16
	v_add_co_u32_e32 v16, vcc, s6, v16
	v_addc_co_u32_e32 v17, vcc, v11, v17, vcc
	global_load_dwordx4 v[12:15], v[5:6], off offset:2048
	s_waitcnt vmcnt(0)
	v_cvt_f32_i32_sdwa v18, sext(v12) dst_sel:DWORD dst_unused:UNUSED_PAD src0_sel:BYTE_0
	global_load_dword v16, v[16:17], off
	s_waitcnt vmcnt(0)
	v_cvt_f32_i32_sdwa v17, sext(v16) dst_sel:DWORD dst_unused:UNUSED_PAD src0_sel:BYTE_0
	v_fmac_f32_e32 v8, v18, v17
	v_cvt_f32_i32_sdwa v18, sext(v12) dst_sel:DWORD dst_unused:UNUSED_PAD src0_sel:BYTE_1
	v_fmac_f32_e32 v23, v18, v17
	v_cvt_f32_i32_sdwa v18, sext(v12) dst_sel:DWORD dst_unused:UNUSED_PAD src0_sel:BYTE_2
	v_cvt_f32_i32_sdwa v12, sext(v12) dst_sel:DWORD dst_unused:UNUSED_PAD src0_sel:BYTE_3
	v_fmac_f32_e32 v22, v18, v17
	v_fmac_f32_e32 v7, v12, v17
	v_cvt_f32_i32_sdwa v12, sext(v13) dst_sel:DWORD dst_unused:UNUSED_PAD src0_sel:BYTE_0
	v_cvt_f32_i32_sdwa v17, sext(v16) dst_sel:DWORD dst_unused:UNUSED_PAD src0_sel:BYTE_1
	v_fmac_f32_e32 v8, v12, v17
	v_cvt_f32_i32_sdwa v12, sext(v13) dst_sel:DWORD dst_unused:UNUSED_PAD src0_sel:BYTE_1
	v_fmac_f32_e32 v23, v12, v17
	v_cvt_f32_i32_sdwa v12, sext(v13) dst_sel:DWORD dst_unused:UNUSED_PAD src0_sel:BYTE_2
	v_fmac_f32_e32 v22, v12, v17
	v_cvt_f32_i32_sdwa v12, sext(v13) dst_sel:DWORD dst_unused:UNUSED_PAD src0_sel:BYTE_3
	v_cvt_f32_i32_sdwa v13, sext(v16) dst_sel:DWORD dst_unused:UNUSED_PAD src0_sel:BYTE_2
	v_fmac_f32_e32 v7, v12, v17
	v_cvt_f32_i32_sdwa v12, sext(v14) dst_sel:DWORD dst_unused:UNUSED_PAD src0_sel:BYTE_0
	v_fmac_f32_e32 v8, v12, v13
	v_cvt_f32_i32_sdwa v12, sext(v14) dst_sel:DWORD dst_unused:UNUSED_PAD src0_sel:BYTE_1
	v_fmac_f32_e32 v23, v12, v13
	v_cvt_f32_i32_sdwa v12, sext(v14) dst_sel:DWORD dst_unused:UNUSED_PAD src0_sel:BYTE_2
	v_fmac_f32_e32 v22, v12, v13
	v_cvt_f32_i32_sdwa v12, sext(v14) dst_sel:DWORD dst_unused:UNUSED_PAD src0_sel:BYTE_3
	v_fmac_f32_e32 v7, v12, v13
	v_cvt_f32_i32_sdwa v12, sext(v15) dst_sel:DWORD dst_unused:UNUSED_PAD src0_sel:BYTE_0
	v_cvt_f32_i32_sdwa v13, sext(v16) dst_sel:DWORD dst_unused:UNUSED_PAD src0_sel:BYTE_3
	v_fmac_f32_e32 v8, v12, v13
	v_cvt_f32_i32_sdwa v12, sext(v15) dst_sel:DWORD dst_unused:UNUSED_PAD src0_sel:BYTE_1
	v_fmac_f32_e32 v23, v12, v13
	v_cvt_f32_i32_sdwa v12, sext(v15) dst_sel:DWORD dst_unused:UNUSED_PAD src0_sel:BYTE_2
	v_fmac_f32_e32 v22, v12, v13
	v_cvt_f32_i32_sdwa v12, sext(v15) dst_sel:DWORD dst_unused:UNUSED_PAD src0_sel:BYTE_3
	v_fmac_f32_e32 v7, v12, v13
	global_load_dword v12, v[9:10], off offset:256
	s_waitcnt vmcnt(0)
	v_subrev_u32_e32 v12, s20, v12
	v_lshlrev_b32_e32 v16, 2, v12
	v_ashrrev_i32_e32 v17, 31, v16
	v_add_co_u32_e32 v16, vcc, s6, v16
	v_addc_co_u32_e32 v17, vcc, v11, v17, vcc
	global_load_dwordx4 v[12:15], v[5:6], off offset:3072
	v_add_co_u32_e32 v5, vcc, s7, v5
	global_load_dword v16, v[16:17], off
	v_addc_co_u32_e32 v6, vcc, 0, v6, vcc
	v_add_co_u32_e32 v0, vcc, 0x100, v0
	v_addc_co_u32_e32 v1, vcc, 0, v1, vcc
	v_add_co_u32_e32 v9, vcc, 0x400, v9
	v_addc_co_u32_e32 v10, vcc, 0, v10, vcc
	v_cmp_ge_i64_e32 vcc, v[0:1], v[2:3]
	s_or_b64 s[8:9], vcc, s[8:9]
	s_waitcnt vmcnt(1)
	v_cvt_f32_i32_sdwa v18, sext(v12) dst_sel:DWORD dst_unused:UNUSED_PAD src0_sel:BYTE_0
	s_waitcnt vmcnt(0)
	v_cvt_f32_i32_sdwa v17, sext(v16) dst_sel:DWORD dst_unused:UNUSED_PAD src0_sel:BYTE_0
	v_fmac_f32_e32 v8, v18, v17
	v_cvt_f32_i32_sdwa v18, sext(v12) dst_sel:DWORD dst_unused:UNUSED_PAD src0_sel:BYTE_1
	v_fmac_f32_e32 v23, v18, v17
	v_cvt_f32_i32_sdwa v18, sext(v12) dst_sel:DWORD dst_unused:UNUSED_PAD src0_sel:BYTE_2
	v_cvt_f32_i32_sdwa v12, sext(v12) dst_sel:DWORD dst_unused:UNUSED_PAD src0_sel:BYTE_3
	v_fmac_f32_e32 v22, v18, v17
	v_fmac_f32_e32 v7, v12, v17
	v_cvt_f32_i32_sdwa v12, sext(v13) dst_sel:DWORD dst_unused:UNUSED_PAD src0_sel:BYTE_0
	v_cvt_f32_i32_sdwa v17, sext(v16) dst_sel:DWORD dst_unused:UNUSED_PAD src0_sel:BYTE_1
	v_fmac_f32_e32 v8, v12, v17
	v_cvt_f32_i32_sdwa v12, sext(v13) dst_sel:DWORD dst_unused:UNUSED_PAD src0_sel:BYTE_1
	v_fmac_f32_e32 v23, v12, v17
	v_cvt_f32_i32_sdwa v12, sext(v13) dst_sel:DWORD dst_unused:UNUSED_PAD src0_sel:BYTE_2
	v_fmac_f32_e32 v22, v12, v17
	v_cvt_f32_i32_sdwa v12, sext(v13) dst_sel:DWORD dst_unused:UNUSED_PAD src0_sel:BYTE_3
	v_cvt_f32_i32_sdwa v13, sext(v16) dst_sel:DWORD dst_unused:UNUSED_PAD src0_sel:BYTE_2
	v_fmac_f32_e32 v7, v12, v17
	v_cvt_f32_i32_sdwa v12, sext(v14) dst_sel:DWORD dst_unused:UNUSED_PAD src0_sel:BYTE_0
	v_fmac_f32_e32 v8, v12, v13
	v_cvt_f32_i32_sdwa v12, sext(v14) dst_sel:DWORD dst_unused:UNUSED_PAD src0_sel:BYTE_1
	v_fmac_f32_e32 v23, v12, v13
	v_cvt_f32_i32_sdwa v12, sext(v14) dst_sel:DWORD dst_unused:UNUSED_PAD src0_sel:BYTE_2
	v_fmac_f32_e32 v22, v12, v13
	v_cvt_f32_i32_sdwa v12, sext(v14) dst_sel:DWORD dst_unused:UNUSED_PAD src0_sel:BYTE_3
	v_fmac_f32_e32 v7, v12, v13
	v_cvt_f32_i32_sdwa v12, sext(v15) dst_sel:DWORD dst_unused:UNUSED_PAD src0_sel:BYTE_0
	v_cvt_f32_i32_sdwa v13, sext(v16) dst_sel:DWORD dst_unused:UNUSED_PAD src0_sel:BYTE_3
	v_fmac_f32_e32 v8, v12, v13
	v_cvt_f32_i32_sdwa v12, sext(v15) dst_sel:DWORD dst_unused:UNUSED_PAD src0_sel:BYTE_1
	v_fmac_f32_e32 v23, v12, v13
	v_cvt_f32_i32_sdwa v12, sext(v15) dst_sel:DWORD dst_unused:UNUSED_PAD src0_sel:BYTE_2
	v_fmac_f32_e32 v22, v12, v13
	v_cvt_f32_i32_sdwa v12, sext(v15) dst_sel:DWORD dst_unused:UNUSED_PAD src0_sel:BYTE_3
	v_fmac_f32_e32 v7, v12, v13
	s_andn2_b64 exec, exec, s[8:9]
	s_cbranch_execnz .LBB84_33
; %bb.34:
	s_or_b64 exec, exec, s[8:9]
.LBB84_35:
	s_or_b64 exec, exec, s[0:1]
.LBB84_36:
	s_or_b64 exec, exec, s[2:3]
.LBB84_37:
	v_mov_b32_dpp v0, v8 row_shr:1 row_mask:0xf bank_mask:0xf
	v_add_f32_e32 v0, v8, v0
	v_mov_b32_dpp v2, v23 row_shr:1 row_mask:0xf bank_mask:0xf
	v_mov_b32_dpp v5, v22 row_shr:1 row_mask:0xf bank_mask:0xf
	v_mov_b32_dpp v8, v7 row_shr:1 row_mask:0xf bank_mask:0xf
	v_add_f32_e32 v2, v23, v2
	v_add_f32_e32 v5, v22, v5
	v_add_f32_e32 v7, v7, v8
	v_mov_b32_dpp v1, v0 row_shr:2 row_mask:0xf bank_mask:0xf
	v_mov_b32_dpp v3, v2 row_shr:2 row_mask:0xf bank_mask:0xf
	v_mov_b32_dpp v6, v5 row_shr:2 row_mask:0xf bank_mask:0xf
	v_mov_b32_dpp v8, v7 row_shr:2 row_mask:0xf bank_mask:0xf
	v_add_f32_e32 v0, v0, v1
	v_add_f32_e32 v2, v2, v3
	v_add_f32_e32 v5, v5, v6
	v_add_f32_e32 v7, v7, v8
	v_mov_b32_dpp v1, v0 row_shr:4 row_mask:0xf bank_mask:0xe
	v_mov_b32_dpp v3, v2 row_shr:4 row_mask:0xf bank_mask:0xe
	v_mov_b32_dpp v6, v5 row_shr:4 row_mask:0xf bank_mask:0xe
	v_mov_b32_dpp v8, v7 row_shr:4 row_mask:0xf bank_mask:0xe
	v_add_f32_e32 v0, v0, v1
	;; [unrolled: 8-line block ×3, first 2 shown]
	v_add_f32_e32 v2, v2, v3
	v_add_f32_e32 v5, v5, v6
	;; [unrolled: 1-line block ×3, first 2 shown]
	v_mov_b32_dpp v1, v0 row_bcast:15 row_mask:0xa bank_mask:0xf
	v_mov_b32_dpp v3, v2 row_bcast:15 row_mask:0xa bank_mask:0xf
	;; [unrolled: 1-line block ×4, first 2 shown]
	v_add_f32_e32 v0, v0, v1
	v_add_f32_e32 v2, v2, v3
	;; [unrolled: 1-line block ×4, first 2 shown]
	v_mov_b32_dpp v1, v0 row_bcast:31 row_mask:0xc bank_mask:0xf
	v_mov_b32_dpp v3, v2 row_bcast:31 row_mask:0xc bank_mask:0xf
	;; [unrolled: 1-line block ×4, first 2 shown]
	v_cmp_eq_u32_e32 vcc, 63, v21
	s_and_b64 exec, exec, vcc
	s_cbranch_execz .LBB84_10
; %bb.38:
	s_load_dwordx2 s[0:1], s[4:5], 0x50
	v_add_f32_e32 v0, v0, v1
	v_add_f32_e32 v1, v2, v3
	;; [unrolled: 1-line block ×4, first 2 shown]
	v_cmp_eq_f32_e64 s[2:3], s16, 0
	s_and_b64 vcc, exec, s[2:3]
	v_mul_f32_e32 v0, s18, v0
	v_mul_f32_e32 v1, s18, v1
	;; [unrolled: 1-line block ×4, first 2 shown]
	v_lshlrev_b32_e32 v4, 2, v4
	s_cbranch_vccz .LBB84_40
; %bb.39:
	v_ashrrev_i32_e32 v5, 31, v4
	v_lshlrev_b64 v[5:6], 2, v[4:5]
	s_waitcnt lgkmcnt(0)
	v_mov_b32_e32 v7, s1
	v_add_co_u32_e32 v5, vcc, s0, v5
	v_addc_co_u32_e32 v6, vcc, v7, v6, vcc
	global_store_dwordx4 v[5:6], v[0:3], off
	s_cbranch_execnz .LBB84_10
	s_branch .LBB84_41
.LBB84_40:
.LBB84_41:
	v_ashrrev_i32_e32 v5, 31, v4
	v_lshlrev_b64 v[4:5], 2, v[4:5]
	s_waitcnt lgkmcnt(0)
	v_mov_b32_e32 v6, s1
	v_add_co_u32_e32 v8, vcc, s0, v4
	v_addc_co_u32_e32 v9, vcc, v6, v5, vcc
	global_load_dwordx4 v[4:7], v[8:9], off
	s_waitcnt vmcnt(0)
	v_fmac_f32_e32 v0, s16, v4
	v_fmac_f32_e32 v1, s16, v5
	;; [unrolled: 1-line block ×4, first 2 shown]
	global_store_dwordx4 v[8:9], v[0:3], off
	s_endpgm
	.section	.rodata,"a",@progbits
	.p2align	6, 0x0
	.amdhsa_kernel _ZN9rocsparseL18bsrxmvn_4x4_kernelILj128ELj64EfliaafEEvT3_20rocsparse_direction_NS_24const_host_device_scalarIT1_EES1_PKS1_PKT2_SA_S7_PKT4_PKT5_S5_PT6_21rocsparse_index_base_b
		.amdhsa_group_segment_fixed_size 0
		.amdhsa_private_segment_fixed_size 0
		.amdhsa_kernarg_size 96
		.amdhsa_user_sgpr_count 6
		.amdhsa_user_sgpr_private_segment_buffer 1
		.amdhsa_user_sgpr_dispatch_ptr 0
		.amdhsa_user_sgpr_queue_ptr 0
		.amdhsa_user_sgpr_kernarg_segment_ptr 1
		.amdhsa_user_sgpr_dispatch_id 0
		.amdhsa_user_sgpr_flat_scratch_init 0
		.amdhsa_user_sgpr_private_segment_size 0
		.amdhsa_uses_dynamic_stack 0
		.amdhsa_system_sgpr_private_segment_wavefront_offset 0
		.amdhsa_system_sgpr_workgroup_id_x 1
		.amdhsa_system_sgpr_workgroup_id_y 0
		.amdhsa_system_sgpr_workgroup_id_z 0
		.amdhsa_system_sgpr_workgroup_info 0
		.amdhsa_system_vgpr_workitem_id 0
		.amdhsa_next_free_vgpr 45
		.amdhsa_next_free_sgpr 22
		.amdhsa_reserve_vcc 1
		.amdhsa_reserve_flat_scratch 0
		.amdhsa_float_round_mode_32 0
		.amdhsa_float_round_mode_16_64 0
		.amdhsa_float_denorm_mode_32 3
		.amdhsa_float_denorm_mode_16_64 3
		.amdhsa_dx10_clamp 1
		.amdhsa_ieee_mode 1
		.amdhsa_fp16_overflow 0
		.amdhsa_exception_fp_ieee_invalid_op 0
		.amdhsa_exception_fp_denorm_src 0
		.amdhsa_exception_fp_ieee_div_zero 0
		.amdhsa_exception_fp_ieee_overflow 0
		.amdhsa_exception_fp_ieee_underflow 0
		.amdhsa_exception_fp_ieee_inexact 0
		.amdhsa_exception_int_div_zero 0
	.end_amdhsa_kernel
	.section	.text._ZN9rocsparseL18bsrxmvn_4x4_kernelILj128ELj64EfliaafEEvT3_20rocsparse_direction_NS_24const_host_device_scalarIT1_EES1_PKS1_PKT2_SA_S7_PKT4_PKT5_S5_PT6_21rocsparse_index_base_b,"axG",@progbits,_ZN9rocsparseL18bsrxmvn_4x4_kernelILj128ELj64EfliaafEEvT3_20rocsparse_direction_NS_24const_host_device_scalarIT1_EES1_PKS1_PKT2_SA_S7_PKT4_PKT5_S5_PT6_21rocsparse_index_base_b,comdat
.Lfunc_end84:
	.size	_ZN9rocsparseL18bsrxmvn_4x4_kernelILj128ELj64EfliaafEEvT3_20rocsparse_direction_NS_24const_host_device_scalarIT1_EES1_PKS1_PKT2_SA_S7_PKT4_PKT5_S5_PT6_21rocsparse_index_base_b, .Lfunc_end84-_ZN9rocsparseL18bsrxmvn_4x4_kernelILj128ELj64EfliaafEEvT3_20rocsparse_direction_NS_24const_host_device_scalarIT1_EES1_PKS1_PKT2_SA_S7_PKT4_PKT5_S5_PT6_21rocsparse_index_base_b
                                        ; -- End function
	.set _ZN9rocsparseL18bsrxmvn_4x4_kernelILj128ELj64EfliaafEEvT3_20rocsparse_direction_NS_24const_host_device_scalarIT1_EES1_PKS1_PKT2_SA_S7_PKT4_PKT5_S5_PT6_21rocsparse_index_base_b.num_vgpr, 45
	.set _ZN9rocsparseL18bsrxmvn_4x4_kernelILj128ELj64EfliaafEEvT3_20rocsparse_direction_NS_24const_host_device_scalarIT1_EES1_PKS1_PKT2_SA_S7_PKT4_PKT5_S5_PT6_21rocsparse_index_base_b.num_agpr, 0
	.set _ZN9rocsparseL18bsrxmvn_4x4_kernelILj128ELj64EfliaafEEvT3_20rocsparse_direction_NS_24const_host_device_scalarIT1_EES1_PKS1_PKT2_SA_S7_PKT4_PKT5_S5_PT6_21rocsparse_index_base_b.numbered_sgpr, 22
	.set _ZN9rocsparseL18bsrxmvn_4x4_kernelILj128ELj64EfliaafEEvT3_20rocsparse_direction_NS_24const_host_device_scalarIT1_EES1_PKS1_PKT2_SA_S7_PKT4_PKT5_S5_PT6_21rocsparse_index_base_b.num_named_barrier, 0
	.set _ZN9rocsparseL18bsrxmvn_4x4_kernelILj128ELj64EfliaafEEvT3_20rocsparse_direction_NS_24const_host_device_scalarIT1_EES1_PKS1_PKT2_SA_S7_PKT4_PKT5_S5_PT6_21rocsparse_index_base_b.private_seg_size, 0
	.set _ZN9rocsparseL18bsrxmvn_4x4_kernelILj128ELj64EfliaafEEvT3_20rocsparse_direction_NS_24const_host_device_scalarIT1_EES1_PKS1_PKT2_SA_S7_PKT4_PKT5_S5_PT6_21rocsparse_index_base_b.uses_vcc, 1
	.set _ZN9rocsparseL18bsrxmvn_4x4_kernelILj128ELj64EfliaafEEvT3_20rocsparse_direction_NS_24const_host_device_scalarIT1_EES1_PKS1_PKT2_SA_S7_PKT4_PKT5_S5_PT6_21rocsparse_index_base_b.uses_flat_scratch, 0
	.set _ZN9rocsparseL18bsrxmvn_4x4_kernelILj128ELj64EfliaafEEvT3_20rocsparse_direction_NS_24const_host_device_scalarIT1_EES1_PKS1_PKT2_SA_S7_PKT4_PKT5_S5_PT6_21rocsparse_index_base_b.has_dyn_sized_stack, 0
	.set _ZN9rocsparseL18bsrxmvn_4x4_kernelILj128ELj64EfliaafEEvT3_20rocsparse_direction_NS_24const_host_device_scalarIT1_EES1_PKS1_PKT2_SA_S7_PKT4_PKT5_S5_PT6_21rocsparse_index_base_b.has_recursion, 0
	.set _ZN9rocsparseL18bsrxmvn_4x4_kernelILj128ELj64EfliaafEEvT3_20rocsparse_direction_NS_24const_host_device_scalarIT1_EES1_PKS1_PKT2_SA_S7_PKT4_PKT5_S5_PT6_21rocsparse_index_base_b.has_indirect_call, 0
	.section	.AMDGPU.csdata,"",@progbits
; Kernel info:
; codeLenInByte = 4560
; TotalNumSgprs: 26
; NumVgprs: 45
; ScratchSize: 0
; MemoryBound: 0
; FloatMode: 240
; IeeeMode: 1
; LDSByteSize: 0 bytes/workgroup (compile time only)
; SGPRBlocks: 3
; VGPRBlocks: 11
; NumSGPRsForWavesPerEU: 26
; NumVGPRsForWavesPerEU: 45
; Occupancy: 5
; WaveLimiterHint : 1
; COMPUTE_PGM_RSRC2:SCRATCH_EN: 0
; COMPUTE_PGM_RSRC2:USER_SGPR: 6
; COMPUTE_PGM_RSRC2:TRAP_HANDLER: 0
; COMPUTE_PGM_RSRC2:TGID_X_EN: 1
; COMPUTE_PGM_RSRC2:TGID_Y_EN: 0
; COMPUTE_PGM_RSRC2:TGID_Z_EN: 0
; COMPUTE_PGM_RSRC2:TIDIG_COMP_CNT: 0
	.section	.text._ZN9rocsparseL18bsrxmvn_4x4_kernelILj128ELj4EfllaafEEvT3_20rocsparse_direction_NS_24const_host_device_scalarIT1_EES1_PKS1_PKT2_SA_S7_PKT4_PKT5_S5_PT6_21rocsparse_index_base_b,"axG",@progbits,_ZN9rocsparseL18bsrxmvn_4x4_kernelILj128ELj4EfllaafEEvT3_20rocsparse_direction_NS_24const_host_device_scalarIT1_EES1_PKS1_PKT2_SA_S7_PKT4_PKT5_S5_PT6_21rocsparse_index_base_b,comdat
	.globl	_ZN9rocsparseL18bsrxmvn_4x4_kernelILj128ELj4EfllaafEEvT3_20rocsparse_direction_NS_24const_host_device_scalarIT1_EES1_PKS1_PKT2_SA_S7_PKT4_PKT5_S5_PT6_21rocsparse_index_base_b ; -- Begin function _ZN9rocsparseL18bsrxmvn_4x4_kernelILj128ELj4EfllaafEEvT3_20rocsparse_direction_NS_24const_host_device_scalarIT1_EES1_PKS1_PKT2_SA_S7_PKT4_PKT5_S5_PT6_21rocsparse_index_base_b
	.p2align	8
	.type	_ZN9rocsparseL18bsrxmvn_4x4_kernelILj128ELj4EfllaafEEvT3_20rocsparse_direction_NS_24const_host_device_scalarIT1_EES1_PKS1_PKT2_SA_S7_PKT4_PKT5_S5_PT6_21rocsparse_index_base_b,@function
_ZN9rocsparseL18bsrxmvn_4x4_kernelILj128ELj4EfllaafEEvT3_20rocsparse_direction_NS_24const_host_device_scalarIT1_EES1_PKS1_PKT2_SA_S7_PKT4_PKT5_S5_PT6_21rocsparse_index_base_b: ; @_ZN9rocsparseL18bsrxmvn_4x4_kernelILj128ELj4EfllaafEEvT3_20rocsparse_direction_NS_24const_host_device_scalarIT1_EES1_PKS1_PKT2_SA_S7_PKT4_PKT5_S5_PT6_21rocsparse_index_base_b
; %bb.0:
	s_load_dwordx2 s[0:1], s[4:5], 0x60
	s_load_dwordx4 s[16:19], s[4:5], 0x10
	s_load_dwordx2 s[2:3], s[4:5], 0x50
	s_waitcnt lgkmcnt(0)
	s_bitcmp1_b32 s1, 0
	s_cselect_b64 s[10:11], -1, 0
	s_xor_b64 s[8:9], s[10:11], -1
	s_and_b64 vcc, exec, s[10:11]
	s_cbranch_vccnz .LBB85_2
; %bb.1:
	s_load_dword s16, s[16:17], 0x0
.LBB85_2:
	s_andn2_b64 vcc, exec, s[8:9]
	s_cbranch_vccnz .LBB85_4
; %bb.3:
	s_load_dword s2, s[2:3], 0x0
.LBB85_4:
	s_waitcnt lgkmcnt(0)
	v_cmp_neq_f32_e64 s[8:9], s16, 0
	v_cmp_neq_f32_e64 s[10:11], s2, 1.0
	s_or_b64 s[8:9], s[8:9], s[10:11]
	s_andn2_b64 vcc, exec, s[8:9]
	s_cbranch_vccnz .LBB85_10
; %bb.5:
	s_load_dwordx2 s[10:11], s[4:5], 0x20
	v_lshrrev_b32_e32 v1, 2, v0
	v_lshl_or_b32 v6, s6, 5, v1
	v_mov_b32_e32 v7, 0
	s_mov_b64 s[6:7], 0
	s_waitcnt lgkmcnt(0)
	s_cmp_lg_u64 s[10:11], 0
	s_cbranch_scc0 .LBB85_11
; %bb.6:
	v_cmp_gt_i64_e32 vcc, s[18:19], v[6:7]
                                        ; implicit-def: $vgpr4_vgpr5
                                        ; implicit-def: $vgpr1_vgpr2
	s_and_saveexec_b64 s[8:9], vcc
	s_xor_b64 s[8:9], exec, s[8:9]
	s_cbranch_execz .LBB85_8
; %bb.7:
	v_lshlrev_b64 v[1:2], 3, v[6:7]
	v_mov_b32_e32 v3, s11
	v_add_co_u32_e32 v1, vcc, s10, v1
	v_addc_co_u32_e32 v2, vcc, v3, v2, vcc
	global_load_dwordx2 v[1:2], v[1:2], off
	s_mov_b32 s1, 0
	s_mov_b64 s[6:7], exec
	s_waitcnt vmcnt(0)
	v_subrev_co_u32_e32 v4, vcc, s0, v1
	v_subbrev_co_u32_e32 v5, vcc, 0, v2, vcc
	v_mov_b32_e32 v2, s1
	v_mov_b32_e32 v1, s0
.LBB85_8:
	s_or_b64 exec, exec, s[8:9]
.LBB85_9:
	s_and_saveexec_b64 s[0:1], s[6:7]
	s_cbranch_execnz .LBB85_15
.LBB85_10:
	s_endpgm
.LBB85_11:
                                        ; implicit-def: $vgpr4_vgpr5
                                        ; implicit-def: $vgpr1_vgpr2
	s_cbranch_execz .LBB85_9
; %bb.12:
	s_load_dwordx2 s[8:9], s[4:5], 0x0
	s_waitcnt lgkmcnt(0)
	v_cmp_gt_i64_e32 vcc, s[8:9], v[6:7]
	s_and_saveexec_b64 s[8:9], vcc
; %bb.13:
	s_mov_b32 s1, 0
	s_or_b64 s[6:7], s[6:7], exec
; %bb.14:
	s_or_b64 exec, exec, s[8:9]
	v_mov_b32_e32 v2, s1
	v_mov_b32_e32 v4, v6
	;; [unrolled: 1-line block ×4, first 2 shown]
	s_and_saveexec_b64 s[0:1], s[6:7]
	s_cbranch_execz .LBB85_10
.LBB85_15:
	s_load_dwordx8 s[8:15], s[4:5], 0x28
	v_lshlrev_b64 v[6:7], 3, v[4:5]
	v_and_b32_e32 v0, 3, v0
	s_waitcnt lgkmcnt(0)
	v_mov_b32_e32 v3, s9
	v_add_co_u32_e32 v8, vcc, s8, v6
	v_addc_co_u32_e32 v9, vcc, v3, v7, vcc
	v_add_co_u32_e32 v3, vcc, 8, v8
	global_load_dwordx2 v[14:15], v[8:9], off
	v_addc_co_u32_e32 v8, vcc, 0, v9, vcc
	v_mov_b32_e32 v9, s11
	v_add_co_u32_e32 v6, vcc, s10, v6
	s_cmp_eq_u64 s[10:11], 0
	v_addc_co_u32_e32 v7, vcc, v9, v7, vcc
	s_cselect_b64 vcc, -1, 0
	v_cndmask_b32_e32 v7, v7, v8, vcc
	v_cndmask_b32_e32 v6, v6, v3, vcc
	global_load_dwordx2 v[8:9], v[6:7], off
	s_load_dword s0, s[4:5], 0x8
	s_load_dwordx2 s[6:7], s[4:5], 0x48
	v_mov_b32_e32 v12, s15
	v_mov_b32_e32 v3, 0
	s_waitcnt lgkmcnt(0)
	s_cmp_eq_u32 s0, 1
	s_waitcnt vmcnt(1)
	v_sub_co_u32_e32 v6, vcc, v14, v1
	v_subb_co_u32_e32 v7, vcc, v15, v2, vcc
	v_add_co_u32_e32 v6, vcc, v6, v0
	v_addc_co_u32_e32 v7, vcc, 0, v7, vcc
	v_lshlrev_b64 v[10:11], 4, v[6:7]
	s_waitcnt vmcnt(0)
	v_sub_co_u32_e32 v8, vcc, v8, v1
	v_subb_co_u32_e32 v9, vcc, v9, v2, vcc
	v_cmp_lt_i64_e64 s[0:1], v[6:7], v[8:9]
	v_add_co_u32_e32 v10, vcc, s14, v10
	v_addc_co_u32_e32 v11, vcc, v12, v11, vcc
	s_cbranch_scc1 .LBB85_27
; %bb.16:
	v_mov_b32_e32 v12, 0
	v_mov_b32_e32 v26, 0
	;; [unrolled: 1-line block ×3, first 2 shown]
	s_and_saveexec_b64 s[8:9], s[0:1]
	s_cbranch_execz .LBB85_26
; %bb.17:
	v_or_b32_e32 v3, 4, v0
	v_sub_co_u32_e32 v3, vcc, v3, v1
	v_subb_co_u32_e32 v13, vcc, 0, v2, vcc
	v_add_co_u32_e32 v12, vcc, v3, v14
	v_addc_co_u32_e32 v13, vcc, v13, v15, vcc
	v_cmp_gt_i64_e32 vcc, v[12:13], v[8:9]
	v_not_b32_e32 v16, v14
	v_cndmask_b32_e32 v3, v9, v13, vcc
	v_cndmask_b32_e32 v12, v8, v12, vcc
	v_sub_co_u32_e32 v17, vcc, v1, v0
	v_subbrev_co_u32_e32 v18, vcc, 0, v2, vcc
	v_not_b32_e32 v13, v15
	v_add_co_u32_e32 v16, vcc, v17, v16
	v_addc_co_u32_e32 v13, vcc, v18, v13, vcc
	v_add_co_u32_e32 v20, vcc, v16, v12
	v_addc_co_u32_e32 v21, vcc, v13, v3, vcc
	v_and_b32_e32 v12, 12, v20
	v_mov_b32_e32 v13, 0
	v_cmp_ne_u64_e32 vcc, 12, v[12:13]
	v_mov_b32_e32 v17, v7
	v_mov_b32_e32 v19, v11
	;; [unrolled: 1-line block ×7, first 2 shown]
	s_and_saveexec_b64 s[10:11], vcc
	s_cbranch_execz .LBB85_21
; %bb.18:
	v_lshlrev_b64 v[12:13], 3, v[6:7]
	v_lshrrev_b32_e32 v3, 2, v20
	v_add_u32_e32 v3, 1, v3
	v_mov_b32_e32 v17, s13
	v_add_co_u32_e32 v22, vcc, s12, v12
	v_and_b32_e32 v16, 3, v3
	v_addc_co_u32_e32 v23, vcc, v17, v13, vcc
	v_sub_co_u32_e32 v24, vcc, 0, v16
	v_mov_b32_e32 v19, v11
	v_mov_b32_e32 v17, v7
	;; [unrolled: 1-line block ×3, first 2 shown]
	s_mov_b64 s[14:15], 0
	v_subb_co_u32_e64 v25, s[18:19], 0, 0, vcc
	v_mov_b32_e32 v27, s7
	v_mov_b32_e32 v18, v10
	;; [unrolled: 1-line block ×6, first 2 shown]
.LBB85_19:                              ; =>This Inner Loop Header: Depth=1
	global_load_dwordx2 v[32:33], v[22:23], off
	global_load_dwordx4 v[28:31], v[18:19], off
	s_waitcnt vmcnt(1)
	v_sub_co_u32_e32 v32, vcc, v32, v1
	v_subb_co_u32_e32 v33, vcc, v33, v2, vcc
	v_lshlrev_b64 v[32:33], 2, v[32:33]
	s_waitcnt vmcnt(0)
	v_cvt_f32_i32_sdwa v36, sext(v29) dst_sel:DWORD dst_unused:UNUSED_PAD src0_sel:BYTE_0
	v_add_co_u32_e32 v32, vcc, s6, v32
	v_addc_co_u32_e32 v33, vcc, v27, v33, vcc
	global_load_dword v32, v[32:33], off
	v_add_co_u32_e32 v18, vcc, 64, v18
	v_addc_co_u32_e32 v19, vcc, 0, v19, vcc
	v_add_co_u32_e32 v16, vcc, 4, v16
	v_addc_co_u32_e32 v17, vcc, 0, v17, vcc
	v_cvt_f32_i32_sdwa v33, sext(v28) dst_sel:DWORD dst_unused:UNUSED_PAD src0_sel:BYTE_0
	v_cvt_f32_i32_sdwa v39, sext(v30) dst_sel:DWORD dst_unused:UNUSED_PAD src0_sel:BYTE_0
	;; [unrolled: 1-line block ×3, first 2 shown]
	v_add_co_u32_e32 v22, vcc, 32, v22
	v_cvt_f32_i32_sdwa v34, sext(v28) dst_sel:DWORD dst_unused:UNUSED_PAD src0_sel:BYTE_1
	v_cvt_f32_i32_sdwa v37, sext(v29) dst_sel:DWORD dst_unused:UNUSED_PAD src0_sel:BYTE_1
	;; [unrolled: 1-line block ×4, first 2 shown]
	v_addc_co_u32_e32 v23, vcc, 0, v23, vcc
	v_cvt_f32_i32_sdwa v35, sext(v28) dst_sel:DWORD dst_unused:UNUSED_PAD src0_sel:BYTE_2
	v_cvt_f32_i32_sdwa v38, sext(v29) dst_sel:DWORD dst_unused:UNUSED_PAD src0_sel:BYTE_2
	;; [unrolled: 1-line block ×4, first 2 shown]
	v_add_co_u32_e32 v24, vcc, 1, v24
	v_cvt_f32_i32_sdwa v28, sext(v28) dst_sel:DWORD dst_unused:UNUSED_PAD src0_sel:BYTE_3
	v_cvt_f32_i32_sdwa v29, sext(v29) dst_sel:DWORD dst_unused:UNUSED_PAD src0_sel:BYTE_3
	;; [unrolled: 1-line block ×4, first 2 shown]
	v_addc_co_u32_e32 v25, vcc, 0, v25, vcc
	v_cmp_eq_u64_e32 vcc, 0, v[24:25]
	s_or_b64 s[14:15], vcc, s[14:15]
	s_waitcnt vmcnt(0)
	v_cvt_f32_i32_sdwa v45, sext(v32) dst_sel:DWORD dst_unused:UNUSED_PAD src0_sel:BYTE_0
	v_cvt_f32_i32_sdwa v46, sext(v32) dst_sel:DWORD dst_unused:UNUSED_PAD src0_sel:BYTE_1
	v_cvt_f32_i32_sdwa v47, sext(v32) dst_sel:DWORD dst_unused:UNUSED_PAD src0_sel:BYTE_2
	v_cvt_f32_i32_sdwa v32, sext(v32) dst_sel:DWORD dst_unused:UNUSED_PAD src0_sel:BYTE_3
	v_fmac_f32_e32 v13, v33, v45
	v_fmac_f32_e32 v26, v36, v45
	;; [unrolled: 1-line block ×16, first 2 shown]
	s_andn2_b64 exec, exec, s[14:15]
	s_cbranch_execnz .LBB85_19
; %bb.20:
	s_or_b64 exec, exec, s[14:15]
.LBB85_21:
	s_or_b64 exec, exec, s[10:11]
	v_cmp_lt_u64_e32 vcc, 11, v[20:21]
	s_and_saveexec_b64 s[10:11], vcc
	s_cbranch_execz .LBB85_25
; %bb.22:
	v_lshlrev_b64 v[20:21], 3, v[16:17]
	v_mov_b32_e32 v22, s13
	v_add_co_u32_e32 v20, vcc, s12, v20
	v_addc_co_u32_e32 v21, vcc, v22, v21, vcc
	v_add_co_u32_e32 v20, vcc, 64, v20
	v_addc_co_u32_e32 v21, vcc, 0, v21, vcc
	s_mov_b64 s[14:15], 0
	v_mov_b32_e32 v22, s7
	s_movk_i32 s3, 0x100
.LBB85_23:                              ; =>This Inner Loop Header: Depth=1
	global_load_dwordx2 v[23:24], v[20:21], off offset:-64
	global_load_dwordx4 v[27:30], v[18:19], off
	s_waitcnt vmcnt(1)
	v_sub_co_u32_e32 v23, vcc, v23, v1
	v_subb_co_u32_e32 v24, vcc, v24, v2, vcc
	v_lshlrev_b64 v[23:24], 2, v[23:24]
	s_waitcnt vmcnt(0)
	v_cvt_f32_i32_sdwa v25, sext(v27) dst_sel:DWORD dst_unused:UNUSED_PAD src0_sel:BYTE_0
	v_add_co_u32_e32 v23, vcc, s6, v23
	v_addc_co_u32_e32 v24, vcc, v22, v24, vcc
	global_load_dword v23, v[23:24], off
	s_waitcnt vmcnt(0)
	v_cvt_f32_i32_sdwa v24, sext(v23) dst_sel:DWORD dst_unused:UNUSED_PAD src0_sel:BYTE_0
	v_cvt_f32_i32_sdwa v31, sext(v23) dst_sel:DWORD dst_unused:UNUSED_PAD src0_sel:BYTE_1
	v_cvt_f32_i32_sdwa v32, sext(v23) dst_sel:DWORD dst_unused:UNUSED_PAD src0_sel:BYTE_2
	v_cvt_f32_i32_sdwa v23, sext(v23) dst_sel:DWORD dst_unused:UNUSED_PAD src0_sel:BYTE_3
	v_fmac_f32_e32 v13, v25, v24
	v_cvt_f32_i32_sdwa v25, sext(v27) dst_sel:DWORD dst_unused:UNUSED_PAD src0_sel:BYTE_1
	v_fmac_f32_e32 v13, v25, v31
	v_cvt_f32_i32_sdwa v25, sext(v27) dst_sel:DWORD dst_unused:UNUSED_PAD src0_sel:BYTE_2
	v_fmac_f32_e32 v13, v25, v32
	v_cvt_f32_i32_sdwa v25, sext(v27) dst_sel:DWORD dst_unused:UNUSED_PAD src0_sel:BYTE_3
	v_fmac_f32_e32 v13, v25, v23
	v_cvt_f32_i32_sdwa v25, sext(v28) dst_sel:DWORD dst_unused:UNUSED_PAD src0_sel:BYTE_0
	v_fmac_f32_e32 v26, v25, v24
	v_cvt_f32_i32_sdwa v25, sext(v28) dst_sel:DWORD dst_unused:UNUSED_PAD src0_sel:BYTE_1
	v_fmac_f32_e32 v26, v25, v31
	v_cvt_f32_i32_sdwa v25, sext(v28) dst_sel:DWORD dst_unused:UNUSED_PAD src0_sel:BYTE_2
	v_fmac_f32_e32 v26, v25, v32
	v_cvt_f32_i32_sdwa v25, sext(v28) dst_sel:DWORD dst_unused:UNUSED_PAD src0_sel:BYTE_3
	v_fmac_f32_e32 v26, v25, v23
	v_cvt_f32_i32_sdwa v25, sext(v29) dst_sel:DWORD dst_unused:UNUSED_PAD src0_sel:BYTE_0
	;; [unrolled: 8-line block ×3, first 2 shown]
	v_fmac_f32_e32 v3, v25, v24
	v_cvt_f32_i32_sdwa v24, sext(v30) dst_sel:DWORD dst_unused:UNUSED_PAD src0_sel:BYTE_1
	v_fmac_f32_e32 v3, v24, v31
	v_cvt_f32_i32_sdwa v24, sext(v30) dst_sel:DWORD dst_unused:UNUSED_PAD src0_sel:BYTE_2
	v_fmac_f32_e32 v3, v24, v32
	v_cvt_f32_i32_sdwa v24, sext(v30) dst_sel:DWORD dst_unused:UNUSED_PAD src0_sel:BYTE_3
	global_load_dwordx4 v[27:30], v[18:19], off offset:64
	v_fmac_f32_e32 v3, v24, v23
	global_load_dwordx2 v[23:24], v[20:21], off offset:-32
	s_waitcnt vmcnt(1)
	v_cvt_f32_i32_sdwa v25, sext(v27) dst_sel:DWORD dst_unused:UNUSED_PAD src0_sel:BYTE_0
	s_waitcnt vmcnt(0)
	v_sub_co_u32_e32 v23, vcc, v23, v1
	v_subb_co_u32_e32 v24, vcc, v24, v2, vcc
	v_lshlrev_b64 v[23:24], 2, v[23:24]
	v_add_co_u32_e32 v23, vcc, s6, v23
	v_addc_co_u32_e32 v24, vcc, v22, v24, vcc
	global_load_dword v23, v[23:24], off
	s_waitcnt vmcnt(0)
	v_cvt_f32_i32_sdwa v24, sext(v23) dst_sel:DWORD dst_unused:UNUSED_PAD src0_sel:BYTE_0
	v_cvt_f32_i32_sdwa v31, sext(v23) dst_sel:DWORD dst_unused:UNUSED_PAD src0_sel:BYTE_1
	v_cvt_f32_i32_sdwa v32, sext(v23) dst_sel:DWORD dst_unused:UNUSED_PAD src0_sel:BYTE_2
	v_cvt_f32_i32_sdwa v23, sext(v23) dst_sel:DWORD dst_unused:UNUSED_PAD src0_sel:BYTE_3
	v_fmac_f32_e32 v13, v25, v24
	v_cvt_f32_i32_sdwa v25, sext(v27) dst_sel:DWORD dst_unused:UNUSED_PAD src0_sel:BYTE_1
	v_fmac_f32_e32 v13, v25, v31
	v_cvt_f32_i32_sdwa v25, sext(v27) dst_sel:DWORD dst_unused:UNUSED_PAD src0_sel:BYTE_2
	v_fmac_f32_e32 v13, v25, v32
	v_cvt_f32_i32_sdwa v25, sext(v27) dst_sel:DWORD dst_unused:UNUSED_PAD src0_sel:BYTE_3
	v_fmac_f32_e32 v13, v25, v23
	v_cvt_f32_i32_sdwa v25, sext(v28) dst_sel:DWORD dst_unused:UNUSED_PAD src0_sel:BYTE_0
	v_fmac_f32_e32 v26, v25, v24
	v_cvt_f32_i32_sdwa v25, sext(v28) dst_sel:DWORD dst_unused:UNUSED_PAD src0_sel:BYTE_1
	v_fmac_f32_e32 v26, v25, v31
	v_cvt_f32_i32_sdwa v25, sext(v28) dst_sel:DWORD dst_unused:UNUSED_PAD src0_sel:BYTE_2
	v_fmac_f32_e32 v26, v25, v32
	v_cvt_f32_i32_sdwa v25, sext(v28) dst_sel:DWORD dst_unused:UNUSED_PAD src0_sel:BYTE_3
	v_fmac_f32_e32 v26, v25, v23
	v_cvt_f32_i32_sdwa v25, sext(v29) dst_sel:DWORD dst_unused:UNUSED_PAD src0_sel:BYTE_0
	;; [unrolled: 8-line block ×3, first 2 shown]
	v_fmac_f32_e32 v3, v25, v24
	v_cvt_f32_i32_sdwa v24, sext(v30) dst_sel:DWORD dst_unused:UNUSED_PAD src0_sel:BYTE_1
	v_fmac_f32_e32 v3, v24, v31
	v_cvt_f32_i32_sdwa v24, sext(v30) dst_sel:DWORD dst_unused:UNUSED_PAD src0_sel:BYTE_2
	v_fmac_f32_e32 v3, v24, v32
	v_cvt_f32_i32_sdwa v24, sext(v30) dst_sel:DWORD dst_unused:UNUSED_PAD src0_sel:BYTE_3
	global_load_dwordx4 v[27:30], v[18:19], off offset:128
	v_fmac_f32_e32 v3, v24, v23
	global_load_dwordx2 v[23:24], v[20:21], off
	s_waitcnt vmcnt(1)
	v_cvt_f32_i32_sdwa v25, sext(v27) dst_sel:DWORD dst_unused:UNUSED_PAD src0_sel:BYTE_0
	s_waitcnt vmcnt(0)
	v_sub_co_u32_e32 v23, vcc, v23, v1
	v_subb_co_u32_e32 v24, vcc, v24, v2, vcc
	v_lshlrev_b64 v[23:24], 2, v[23:24]
	v_add_co_u32_e32 v23, vcc, s6, v23
	v_addc_co_u32_e32 v24, vcc, v22, v24, vcc
	global_load_dword v23, v[23:24], off
	s_waitcnt vmcnt(0)
	v_cvt_f32_i32_sdwa v24, sext(v23) dst_sel:DWORD dst_unused:UNUSED_PAD src0_sel:BYTE_0
	v_cvt_f32_i32_sdwa v31, sext(v23) dst_sel:DWORD dst_unused:UNUSED_PAD src0_sel:BYTE_1
	v_cvt_f32_i32_sdwa v32, sext(v23) dst_sel:DWORD dst_unused:UNUSED_PAD src0_sel:BYTE_2
	v_cvt_f32_i32_sdwa v23, sext(v23) dst_sel:DWORD dst_unused:UNUSED_PAD src0_sel:BYTE_3
	v_fmac_f32_e32 v13, v25, v24
	v_cvt_f32_i32_sdwa v25, sext(v27) dst_sel:DWORD dst_unused:UNUSED_PAD src0_sel:BYTE_1
	v_fmac_f32_e32 v13, v25, v31
	v_cvt_f32_i32_sdwa v25, sext(v27) dst_sel:DWORD dst_unused:UNUSED_PAD src0_sel:BYTE_2
	v_fmac_f32_e32 v13, v25, v32
	v_cvt_f32_i32_sdwa v25, sext(v27) dst_sel:DWORD dst_unused:UNUSED_PAD src0_sel:BYTE_3
	v_fmac_f32_e32 v13, v25, v23
	v_cvt_f32_i32_sdwa v25, sext(v28) dst_sel:DWORD dst_unused:UNUSED_PAD src0_sel:BYTE_0
	v_fmac_f32_e32 v26, v25, v24
	v_cvt_f32_i32_sdwa v25, sext(v28) dst_sel:DWORD dst_unused:UNUSED_PAD src0_sel:BYTE_1
	v_fmac_f32_e32 v26, v25, v31
	v_cvt_f32_i32_sdwa v25, sext(v28) dst_sel:DWORD dst_unused:UNUSED_PAD src0_sel:BYTE_2
	v_fmac_f32_e32 v26, v25, v32
	v_cvt_f32_i32_sdwa v25, sext(v28) dst_sel:DWORD dst_unused:UNUSED_PAD src0_sel:BYTE_3
	v_fmac_f32_e32 v26, v25, v23
	v_cvt_f32_i32_sdwa v25, sext(v29) dst_sel:DWORD dst_unused:UNUSED_PAD src0_sel:BYTE_0
	;; [unrolled: 8-line block ×3, first 2 shown]
	v_fmac_f32_e32 v3, v25, v24
	v_cvt_f32_i32_sdwa v24, sext(v30) dst_sel:DWORD dst_unused:UNUSED_PAD src0_sel:BYTE_1
	v_fmac_f32_e32 v3, v24, v31
	v_cvt_f32_i32_sdwa v24, sext(v30) dst_sel:DWORD dst_unused:UNUSED_PAD src0_sel:BYTE_2
	v_fmac_f32_e32 v3, v24, v32
	v_cvt_f32_i32_sdwa v24, sext(v30) dst_sel:DWORD dst_unused:UNUSED_PAD src0_sel:BYTE_3
	global_load_dwordx4 v[27:30], v[18:19], off offset:192
	v_fmac_f32_e32 v3, v24, v23
	global_load_dwordx2 v[23:24], v[20:21], off offset:32
	s_waitcnt vmcnt(1)
	v_cvt_f32_i32_sdwa v25, sext(v27) dst_sel:DWORD dst_unused:UNUSED_PAD src0_sel:BYTE_0
	s_waitcnt vmcnt(0)
	v_sub_co_u32_e32 v23, vcc, v23, v1
	v_subb_co_u32_e32 v24, vcc, v24, v2, vcc
	v_lshlrev_b64 v[23:24], 2, v[23:24]
	v_add_co_u32_e32 v23, vcc, s6, v23
	v_addc_co_u32_e32 v24, vcc, v22, v24, vcc
	global_load_dword v23, v[23:24], off
	v_add_co_u32_e32 v18, vcc, s3, v18
	v_addc_co_u32_e32 v19, vcc, 0, v19, vcc
	v_add_co_u32_e32 v16, vcc, 16, v16
	v_addc_co_u32_e32 v17, vcc, 0, v17, vcc
	;; [unrolled: 2-line block ×3, first 2 shown]
	v_cmp_ge_i64_e32 vcc, v[16:17], v[8:9]
	s_or_b64 s[14:15], vcc, s[14:15]
	s_waitcnt vmcnt(0)
	v_cvt_f32_i32_sdwa v24, sext(v23) dst_sel:DWORD dst_unused:UNUSED_PAD src0_sel:BYTE_0
	v_cvt_f32_i32_sdwa v31, sext(v23) dst_sel:DWORD dst_unused:UNUSED_PAD src0_sel:BYTE_1
	v_cvt_f32_i32_sdwa v32, sext(v23) dst_sel:DWORD dst_unused:UNUSED_PAD src0_sel:BYTE_2
	v_cvt_f32_i32_sdwa v23, sext(v23) dst_sel:DWORD dst_unused:UNUSED_PAD src0_sel:BYTE_3
	v_fmac_f32_e32 v13, v25, v24
	v_cvt_f32_i32_sdwa v25, sext(v27) dst_sel:DWORD dst_unused:UNUSED_PAD src0_sel:BYTE_1
	v_fmac_f32_e32 v13, v25, v31
	v_cvt_f32_i32_sdwa v25, sext(v27) dst_sel:DWORD dst_unused:UNUSED_PAD src0_sel:BYTE_2
	v_fmac_f32_e32 v13, v25, v32
	v_cvt_f32_i32_sdwa v25, sext(v27) dst_sel:DWORD dst_unused:UNUSED_PAD src0_sel:BYTE_3
	v_fmac_f32_e32 v13, v25, v23
	v_cvt_f32_i32_sdwa v25, sext(v28) dst_sel:DWORD dst_unused:UNUSED_PAD src0_sel:BYTE_0
	v_fmac_f32_e32 v26, v25, v24
	v_cvt_f32_i32_sdwa v25, sext(v28) dst_sel:DWORD dst_unused:UNUSED_PAD src0_sel:BYTE_1
	v_fmac_f32_e32 v26, v25, v31
	v_cvt_f32_i32_sdwa v25, sext(v28) dst_sel:DWORD dst_unused:UNUSED_PAD src0_sel:BYTE_2
	v_fmac_f32_e32 v26, v25, v32
	v_cvt_f32_i32_sdwa v25, sext(v28) dst_sel:DWORD dst_unused:UNUSED_PAD src0_sel:BYTE_3
	v_fmac_f32_e32 v26, v25, v23
	v_cvt_f32_i32_sdwa v25, sext(v29) dst_sel:DWORD dst_unused:UNUSED_PAD src0_sel:BYTE_0
	;; [unrolled: 8-line block ×3, first 2 shown]
	v_fmac_f32_e32 v3, v25, v24
	v_cvt_f32_i32_sdwa v24, sext(v30) dst_sel:DWORD dst_unused:UNUSED_PAD src0_sel:BYTE_1
	v_fmac_f32_e32 v3, v24, v31
	v_cvt_f32_i32_sdwa v24, sext(v30) dst_sel:DWORD dst_unused:UNUSED_PAD src0_sel:BYTE_2
	v_fmac_f32_e32 v3, v24, v32
	v_cvt_f32_i32_sdwa v24, sext(v30) dst_sel:DWORD dst_unused:UNUSED_PAD src0_sel:BYTE_3
	v_fmac_f32_e32 v3, v24, v23
	s_andn2_b64 exec, exec, s[14:15]
	s_cbranch_execnz .LBB85_23
; %bb.24:
	s_or_b64 exec, exec, s[14:15]
.LBB85_25:
	s_or_b64 exec, exec, s[10:11]
.LBB85_26:
	s_or_b64 exec, exec, s[8:9]
	s_cbranch_execz .LBB85_28
	s_branch .LBB85_39
.LBB85_27:
                                        ; implicit-def: $vgpr3
                                        ; implicit-def: $vgpr12
                                        ; implicit-def: $vgpr26
                                        ; implicit-def: $vgpr13
.LBB85_28:
	v_mov_b32_e32 v3, 0
	v_mov_b32_e32 v12, 0
	;; [unrolled: 1-line block ×4, first 2 shown]
	s_and_saveexec_b64 s[8:9], s[0:1]
	s_cbranch_execz .LBB85_38
; %bb.29:
	v_or_b32_e32 v3, 4, v0
	v_sub_co_u32_e32 v3, vcc, v3, v1
	v_subb_co_u32_e32 v13, vcc, 0, v2, vcc
	v_add_co_u32_e32 v12, vcc, v3, v14
	v_addc_co_u32_e32 v13, vcc, v13, v15, vcc
	v_cmp_gt_i64_e32 vcc, v[12:13], v[8:9]
	v_not_b32_e32 v14, v14
	v_cndmask_b32_e32 v3, v9, v13, vcc
	v_cndmask_b32_e32 v12, v8, v12, vcc
	v_not_b32_e32 v13, v15
	v_sub_co_u32_e32 v15, vcc, v1, v0
	v_subbrev_co_u32_e32 v16, vcc, 0, v2, vcc
	v_add_co_u32_e32 v14, vcc, v15, v14
	v_addc_co_u32_e32 v13, vcc, v16, v13, vcc
	v_add_co_u32_e32 v14, vcc, v14, v12
	v_addc_co_u32_e32 v15, vcc, v13, v3, vcc
	v_and_b32_e32 v12, 12, v14
	v_mov_b32_e32 v13, 0
	v_cmp_ne_u64_e32 vcc, 12, v[12:13]
	v_mov_b32_e32 v26, v13
	v_mov_b32_e32 v12, v13
	;; [unrolled: 1-line block ×3, first 2 shown]
	s_and_saveexec_b64 s[0:1], vcc
	s_cbranch_execz .LBB85_33
; %bb.30:
	v_lshlrev_b64 v[12:13], 3, v[6:7]
	v_lshrrev_b32_e32 v3, 2, v14
	v_add_u32_e32 v3, 1, v3
	v_mov_b32_e32 v17, s13
	v_add_co_u32_e32 v16, vcc, s12, v12
	v_and_b32_e32 v18, 3, v3
	v_addc_co_u32_e32 v17, vcc, v17, v13, vcc
	v_sub_co_u32_e32 v18, vcc, 0, v18
	v_mov_b32_e32 v3, 0
	s_mov_b64 s[10:11], 0
	v_subb_co_u32_e64 v19, s[14:15], 0, 0, vcc
	v_mov_b32_e32 v20, s7
	v_mov_b32_e32 v12, 0
	;; [unrolled: 1-line block ×4, first 2 shown]
.LBB85_31:                              ; =>This Inner Loop Header: Depth=1
	global_load_dwordx2 v[27:28], v[16:17], off
	global_load_dwordx4 v[21:24], v[10:11], off
	s_waitcnt vmcnt(1)
	v_sub_co_u32_e32 v27, vcc, v27, v1
	v_subb_co_u32_e32 v28, vcc, v28, v2, vcc
	v_lshlrev_b64 v[27:28], 2, v[27:28]
	s_waitcnt vmcnt(0)
	v_cvt_f32_i32_sdwa v29, sext(v21) dst_sel:DWORD dst_unused:UNUSED_PAD src0_sel:BYTE_2
	v_add_co_u32_e32 v27, vcc, s6, v27
	v_addc_co_u32_e32 v28, vcc, v20, v28, vcc
	global_load_dword v25, v[27:28], off
	v_add_co_u32_e32 v10, vcc, 64, v10
	v_addc_co_u32_e32 v11, vcc, 0, v11, vcc
	v_add_co_u32_e32 v6, vcc, 4, v6
	v_addc_co_u32_e32 v7, vcc, 0, v7, vcc
	v_cvt_f32_i32_sdwa v27, sext(v21) dst_sel:DWORD dst_unused:UNUSED_PAD src0_sel:BYTE_0
	v_cvt_f32_i32_sdwa v28, sext(v21) dst_sel:DWORD dst_unused:UNUSED_PAD src0_sel:BYTE_1
	v_cvt_f32_i32_sdwa v21, sext(v21) dst_sel:DWORD dst_unused:UNUSED_PAD src0_sel:BYTE_3
	v_add_co_u32_e32 v16, vcc, 32, v16
	v_cvt_f32_i32_sdwa v30, sext(v22) dst_sel:DWORD dst_unused:UNUSED_PAD src0_sel:BYTE_0
	v_cvt_f32_i32_sdwa v31, sext(v22) dst_sel:DWORD dst_unused:UNUSED_PAD src0_sel:BYTE_1
	v_cvt_f32_i32_sdwa v32, sext(v22) dst_sel:DWORD dst_unused:UNUSED_PAD src0_sel:BYTE_2
	v_cvt_f32_i32_sdwa v22, sext(v22) dst_sel:DWORD dst_unused:UNUSED_PAD src0_sel:BYTE_3
	v_addc_co_u32_e32 v17, vcc, 0, v17, vcc
	v_cvt_f32_i32_sdwa v33, sext(v23) dst_sel:DWORD dst_unused:UNUSED_PAD src0_sel:BYTE_0
	v_cvt_f32_i32_sdwa v34, sext(v23) dst_sel:DWORD dst_unused:UNUSED_PAD src0_sel:BYTE_1
	v_cvt_f32_i32_sdwa v35, sext(v23) dst_sel:DWORD dst_unused:UNUSED_PAD src0_sel:BYTE_2
	v_cvt_f32_i32_sdwa v23, sext(v23) dst_sel:DWORD dst_unused:UNUSED_PAD src0_sel:BYTE_3
	v_add_co_u32_e32 v18, vcc, 1, v18
	v_cvt_f32_i32_sdwa v36, sext(v24) dst_sel:DWORD dst_unused:UNUSED_PAD src0_sel:BYTE_0
	v_cvt_f32_i32_sdwa v37, sext(v24) dst_sel:DWORD dst_unused:UNUSED_PAD src0_sel:BYTE_1
	v_cvt_f32_i32_sdwa v38, sext(v24) dst_sel:DWORD dst_unused:UNUSED_PAD src0_sel:BYTE_2
	v_cvt_f32_i32_sdwa v24, sext(v24) dst_sel:DWORD dst_unused:UNUSED_PAD src0_sel:BYTE_3
	v_addc_co_u32_e32 v19, vcc, 0, v19, vcc
	v_cmp_eq_u64_e32 vcc, 0, v[18:19]
	s_or_b64 s[10:11], vcc, s[10:11]
	s_waitcnt vmcnt(0)
	v_cvt_f32_i32_sdwa v39, sext(v25) dst_sel:DWORD dst_unused:UNUSED_PAD src0_sel:BYTE_0
	v_cvt_f32_i32_sdwa v40, sext(v25) dst_sel:DWORD dst_unused:UNUSED_PAD src0_sel:BYTE_1
	v_cvt_f32_i32_sdwa v41, sext(v25) dst_sel:DWORD dst_unused:UNUSED_PAD src0_sel:BYTE_2
	v_cvt_f32_i32_sdwa v25, sext(v25) dst_sel:DWORD dst_unused:UNUSED_PAD src0_sel:BYTE_3
	v_fmac_f32_e32 v13, v27, v39
	v_fmac_f32_e32 v26, v28, v39
	;; [unrolled: 1-line block ×16, first 2 shown]
	s_andn2_b64 exec, exec, s[10:11]
	s_cbranch_execnz .LBB85_31
; %bb.32:
	s_or_b64 exec, exec, s[10:11]
.LBB85_33:
	s_or_b64 exec, exec, s[0:1]
	v_cmp_lt_u64_e32 vcc, 11, v[14:15]
	s_and_saveexec_b64 s[0:1], vcc
	s_cbranch_execz .LBB85_37
; %bb.34:
	v_lshlrev_b64 v[14:15], 3, v[6:7]
	v_mov_b32_e32 v16, s13
	v_add_co_u32_e32 v14, vcc, s12, v14
	v_addc_co_u32_e32 v15, vcc, v16, v15, vcc
	v_add_co_u32_e32 v14, vcc, 64, v14
	v_addc_co_u32_e32 v15, vcc, 0, v15, vcc
	s_mov_b64 s[10:11], 0
	v_mov_b32_e32 v16, s7
	s_movk_i32 s3, 0x100
.LBB85_35:                              ; =>This Inner Loop Header: Depth=1
	global_load_dwordx2 v[17:18], v[14:15], off offset:-64
	s_waitcnt vmcnt(0)
	v_sub_co_u32_e32 v17, vcc, v17, v1
	v_subb_co_u32_e32 v18, vcc, v18, v2, vcc
	v_lshlrev_b64 v[21:22], 2, v[17:18]
	global_load_dwordx4 v[17:20], v[10:11], off
	v_add_co_u32_e32 v21, vcc, s6, v21
	v_addc_co_u32_e32 v22, vcc, v16, v22, vcc
	global_load_dword v21, v[21:22], off
	s_waitcnt vmcnt(1)
	v_cvt_f32_i32_sdwa v23, sext(v17) dst_sel:DWORD dst_unused:UNUSED_PAD src0_sel:BYTE_0
	s_waitcnt vmcnt(0)
	v_cvt_f32_i32_sdwa v22, sext(v21) dst_sel:DWORD dst_unused:UNUSED_PAD src0_sel:BYTE_0
	v_fmac_f32_e32 v13, v23, v22
	v_cvt_f32_i32_sdwa v23, sext(v17) dst_sel:DWORD dst_unused:UNUSED_PAD src0_sel:BYTE_1
	v_fmac_f32_e32 v26, v23, v22
	v_cvt_f32_i32_sdwa v23, sext(v17) dst_sel:DWORD dst_unused:UNUSED_PAD src0_sel:BYTE_2
	v_cvt_f32_i32_sdwa v17, sext(v17) dst_sel:DWORD dst_unused:UNUSED_PAD src0_sel:BYTE_3
	v_fmac_f32_e32 v12, v23, v22
	v_fmac_f32_e32 v3, v17, v22
	v_cvt_f32_i32_sdwa v17, sext(v18) dst_sel:DWORD dst_unused:UNUSED_PAD src0_sel:BYTE_0
	v_cvt_f32_i32_sdwa v22, sext(v21) dst_sel:DWORD dst_unused:UNUSED_PAD src0_sel:BYTE_1
	v_fmac_f32_e32 v13, v17, v22
	v_cvt_f32_i32_sdwa v17, sext(v18) dst_sel:DWORD dst_unused:UNUSED_PAD src0_sel:BYTE_1
	v_fmac_f32_e32 v26, v17, v22
	v_cvt_f32_i32_sdwa v17, sext(v18) dst_sel:DWORD dst_unused:UNUSED_PAD src0_sel:BYTE_2
	v_fmac_f32_e32 v12, v17, v22
	v_cvt_f32_i32_sdwa v17, sext(v18) dst_sel:DWORD dst_unused:UNUSED_PAD src0_sel:BYTE_3
	v_cvt_f32_i32_sdwa v18, sext(v21) dst_sel:DWORD dst_unused:UNUSED_PAD src0_sel:BYTE_2
	v_fmac_f32_e32 v3, v17, v22
	v_cvt_f32_i32_sdwa v17, sext(v19) dst_sel:DWORD dst_unused:UNUSED_PAD src0_sel:BYTE_0
	v_fmac_f32_e32 v13, v17, v18
	v_cvt_f32_i32_sdwa v17, sext(v19) dst_sel:DWORD dst_unused:UNUSED_PAD src0_sel:BYTE_1
	v_fmac_f32_e32 v26, v17, v18
	v_cvt_f32_i32_sdwa v17, sext(v19) dst_sel:DWORD dst_unused:UNUSED_PAD src0_sel:BYTE_2
	v_fmac_f32_e32 v12, v17, v18
	v_cvt_f32_i32_sdwa v17, sext(v19) dst_sel:DWORD dst_unused:UNUSED_PAD src0_sel:BYTE_3
	v_fmac_f32_e32 v3, v17, v18
	v_cvt_f32_i32_sdwa v17, sext(v20) dst_sel:DWORD dst_unused:UNUSED_PAD src0_sel:BYTE_0
	v_cvt_f32_i32_sdwa v18, sext(v21) dst_sel:DWORD dst_unused:UNUSED_PAD src0_sel:BYTE_3
	v_fmac_f32_e32 v13, v17, v18
	v_cvt_f32_i32_sdwa v17, sext(v20) dst_sel:DWORD dst_unused:UNUSED_PAD src0_sel:BYTE_1
	v_fmac_f32_e32 v26, v17, v18
	v_cvt_f32_i32_sdwa v17, sext(v20) dst_sel:DWORD dst_unused:UNUSED_PAD src0_sel:BYTE_2
	v_fmac_f32_e32 v12, v17, v18
	v_cvt_f32_i32_sdwa v17, sext(v20) dst_sel:DWORD dst_unused:UNUSED_PAD src0_sel:BYTE_3
	v_fmac_f32_e32 v3, v17, v18
	global_load_dwordx2 v[17:18], v[14:15], off offset:-32
	s_waitcnt vmcnt(0)
	v_sub_co_u32_e32 v17, vcc, v17, v1
	v_subb_co_u32_e32 v18, vcc, v18, v2, vcc
	v_lshlrev_b64 v[21:22], 2, v[17:18]
	global_load_dwordx4 v[17:20], v[10:11], off offset:64
	v_add_co_u32_e32 v21, vcc, s6, v21
	v_addc_co_u32_e32 v22, vcc, v16, v22, vcc
	global_load_dword v21, v[21:22], off
	s_waitcnt vmcnt(1)
	v_cvt_f32_i32_sdwa v23, sext(v17) dst_sel:DWORD dst_unused:UNUSED_PAD src0_sel:BYTE_0
	s_waitcnt vmcnt(0)
	v_cvt_f32_i32_sdwa v22, sext(v21) dst_sel:DWORD dst_unused:UNUSED_PAD src0_sel:BYTE_0
	v_fmac_f32_e32 v13, v23, v22
	v_cvt_f32_i32_sdwa v23, sext(v17) dst_sel:DWORD dst_unused:UNUSED_PAD src0_sel:BYTE_1
	v_fmac_f32_e32 v26, v23, v22
	v_cvt_f32_i32_sdwa v23, sext(v17) dst_sel:DWORD dst_unused:UNUSED_PAD src0_sel:BYTE_2
	v_cvt_f32_i32_sdwa v17, sext(v17) dst_sel:DWORD dst_unused:UNUSED_PAD src0_sel:BYTE_3
	v_fmac_f32_e32 v12, v23, v22
	v_fmac_f32_e32 v3, v17, v22
	v_cvt_f32_i32_sdwa v17, sext(v18) dst_sel:DWORD dst_unused:UNUSED_PAD src0_sel:BYTE_0
	v_cvt_f32_i32_sdwa v22, sext(v21) dst_sel:DWORD dst_unused:UNUSED_PAD src0_sel:BYTE_1
	v_fmac_f32_e32 v13, v17, v22
	v_cvt_f32_i32_sdwa v17, sext(v18) dst_sel:DWORD dst_unused:UNUSED_PAD src0_sel:BYTE_1
	v_fmac_f32_e32 v26, v17, v22
	v_cvt_f32_i32_sdwa v17, sext(v18) dst_sel:DWORD dst_unused:UNUSED_PAD src0_sel:BYTE_2
	v_fmac_f32_e32 v12, v17, v22
	v_cvt_f32_i32_sdwa v17, sext(v18) dst_sel:DWORD dst_unused:UNUSED_PAD src0_sel:BYTE_3
	v_cvt_f32_i32_sdwa v18, sext(v21) dst_sel:DWORD dst_unused:UNUSED_PAD src0_sel:BYTE_2
	v_fmac_f32_e32 v3, v17, v22
	v_cvt_f32_i32_sdwa v17, sext(v19) dst_sel:DWORD dst_unused:UNUSED_PAD src0_sel:BYTE_0
	v_fmac_f32_e32 v13, v17, v18
	v_cvt_f32_i32_sdwa v17, sext(v19) dst_sel:DWORD dst_unused:UNUSED_PAD src0_sel:BYTE_1
	v_fmac_f32_e32 v26, v17, v18
	v_cvt_f32_i32_sdwa v17, sext(v19) dst_sel:DWORD dst_unused:UNUSED_PAD src0_sel:BYTE_2
	v_fmac_f32_e32 v12, v17, v18
	v_cvt_f32_i32_sdwa v17, sext(v19) dst_sel:DWORD dst_unused:UNUSED_PAD src0_sel:BYTE_3
	v_fmac_f32_e32 v3, v17, v18
	v_cvt_f32_i32_sdwa v17, sext(v20) dst_sel:DWORD dst_unused:UNUSED_PAD src0_sel:BYTE_0
	v_cvt_f32_i32_sdwa v18, sext(v21) dst_sel:DWORD dst_unused:UNUSED_PAD src0_sel:BYTE_3
	v_fmac_f32_e32 v13, v17, v18
	v_cvt_f32_i32_sdwa v17, sext(v20) dst_sel:DWORD dst_unused:UNUSED_PAD src0_sel:BYTE_1
	v_fmac_f32_e32 v26, v17, v18
	v_cvt_f32_i32_sdwa v17, sext(v20) dst_sel:DWORD dst_unused:UNUSED_PAD src0_sel:BYTE_2
	v_fmac_f32_e32 v12, v17, v18
	v_cvt_f32_i32_sdwa v17, sext(v20) dst_sel:DWORD dst_unused:UNUSED_PAD src0_sel:BYTE_3
	v_fmac_f32_e32 v3, v17, v18
	global_load_dwordx2 v[17:18], v[14:15], off
	s_waitcnt vmcnt(0)
	v_sub_co_u32_e32 v17, vcc, v17, v1
	v_subb_co_u32_e32 v18, vcc, v18, v2, vcc
	v_lshlrev_b64 v[21:22], 2, v[17:18]
	global_load_dwordx4 v[17:20], v[10:11], off offset:128
	v_add_co_u32_e32 v21, vcc, s6, v21
	v_addc_co_u32_e32 v22, vcc, v16, v22, vcc
	global_load_dword v21, v[21:22], off
	s_waitcnt vmcnt(1)
	v_cvt_f32_i32_sdwa v23, sext(v17) dst_sel:DWORD dst_unused:UNUSED_PAD src0_sel:BYTE_0
	s_waitcnt vmcnt(0)
	v_cvt_f32_i32_sdwa v22, sext(v21) dst_sel:DWORD dst_unused:UNUSED_PAD src0_sel:BYTE_0
	v_fmac_f32_e32 v13, v23, v22
	v_cvt_f32_i32_sdwa v23, sext(v17) dst_sel:DWORD dst_unused:UNUSED_PAD src0_sel:BYTE_1
	v_fmac_f32_e32 v26, v23, v22
	v_cvt_f32_i32_sdwa v23, sext(v17) dst_sel:DWORD dst_unused:UNUSED_PAD src0_sel:BYTE_2
	v_cvt_f32_i32_sdwa v17, sext(v17) dst_sel:DWORD dst_unused:UNUSED_PAD src0_sel:BYTE_3
	v_fmac_f32_e32 v12, v23, v22
	v_fmac_f32_e32 v3, v17, v22
	v_cvt_f32_i32_sdwa v17, sext(v18) dst_sel:DWORD dst_unused:UNUSED_PAD src0_sel:BYTE_0
	v_cvt_f32_i32_sdwa v22, sext(v21) dst_sel:DWORD dst_unused:UNUSED_PAD src0_sel:BYTE_1
	v_fmac_f32_e32 v13, v17, v22
	v_cvt_f32_i32_sdwa v17, sext(v18) dst_sel:DWORD dst_unused:UNUSED_PAD src0_sel:BYTE_1
	v_fmac_f32_e32 v26, v17, v22
	v_cvt_f32_i32_sdwa v17, sext(v18) dst_sel:DWORD dst_unused:UNUSED_PAD src0_sel:BYTE_2
	v_fmac_f32_e32 v12, v17, v22
	v_cvt_f32_i32_sdwa v17, sext(v18) dst_sel:DWORD dst_unused:UNUSED_PAD src0_sel:BYTE_3
	v_cvt_f32_i32_sdwa v18, sext(v21) dst_sel:DWORD dst_unused:UNUSED_PAD src0_sel:BYTE_2
	v_fmac_f32_e32 v3, v17, v22
	v_cvt_f32_i32_sdwa v17, sext(v19) dst_sel:DWORD dst_unused:UNUSED_PAD src0_sel:BYTE_0
	v_fmac_f32_e32 v13, v17, v18
	v_cvt_f32_i32_sdwa v17, sext(v19) dst_sel:DWORD dst_unused:UNUSED_PAD src0_sel:BYTE_1
	v_fmac_f32_e32 v26, v17, v18
	v_cvt_f32_i32_sdwa v17, sext(v19) dst_sel:DWORD dst_unused:UNUSED_PAD src0_sel:BYTE_2
	v_fmac_f32_e32 v12, v17, v18
	v_cvt_f32_i32_sdwa v17, sext(v19) dst_sel:DWORD dst_unused:UNUSED_PAD src0_sel:BYTE_3
	v_fmac_f32_e32 v3, v17, v18
	v_cvt_f32_i32_sdwa v17, sext(v20) dst_sel:DWORD dst_unused:UNUSED_PAD src0_sel:BYTE_0
	v_cvt_f32_i32_sdwa v18, sext(v21) dst_sel:DWORD dst_unused:UNUSED_PAD src0_sel:BYTE_3
	v_fmac_f32_e32 v13, v17, v18
	v_cvt_f32_i32_sdwa v17, sext(v20) dst_sel:DWORD dst_unused:UNUSED_PAD src0_sel:BYTE_1
	v_fmac_f32_e32 v26, v17, v18
	v_cvt_f32_i32_sdwa v17, sext(v20) dst_sel:DWORD dst_unused:UNUSED_PAD src0_sel:BYTE_2
	v_fmac_f32_e32 v12, v17, v18
	v_cvt_f32_i32_sdwa v17, sext(v20) dst_sel:DWORD dst_unused:UNUSED_PAD src0_sel:BYTE_3
	v_fmac_f32_e32 v3, v17, v18
	global_load_dwordx2 v[17:18], v[14:15], off offset:32
	s_waitcnt vmcnt(0)
	v_sub_co_u32_e32 v17, vcc, v17, v1
	v_subb_co_u32_e32 v18, vcc, v18, v2, vcc
	v_lshlrev_b64 v[21:22], 2, v[17:18]
	global_load_dwordx4 v[17:20], v[10:11], off offset:192
	v_add_co_u32_e32 v21, vcc, s6, v21
	v_addc_co_u32_e32 v22, vcc, v16, v22, vcc
	global_load_dword v21, v[21:22], off
	v_add_co_u32_e32 v10, vcc, s3, v10
	v_addc_co_u32_e32 v11, vcc, 0, v11, vcc
	v_add_co_u32_e32 v6, vcc, 16, v6
	v_addc_co_u32_e32 v7, vcc, 0, v7, vcc
	;; [unrolled: 2-line block ×3, first 2 shown]
	v_cmp_ge_i64_e32 vcc, v[6:7], v[8:9]
	s_or_b64 s[10:11], vcc, s[10:11]
	s_waitcnt vmcnt(1)
	v_cvt_f32_i32_sdwa v23, sext(v17) dst_sel:DWORD dst_unused:UNUSED_PAD src0_sel:BYTE_0
	s_waitcnt vmcnt(0)
	v_cvt_f32_i32_sdwa v22, sext(v21) dst_sel:DWORD dst_unused:UNUSED_PAD src0_sel:BYTE_0
	v_fmac_f32_e32 v13, v23, v22
	v_cvt_f32_i32_sdwa v23, sext(v17) dst_sel:DWORD dst_unused:UNUSED_PAD src0_sel:BYTE_1
	v_fmac_f32_e32 v26, v23, v22
	v_cvt_f32_i32_sdwa v23, sext(v17) dst_sel:DWORD dst_unused:UNUSED_PAD src0_sel:BYTE_2
	v_cvt_f32_i32_sdwa v17, sext(v17) dst_sel:DWORD dst_unused:UNUSED_PAD src0_sel:BYTE_3
	v_fmac_f32_e32 v12, v23, v22
	v_fmac_f32_e32 v3, v17, v22
	v_cvt_f32_i32_sdwa v17, sext(v18) dst_sel:DWORD dst_unused:UNUSED_PAD src0_sel:BYTE_0
	v_cvt_f32_i32_sdwa v22, sext(v21) dst_sel:DWORD dst_unused:UNUSED_PAD src0_sel:BYTE_1
	v_fmac_f32_e32 v13, v17, v22
	v_cvt_f32_i32_sdwa v17, sext(v18) dst_sel:DWORD dst_unused:UNUSED_PAD src0_sel:BYTE_1
	v_fmac_f32_e32 v26, v17, v22
	v_cvt_f32_i32_sdwa v17, sext(v18) dst_sel:DWORD dst_unused:UNUSED_PAD src0_sel:BYTE_2
	v_fmac_f32_e32 v12, v17, v22
	v_cvt_f32_i32_sdwa v17, sext(v18) dst_sel:DWORD dst_unused:UNUSED_PAD src0_sel:BYTE_3
	v_cvt_f32_i32_sdwa v18, sext(v21) dst_sel:DWORD dst_unused:UNUSED_PAD src0_sel:BYTE_2
	v_fmac_f32_e32 v3, v17, v22
	v_cvt_f32_i32_sdwa v17, sext(v19) dst_sel:DWORD dst_unused:UNUSED_PAD src0_sel:BYTE_0
	v_fmac_f32_e32 v13, v17, v18
	v_cvt_f32_i32_sdwa v17, sext(v19) dst_sel:DWORD dst_unused:UNUSED_PAD src0_sel:BYTE_1
	v_fmac_f32_e32 v26, v17, v18
	v_cvt_f32_i32_sdwa v17, sext(v19) dst_sel:DWORD dst_unused:UNUSED_PAD src0_sel:BYTE_2
	v_fmac_f32_e32 v12, v17, v18
	v_cvt_f32_i32_sdwa v17, sext(v19) dst_sel:DWORD dst_unused:UNUSED_PAD src0_sel:BYTE_3
	v_fmac_f32_e32 v3, v17, v18
	v_cvt_f32_i32_sdwa v17, sext(v20) dst_sel:DWORD dst_unused:UNUSED_PAD src0_sel:BYTE_0
	v_cvt_f32_i32_sdwa v18, sext(v21) dst_sel:DWORD dst_unused:UNUSED_PAD src0_sel:BYTE_3
	v_fmac_f32_e32 v13, v17, v18
	v_cvt_f32_i32_sdwa v17, sext(v20) dst_sel:DWORD dst_unused:UNUSED_PAD src0_sel:BYTE_1
	v_fmac_f32_e32 v26, v17, v18
	v_cvt_f32_i32_sdwa v17, sext(v20) dst_sel:DWORD dst_unused:UNUSED_PAD src0_sel:BYTE_2
	v_fmac_f32_e32 v12, v17, v18
	v_cvt_f32_i32_sdwa v17, sext(v20) dst_sel:DWORD dst_unused:UNUSED_PAD src0_sel:BYTE_3
	v_fmac_f32_e32 v3, v17, v18
	s_andn2_b64 exec, exec, s[10:11]
	s_cbranch_execnz .LBB85_35
; %bb.36:
	s_or_b64 exec, exec, s[10:11]
.LBB85_37:
	s_or_b64 exec, exec, s[0:1]
.LBB85_38:
	s_or_b64 exec, exec, s[8:9]
.LBB85_39:
	v_mov_b32_dpp v1, v13 row_shr:1 row_mask:0xf bank_mask:0xf
	v_mov_b32_dpp v6, v26 row_shr:1 row_mask:0xf bank_mask:0xf
	;; [unrolled: 1-line block ×4, first 2 shown]
	v_add_f32_e32 v1, v13, v1
	v_add_f32_e32 v6, v26, v6
	;; [unrolled: 1-line block ×4, first 2 shown]
	v_mov_b32_dpp v2, v1 row_shr:2 row_mask:0xf bank_mask:0xf
	v_mov_b32_dpp v7, v6 row_shr:2 row_mask:0xf bank_mask:0xf
	;; [unrolled: 1-line block ×4, first 2 shown]
	v_cmp_eq_u32_e32 vcc, 3, v0
	s_and_b64 exec, exec, vcc
	s_cbranch_execz .LBB85_10
; %bb.40:
	s_load_dwordx2 s[0:1], s[4:5], 0x58
	v_add_f32_e32 v0, v1, v2
	v_add_f32_e32 v1, v6, v7
	;; [unrolled: 1-line block ×4, first 2 shown]
	v_cmp_eq_f32_e64 s[4:5], s2, 0
	v_lshlrev_b64 v[4:5], 4, v[4:5]
	s_and_b64 vcc, exec, s[4:5]
	v_mul_f32_e32 v0, s16, v0
	v_mul_f32_e32 v1, s16, v1
	;; [unrolled: 1-line block ×4, first 2 shown]
	s_cbranch_vccz .LBB85_42
; %bb.41:
	s_waitcnt lgkmcnt(0)
	v_mov_b32_e32 v7, s1
	v_add_co_u32_e32 v6, vcc, s0, v4
	v_addc_co_u32_e32 v7, vcc, v7, v5, vcc
	global_store_dwordx4 v[6:7], v[0:3], off
	s_cbranch_execnz .LBB85_10
	s_branch .LBB85_43
.LBB85_42:
.LBB85_43:
	s_waitcnt lgkmcnt(0)
	v_mov_b32_e32 v6, s1
	v_add_co_u32_e32 v8, vcc, s0, v4
	v_addc_co_u32_e32 v9, vcc, v6, v5, vcc
	global_load_dwordx4 v[4:7], v[8:9], off
	s_waitcnt vmcnt(0)
	v_fmac_f32_e32 v0, s2, v4
	v_fmac_f32_e32 v1, s2, v5
	;; [unrolled: 1-line block ×4, first 2 shown]
	global_store_dwordx4 v[8:9], v[0:3], off
	s_endpgm
	.section	.rodata,"a",@progbits
	.p2align	6, 0x0
	.amdhsa_kernel _ZN9rocsparseL18bsrxmvn_4x4_kernelILj128ELj4EfllaafEEvT3_20rocsparse_direction_NS_24const_host_device_scalarIT1_EES1_PKS1_PKT2_SA_S7_PKT4_PKT5_S5_PT6_21rocsparse_index_base_b
		.amdhsa_group_segment_fixed_size 0
		.amdhsa_private_segment_fixed_size 0
		.amdhsa_kernarg_size 104
		.amdhsa_user_sgpr_count 6
		.amdhsa_user_sgpr_private_segment_buffer 1
		.amdhsa_user_sgpr_dispatch_ptr 0
		.amdhsa_user_sgpr_queue_ptr 0
		.amdhsa_user_sgpr_kernarg_segment_ptr 1
		.amdhsa_user_sgpr_dispatch_id 0
		.amdhsa_user_sgpr_flat_scratch_init 0
		.amdhsa_user_sgpr_private_segment_size 0
		.amdhsa_uses_dynamic_stack 0
		.amdhsa_system_sgpr_private_segment_wavefront_offset 0
		.amdhsa_system_sgpr_workgroup_id_x 1
		.amdhsa_system_sgpr_workgroup_id_y 0
		.amdhsa_system_sgpr_workgroup_id_z 0
		.amdhsa_system_sgpr_workgroup_info 0
		.amdhsa_system_vgpr_workitem_id 0
		.amdhsa_next_free_vgpr 48
		.amdhsa_next_free_sgpr 20
		.amdhsa_reserve_vcc 1
		.amdhsa_reserve_flat_scratch 0
		.amdhsa_float_round_mode_32 0
		.amdhsa_float_round_mode_16_64 0
		.amdhsa_float_denorm_mode_32 3
		.amdhsa_float_denorm_mode_16_64 3
		.amdhsa_dx10_clamp 1
		.amdhsa_ieee_mode 1
		.amdhsa_fp16_overflow 0
		.amdhsa_exception_fp_ieee_invalid_op 0
		.amdhsa_exception_fp_denorm_src 0
		.amdhsa_exception_fp_ieee_div_zero 0
		.amdhsa_exception_fp_ieee_overflow 0
		.amdhsa_exception_fp_ieee_underflow 0
		.amdhsa_exception_fp_ieee_inexact 0
		.amdhsa_exception_int_div_zero 0
	.end_amdhsa_kernel
	.section	.text._ZN9rocsparseL18bsrxmvn_4x4_kernelILj128ELj4EfllaafEEvT3_20rocsparse_direction_NS_24const_host_device_scalarIT1_EES1_PKS1_PKT2_SA_S7_PKT4_PKT5_S5_PT6_21rocsparse_index_base_b,"axG",@progbits,_ZN9rocsparseL18bsrxmvn_4x4_kernelILj128ELj4EfllaafEEvT3_20rocsparse_direction_NS_24const_host_device_scalarIT1_EES1_PKS1_PKT2_SA_S7_PKT4_PKT5_S5_PT6_21rocsparse_index_base_b,comdat
.Lfunc_end85:
	.size	_ZN9rocsparseL18bsrxmvn_4x4_kernelILj128ELj4EfllaafEEvT3_20rocsparse_direction_NS_24const_host_device_scalarIT1_EES1_PKS1_PKT2_SA_S7_PKT4_PKT5_S5_PT6_21rocsparse_index_base_b, .Lfunc_end85-_ZN9rocsparseL18bsrxmvn_4x4_kernelILj128ELj4EfllaafEEvT3_20rocsparse_direction_NS_24const_host_device_scalarIT1_EES1_PKS1_PKT2_SA_S7_PKT4_PKT5_S5_PT6_21rocsparse_index_base_b
                                        ; -- End function
	.set _ZN9rocsparseL18bsrxmvn_4x4_kernelILj128ELj4EfllaafEEvT3_20rocsparse_direction_NS_24const_host_device_scalarIT1_EES1_PKS1_PKT2_SA_S7_PKT4_PKT5_S5_PT6_21rocsparse_index_base_b.num_vgpr, 48
	.set _ZN9rocsparseL18bsrxmvn_4x4_kernelILj128ELj4EfllaafEEvT3_20rocsparse_direction_NS_24const_host_device_scalarIT1_EES1_PKS1_PKT2_SA_S7_PKT4_PKT5_S5_PT6_21rocsparse_index_base_b.num_agpr, 0
	.set _ZN9rocsparseL18bsrxmvn_4x4_kernelILj128ELj4EfllaafEEvT3_20rocsparse_direction_NS_24const_host_device_scalarIT1_EES1_PKS1_PKT2_SA_S7_PKT4_PKT5_S5_PT6_21rocsparse_index_base_b.numbered_sgpr, 20
	.set _ZN9rocsparseL18bsrxmvn_4x4_kernelILj128ELj4EfllaafEEvT3_20rocsparse_direction_NS_24const_host_device_scalarIT1_EES1_PKS1_PKT2_SA_S7_PKT4_PKT5_S5_PT6_21rocsparse_index_base_b.num_named_barrier, 0
	.set _ZN9rocsparseL18bsrxmvn_4x4_kernelILj128ELj4EfllaafEEvT3_20rocsparse_direction_NS_24const_host_device_scalarIT1_EES1_PKS1_PKT2_SA_S7_PKT4_PKT5_S5_PT6_21rocsparse_index_base_b.private_seg_size, 0
	.set _ZN9rocsparseL18bsrxmvn_4x4_kernelILj128ELj4EfllaafEEvT3_20rocsparse_direction_NS_24const_host_device_scalarIT1_EES1_PKS1_PKT2_SA_S7_PKT4_PKT5_S5_PT6_21rocsparse_index_base_b.uses_vcc, 1
	.set _ZN9rocsparseL18bsrxmvn_4x4_kernelILj128ELj4EfllaafEEvT3_20rocsparse_direction_NS_24const_host_device_scalarIT1_EES1_PKS1_PKT2_SA_S7_PKT4_PKT5_S5_PT6_21rocsparse_index_base_b.uses_flat_scratch, 0
	.set _ZN9rocsparseL18bsrxmvn_4x4_kernelILj128ELj4EfllaafEEvT3_20rocsparse_direction_NS_24const_host_device_scalarIT1_EES1_PKS1_PKT2_SA_S7_PKT4_PKT5_S5_PT6_21rocsparse_index_base_b.has_dyn_sized_stack, 0
	.set _ZN9rocsparseL18bsrxmvn_4x4_kernelILj128ELj4EfllaafEEvT3_20rocsparse_direction_NS_24const_host_device_scalarIT1_EES1_PKS1_PKT2_SA_S7_PKT4_PKT5_S5_PT6_21rocsparse_index_base_b.has_recursion, 0
	.set _ZN9rocsparseL18bsrxmvn_4x4_kernelILj128ELj4EfllaafEEvT3_20rocsparse_direction_NS_24const_host_device_scalarIT1_EES1_PKS1_PKT2_SA_S7_PKT4_PKT5_S5_PT6_21rocsparse_index_base_b.has_indirect_call, 0
	.section	.AMDGPU.csdata,"",@progbits
; Kernel info:
; codeLenInByte = 4296
; TotalNumSgprs: 24
; NumVgprs: 48
; ScratchSize: 0
; MemoryBound: 0
; FloatMode: 240
; IeeeMode: 1
; LDSByteSize: 0 bytes/workgroup (compile time only)
; SGPRBlocks: 2
; VGPRBlocks: 11
; NumSGPRsForWavesPerEU: 24
; NumVGPRsForWavesPerEU: 48
; Occupancy: 5
; WaveLimiterHint : 1
; COMPUTE_PGM_RSRC2:SCRATCH_EN: 0
; COMPUTE_PGM_RSRC2:USER_SGPR: 6
; COMPUTE_PGM_RSRC2:TRAP_HANDLER: 0
; COMPUTE_PGM_RSRC2:TGID_X_EN: 1
; COMPUTE_PGM_RSRC2:TGID_Y_EN: 0
; COMPUTE_PGM_RSRC2:TGID_Z_EN: 0
; COMPUTE_PGM_RSRC2:TIDIG_COMP_CNT: 0
	.section	.text._ZN9rocsparseL18bsrxmvn_4x4_kernelILj128ELj8EfllaafEEvT3_20rocsparse_direction_NS_24const_host_device_scalarIT1_EES1_PKS1_PKT2_SA_S7_PKT4_PKT5_S5_PT6_21rocsparse_index_base_b,"axG",@progbits,_ZN9rocsparseL18bsrxmvn_4x4_kernelILj128ELj8EfllaafEEvT3_20rocsparse_direction_NS_24const_host_device_scalarIT1_EES1_PKS1_PKT2_SA_S7_PKT4_PKT5_S5_PT6_21rocsparse_index_base_b,comdat
	.globl	_ZN9rocsparseL18bsrxmvn_4x4_kernelILj128ELj8EfllaafEEvT3_20rocsparse_direction_NS_24const_host_device_scalarIT1_EES1_PKS1_PKT2_SA_S7_PKT4_PKT5_S5_PT6_21rocsparse_index_base_b ; -- Begin function _ZN9rocsparseL18bsrxmvn_4x4_kernelILj128ELj8EfllaafEEvT3_20rocsparse_direction_NS_24const_host_device_scalarIT1_EES1_PKS1_PKT2_SA_S7_PKT4_PKT5_S5_PT6_21rocsparse_index_base_b
	.p2align	8
	.type	_ZN9rocsparseL18bsrxmvn_4x4_kernelILj128ELj8EfllaafEEvT3_20rocsparse_direction_NS_24const_host_device_scalarIT1_EES1_PKS1_PKT2_SA_S7_PKT4_PKT5_S5_PT6_21rocsparse_index_base_b,@function
_ZN9rocsparseL18bsrxmvn_4x4_kernelILj128ELj8EfllaafEEvT3_20rocsparse_direction_NS_24const_host_device_scalarIT1_EES1_PKS1_PKT2_SA_S7_PKT4_PKT5_S5_PT6_21rocsparse_index_base_b: ; @_ZN9rocsparseL18bsrxmvn_4x4_kernelILj128ELj8EfllaafEEvT3_20rocsparse_direction_NS_24const_host_device_scalarIT1_EES1_PKS1_PKT2_SA_S7_PKT4_PKT5_S5_PT6_21rocsparse_index_base_b
; %bb.0:
	s_load_dwordx2 s[0:1], s[4:5], 0x60
	s_load_dwordx4 s[16:19], s[4:5], 0x10
	s_load_dwordx2 s[20:21], s[4:5], 0x50
	s_waitcnt lgkmcnt(0)
	s_bitcmp1_b32 s1, 0
	s_cselect_b64 s[8:9], -1, 0
	s_xor_b64 s[2:3], s[8:9], -1
	s_and_b64 vcc, exec, s[8:9]
	s_cbranch_vccnz .LBB86_2
; %bb.1:
	s_load_dword s16, s[16:17], 0x0
.LBB86_2:
	s_andn2_b64 vcc, exec, s[2:3]
	s_cbranch_vccnz .LBB86_4
; %bb.3:
	s_load_dword s20, s[20:21], 0x0
.LBB86_4:
	s_waitcnt lgkmcnt(0)
	v_cmp_neq_f32_e64 s[2:3], s16, 0
	v_cmp_neq_f32_e64 s[8:9], s20, 1.0
	s_or_b64 s[2:3], s[2:3], s[8:9]
	s_andn2_b64 vcc, exec, s[2:3]
	s_cbranch_vccnz .LBB86_10
; %bb.5:
	s_load_dwordx2 s[8:9], s[4:5], 0x20
	v_lshrrev_b32_e32 v1, 3, v0
	v_lshl_or_b32 v6, s6, 4, v1
	v_mov_b32_e32 v7, 0
	s_mov_b64 s[2:3], 0
	s_waitcnt lgkmcnt(0)
	s_cmp_lg_u64 s[8:9], 0
	s_cbranch_scc0 .LBB86_11
; %bb.6:
	v_cmp_gt_i64_e32 vcc, s[18:19], v[6:7]
                                        ; implicit-def: $vgpr4_vgpr5
                                        ; implicit-def: $vgpr1_vgpr2
	s_and_saveexec_b64 s[6:7], vcc
	s_xor_b64 s[6:7], exec, s[6:7]
	s_cbranch_execz .LBB86_8
; %bb.7:
	v_lshlrev_b64 v[1:2], 3, v[6:7]
	v_mov_b32_e32 v3, s9
	v_add_co_u32_e32 v1, vcc, s8, v1
	v_addc_co_u32_e32 v2, vcc, v3, v2, vcc
	global_load_dwordx2 v[1:2], v[1:2], off
	s_mov_b32 s1, 0
	s_mov_b64 s[2:3], exec
	s_waitcnt vmcnt(0)
	v_subrev_co_u32_e32 v4, vcc, s0, v1
	v_subbrev_co_u32_e32 v5, vcc, 0, v2, vcc
	v_mov_b32_e32 v2, s1
	v_mov_b32_e32 v1, s0
.LBB86_8:
	s_or_b64 exec, exec, s[6:7]
.LBB86_9:
	s_and_saveexec_b64 s[0:1], s[2:3]
	s_cbranch_execnz .LBB86_15
.LBB86_10:
	s_endpgm
.LBB86_11:
                                        ; implicit-def: $vgpr4_vgpr5
                                        ; implicit-def: $vgpr1_vgpr2
	s_cbranch_execz .LBB86_9
; %bb.12:
	s_load_dwordx2 s[6:7], s[4:5], 0x0
	s_waitcnt lgkmcnt(0)
	v_cmp_gt_i64_e32 vcc, s[6:7], v[6:7]
	s_and_saveexec_b64 s[6:7], vcc
; %bb.13:
	s_mov_b32 s1, 0
	s_or_b64 s[2:3], s[2:3], exec
; %bb.14:
	s_or_b64 exec, exec, s[6:7]
	v_mov_b32_e32 v2, s1
	v_mov_b32_e32 v4, v6
	;; [unrolled: 1-line block ×4, first 2 shown]
	s_and_saveexec_b64 s[0:1], s[2:3]
	s_cbranch_execz .LBB86_10
.LBB86_15:
	s_load_dwordx8 s[8:15], s[4:5], 0x28
	v_lshlrev_b64 v[6:7], 3, v[4:5]
	v_and_b32_e32 v0, 7, v0
	s_waitcnt lgkmcnt(0)
	v_mov_b32_e32 v3, s9
	v_add_co_u32_e32 v8, vcc, s8, v6
	v_addc_co_u32_e32 v9, vcc, v3, v7, vcc
	v_add_co_u32_e32 v3, vcc, 8, v8
	global_load_dwordx2 v[14:15], v[8:9], off
	v_addc_co_u32_e32 v8, vcc, 0, v9, vcc
	v_mov_b32_e32 v9, s11
	v_add_co_u32_e32 v6, vcc, s10, v6
	s_cmp_eq_u64 s[10:11], 0
	v_addc_co_u32_e32 v7, vcc, v9, v7, vcc
	s_cselect_b64 vcc, -1, 0
	v_cndmask_b32_e32 v7, v7, v8, vcc
	v_cndmask_b32_e32 v6, v6, v3, vcc
	global_load_dwordx2 v[8:9], v[6:7], off
	s_load_dword s0, s[4:5], 0x8
	s_load_dwordx2 s[6:7], s[4:5], 0x48
	v_mov_b32_e32 v12, s15
	v_mov_b32_e32 v3, 0
	s_waitcnt lgkmcnt(0)
	s_cmp_eq_u32 s0, 1
	s_waitcnt vmcnt(1)
	v_sub_co_u32_e32 v6, vcc, v14, v1
	v_subb_co_u32_e32 v7, vcc, v15, v2, vcc
	v_add_co_u32_e32 v6, vcc, v6, v0
	v_addc_co_u32_e32 v7, vcc, 0, v7, vcc
	v_lshlrev_b64 v[10:11], 4, v[6:7]
	s_waitcnt vmcnt(0)
	v_sub_co_u32_e32 v8, vcc, v8, v1
	v_subb_co_u32_e32 v9, vcc, v9, v2, vcc
	v_cmp_lt_i64_e64 s[0:1], v[6:7], v[8:9]
	v_add_co_u32_e32 v10, vcc, s14, v10
	v_addc_co_u32_e32 v11, vcc, v12, v11, vcc
	s_cbranch_scc1 .LBB86_27
; %bb.16:
	v_mov_b32_e32 v12, 0
	v_mov_b32_e32 v26, 0
	;; [unrolled: 1-line block ×3, first 2 shown]
	s_and_saveexec_b64 s[8:9], s[0:1]
	s_cbranch_execz .LBB86_26
; %bb.17:
	v_or_b32_e32 v3, 8, v0
	v_sub_co_u32_e32 v3, vcc, v3, v1
	v_subb_co_u32_e32 v13, vcc, 0, v2, vcc
	v_add_co_u32_e32 v12, vcc, v3, v14
	v_addc_co_u32_e32 v13, vcc, v13, v15, vcc
	v_cmp_gt_i64_e32 vcc, v[12:13], v[8:9]
	v_not_b32_e32 v16, v14
	v_cndmask_b32_e32 v3, v9, v13, vcc
	v_cndmask_b32_e32 v12, v8, v12, vcc
	v_sub_co_u32_e32 v17, vcc, v1, v0
	v_subbrev_co_u32_e32 v18, vcc, 0, v2, vcc
	v_not_b32_e32 v13, v15
	v_add_co_u32_e32 v16, vcc, v17, v16
	v_addc_co_u32_e32 v13, vcc, v18, v13, vcc
	v_add_co_u32_e32 v20, vcc, v16, v12
	v_addc_co_u32_e32 v21, vcc, v13, v3, vcc
	v_and_b32_e32 v12, 24, v20
	v_mov_b32_e32 v13, 0
	v_cmp_ne_u64_e32 vcc, 24, v[12:13]
	v_mov_b32_e32 v17, v7
	v_mov_b32_e32 v19, v11
	;; [unrolled: 1-line block ×7, first 2 shown]
	s_and_saveexec_b64 s[10:11], vcc
	s_cbranch_execz .LBB86_21
; %bb.18:
	v_lshlrev_b64 v[12:13], 3, v[6:7]
	v_lshrrev_b32_e32 v3, 3, v20
	v_add_u32_e32 v3, 1, v3
	v_mov_b32_e32 v17, s13
	v_add_co_u32_e32 v22, vcc, s12, v12
	v_and_b32_e32 v16, 3, v3
	v_addc_co_u32_e32 v23, vcc, v17, v13, vcc
	v_sub_co_u32_e32 v24, vcc, 0, v16
	v_mov_b32_e32 v19, v11
	v_mov_b32_e32 v17, v7
	;; [unrolled: 1-line block ×3, first 2 shown]
	s_mov_b64 s[14:15], 0
	v_subb_co_u32_e64 v25, s[2:3], 0, 0, vcc
	s_movk_i32 s17, 0x80
	v_mov_b32_e32 v27, s7
	v_mov_b32_e32 v18, v10
	;; [unrolled: 1-line block ×6, first 2 shown]
.LBB86_19:                              ; =>This Inner Loop Header: Depth=1
	global_load_dwordx2 v[32:33], v[22:23], off
	global_load_dwordx4 v[28:31], v[18:19], off
	v_add_co_u32_e64 v16, s[2:3], 8, v16
	v_addc_co_u32_e64 v17, s[2:3], 0, v17, s[2:3]
	v_add_co_u32_e64 v22, s[2:3], 64, v22
	v_addc_co_u32_e64 v23, s[2:3], 0, v23, s[2:3]
	;; [unrolled: 2-line block ×3, first 2 shown]
	v_cmp_eq_u64_e64 s[2:3], 0, v[24:25]
	s_or_b64 s[14:15], s[2:3], s[14:15]
	s_waitcnt vmcnt(1)
	v_sub_co_u32_e32 v32, vcc, v32, v1
	v_subb_co_u32_e32 v33, vcc, v33, v2, vcc
	v_lshlrev_b64 v[32:33], 2, v[32:33]
	s_waitcnt vmcnt(0)
	v_cvt_f32_i32_sdwa v36, sext(v29) dst_sel:DWORD dst_unused:UNUSED_PAD src0_sel:BYTE_0
	v_add_co_u32_e32 v32, vcc, s6, v32
	v_addc_co_u32_e32 v33, vcc, v27, v33, vcc
	global_load_dword v32, v[32:33], off
	v_cvt_f32_i32_sdwa v33, sext(v28) dst_sel:DWORD dst_unused:UNUSED_PAD src0_sel:BYTE_0
	v_cvt_f32_i32_sdwa v39, sext(v30) dst_sel:DWORD dst_unused:UNUSED_PAD src0_sel:BYTE_0
	;; [unrolled: 1-line block ×3, first 2 shown]
	v_cvt_f32_i32_sdwa v34, sext(v28) dst_sel:DWORD dst_unused:UNUSED_PAD src0_sel:BYTE_1
	v_cvt_f32_i32_sdwa v37, sext(v29) dst_sel:DWORD dst_unused:UNUSED_PAD src0_sel:BYTE_1
	;; [unrolled: 1-line block ×4, first 2 shown]
	v_cvt_f32_i32_sdwa v35, sext(v28) dst_sel:DWORD dst_unused:UNUSED_PAD src0_sel:BYTE_2
	v_cvt_f32_i32_sdwa v38, sext(v29) dst_sel:DWORD dst_unused:UNUSED_PAD src0_sel:BYTE_2
	;; [unrolled: 1-line block ×4, first 2 shown]
	v_cvt_f32_i32_sdwa v28, sext(v28) dst_sel:DWORD dst_unused:UNUSED_PAD src0_sel:BYTE_3
	v_cvt_f32_i32_sdwa v29, sext(v29) dst_sel:DWORD dst_unused:UNUSED_PAD src0_sel:BYTE_3
	;; [unrolled: 1-line block ×4, first 2 shown]
	v_add_co_u32_e32 v18, vcc, s17, v18
	v_addc_co_u32_e32 v19, vcc, 0, v19, vcc
	s_waitcnt vmcnt(0)
	v_cvt_f32_i32_sdwa v45, sext(v32) dst_sel:DWORD dst_unused:UNUSED_PAD src0_sel:BYTE_0
	v_cvt_f32_i32_sdwa v46, sext(v32) dst_sel:DWORD dst_unused:UNUSED_PAD src0_sel:BYTE_1
	v_cvt_f32_i32_sdwa v47, sext(v32) dst_sel:DWORD dst_unused:UNUSED_PAD src0_sel:BYTE_2
	v_cvt_f32_i32_sdwa v32, sext(v32) dst_sel:DWORD dst_unused:UNUSED_PAD src0_sel:BYTE_3
	v_fmac_f32_e32 v13, v33, v45
	v_fmac_f32_e32 v26, v36, v45
	;; [unrolled: 1-line block ×16, first 2 shown]
	s_andn2_b64 exec, exec, s[14:15]
	s_cbranch_execnz .LBB86_19
; %bb.20:
	s_or_b64 exec, exec, s[14:15]
.LBB86_21:
	s_or_b64 exec, exec, s[10:11]
	v_cmp_lt_u64_e32 vcc, 23, v[20:21]
	s_and_saveexec_b64 s[2:3], vcc
	s_cbranch_execz .LBB86_25
; %bb.22:
	v_lshlrev_b64 v[20:21], 3, v[16:17]
	v_mov_b32_e32 v22, s13
	v_add_co_u32_e32 v20, vcc, s12, v20
	v_addc_co_u32_e32 v21, vcc, v22, v21, vcc
	v_add_co_u32_e32 v20, vcc, 0x80, v20
	v_addc_co_u32_e32 v21, vcc, 0, v21, vcc
	s_mov_b64 s[10:11], 0
	v_mov_b32_e32 v22, s7
	s_movk_i32 s14, 0x200
.LBB86_23:                              ; =>This Inner Loop Header: Depth=1
	global_load_dwordx2 v[23:24], v[20:21], off offset:-128
	global_load_dwordx4 v[27:30], v[18:19], off
	s_waitcnt vmcnt(1)
	v_sub_co_u32_e32 v23, vcc, v23, v1
	v_subb_co_u32_e32 v24, vcc, v24, v2, vcc
	v_lshlrev_b64 v[23:24], 2, v[23:24]
	s_waitcnt vmcnt(0)
	v_cvt_f32_i32_sdwa v25, sext(v27) dst_sel:DWORD dst_unused:UNUSED_PAD src0_sel:BYTE_0
	v_add_co_u32_e32 v23, vcc, s6, v23
	v_addc_co_u32_e32 v24, vcc, v22, v24, vcc
	global_load_dword v23, v[23:24], off
	s_waitcnt vmcnt(0)
	v_cvt_f32_i32_sdwa v24, sext(v23) dst_sel:DWORD dst_unused:UNUSED_PAD src0_sel:BYTE_0
	v_cvt_f32_i32_sdwa v31, sext(v23) dst_sel:DWORD dst_unused:UNUSED_PAD src0_sel:BYTE_1
	v_cvt_f32_i32_sdwa v32, sext(v23) dst_sel:DWORD dst_unused:UNUSED_PAD src0_sel:BYTE_2
	v_cvt_f32_i32_sdwa v23, sext(v23) dst_sel:DWORD dst_unused:UNUSED_PAD src0_sel:BYTE_3
	v_fmac_f32_e32 v13, v25, v24
	v_cvt_f32_i32_sdwa v25, sext(v27) dst_sel:DWORD dst_unused:UNUSED_PAD src0_sel:BYTE_1
	v_fmac_f32_e32 v13, v25, v31
	v_cvt_f32_i32_sdwa v25, sext(v27) dst_sel:DWORD dst_unused:UNUSED_PAD src0_sel:BYTE_2
	v_fmac_f32_e32 v13, v25, v32
	v_cvt_f32_i32_sdwa v25, sext(v27) dst_sel:DWORD dst_unused:UNUSED_PAD src0_sel:BYTE_3
	v_fmac_f32_e32 v13, v25, v23
	v_cvt_f32_i32_sdwa v25, sext(v28) dst_sel:DWORD dst_unused:UNUSED_PAD src0_sel:BYTE_0
	v_fmac_f32_e32 v26, v25, v24
	v_cvt_f32_i32_sdwa v25, sext(v28) dst_sel:DWORD dst_unused:UNUSED_PAD src0_sel:BYTE_1
	v_fmac_f32_e32 v26, v25, v31
	v_cvt_f32_i32_sdwa v25, sext(v28) dst_sel:DWORD dst_unused:UNUSED_PAD src0_sel:BYTE_2
	v_fmac_f32_e32 v26, v25, v32
	v_cvt_f32_i32_sdwa v25, sext(v28) dst_sel:DWORD dst_unused:UNUSED_PAD src0_sel:BYTE_3
	v_fmac_f32_e32 v26, v25, v23
	v_cvt_f32_i32_sdwa v25, sext(v29) dst_sel:DWORD dst_unused:UNUSED_PAD src0_sel:BYTE_0
	;; [unrolled: 8-line block ×3, first 2 shown]
	v_fmac_f32_e32 v3, v25, v24
	v_cvt_f32_i32_sdwa v24, sext(v30) dst_sel:DWORD dst_unused:UNUSED_PAD src0_sel:BYTE_1
	v_fmac_f32_e32 v3, v24, v31
	v_cvt_f32_i32_sdwa v24, sext(v30) dst_sel:DWORD dst_unused:UNUSED_PAD src0_sel:BYTE_2
	v_fmac_f32_e32 v3, v24, v32
	v_cvt_f32_i32_sdwa v24, sext(v30) dst_sel:DWORD dst_unused:UNUSED_PAD src0_sel:BYTE_3
	global_load_dwordx4 v[27:30], v[18:19], off offset:128
	v_fmac_f32_e32 v3, v24, v23
	global_load_dwordx2 v[23:24], v[20:21], off offset:-64
	s_waitcnt vmcnt(1)
	v_cvt_f32_i32_sdwa v25, sext(v27) dst_sel:DWORD dst_unused:UNUSED_PAD src0_sel:BYTE_0
	s_waitcnt vmcnt(0)
	v_sub_co_u32_e32 v23, vcc, v23, v1
	v_subb_co_u32_e32 v24, vcc, v24, v2, vcc
	v_lshlrev_b64 v[23:24], 2, v[23:24]
	v_add_co_u32_e32 v23, vcc, s6, v23
	v_addc_co_u32_e32 v24, vcc, v22, v24, vcc
	global_load_dword v23, v[23:24], off
	s_waitcnt vmcnt(0)
	v_cvt_f32_i32_sdwa v24, sext(v23) dst_sel:DWORD dst_unused:UNUSED_PAD src0_sel:BYTE_0
	v_cvt_f32_i32_sdwa v31, sext(v23) dst_sel:DWORD dst_unused:UNUSED_PAD src0_sel:BYTE_1
	v_cvt_f32_i32_sdwa v32, sext(v23) dst_sel:DWORD dst_unused:UNUSED_PAD src0_sel:BYTE_2
	v_cvt_f32_i32_sdwa v23, sext(v23) dst_sel:DWORD dst_unused:UNUSED_PAD src0_sel:BYTE_3
	v_fmac_f32_e32 v13, v25, v24
	v_cvt_f32_i32_sdwa v25, sext(v27) dst_sel:DWORD dst_unused:UNUSED_PAD src0_sel:BYTE_1
	v_fmac_f32_e32 v13, v25, v31
	v_cvt_f32_i32_sdwa v25, sext(v27) dst_sel:DWORD dst_unused:UNUSED_PAD src0_sel:BYTE_2
	v_fmac_f32_e32 v13, v25, v32
	v_cvt_f32_i32_sdwa v25, sext(v27) dst_sel:DWORD dst_unused:UNUSED_PAD src0_sel:BYTE_3
	v_fmac_f32_e32 v13, v25, v23
	v_cvt_f32_i32_sdwa v25, sext(v28) dst_sel:DWORD dst_unused:UNUSED_PAD src0_sel:BYTE_0
	v_fmac_f32_e32 v26, v25, v24
	v_cvt_f32_i32_sdwa v25, sext(v28) dst_sel:DWORD dst_unused:UNUSED_PAD src0_sel:BYTE_1
	v_fmac_f32_e32 v26, v25, v31
	v_cvt_f32_i32_sdwa v25, sext(v28) dst_sel:DWORD dst_unused:UNUSED_PAD src0_sel:BYTE_2
	v_fmac_f32_e32 v26, v25, v32
	v_cvt_f32_i32_sdwa v25, sext(v28) dst_sel:DWORD dst_unused:UNUSED_PAD src0_sel:BYTE_3
	v_fmac_f32_e32 v26, v25, v23
	v_cvt_f32_i32_sdwa v25, sext(v29) dst_sel:DWORD dst_unused:UNUSED_PAD src0_sel:BYTE_0
	;; [unrolled: 8-line block ×3, first 2 shown]
	v_fmac_f32_e32 v3, v25, v24
	v_cvt_f32_i32_sdwa v24, sext(v30) dst_sel:DWORD dst_unused:UNUSED_PAD src0_sel:BYTE_1
	v_fmac_f32_e32 v3, v24, v31
	v_cvt_f32_i32_sdwa v24, sext(v30) dst_sel:DWORD dst_unused:UNUSED_PAD src0_sel:BYTE_2
	v_fmac_f32_e32 v3, v24, v32
	v_cvt_f32_i32_sdwa v24, sext(v30) dst_sel:DWORD dst_unused:UNUSED_PAD src0_sel:BYTE_3
	global_load_dwordx4 v[27:30], v[18:19], off offset:256
	v_fmac_f32_e32 v3, v24, v23
	global_load_dwordx2 v[23:24], v[20:21], off
	s_waitcnt vmcnt(1)
	v_cvt_f32_i32_sdwa v25, sext(v27) dst_sel:DWORD dst_unused:UNUSED_PAD src0_sel:BYTE_0
	s_waitcnt vmcnt(0)
	v_sub_co_u32_e32 v23, vcc, v23, v1
	v_subb_co_u32_e32 v24, vcc, v24, v2, vcc
	v_lshlrev_b64 v[23:24], 2, v[23:24]
	v_add_co_u32_e32 v23, vcc, s6, v23
	v_addc_co_u32_e32 v24, vcc, v22, v24, vcc
	global_load_dword v23, v[23:24], off
	s_waitcnt vmcnt(0)
	v_cvt_f32_i32_sdwa v24, sext(v23) dst_sel:DWORD dst_unused:UNUSED_PAD src0_sel:BYTE_0
	v_cvt_f32_i32_sdwa v31, sext(v23) dst_sel:DWORD dst_unused:UNUSED_PAD src0_sel:BYTE_1
	v_cvt_f32_i32_sdwa v32, sext(v23) dst_sel:DWORD dst_unused:UNUSED_PAD src0_sel:BYTE_2
	v_cvt_f32_i32_sdwa v23, sext(v23) dst_sel:DWORD dst_unused:UNUSED_PAD src0_sel:BYTE_3
	v_fmac_f32_e32 v13, v25, v24
	v_cvt_f32_i32_sdwa v25, sext(v27) dst_sel:DWORD dst_unused:UNUSED_PAD src0_sel:BYTE_1
	v_fmac_f32_e32 v13, v25, v31
	v_cvt_f32_i32_sdwa v25, sext(v27) dst_sel:DWORD dst_unused:UNUSED_PAD src0_sel:BYTE_2
	v_fmac_f32_e32 v13, v25, v32
	v_cvt_f32_i32_sdwa v25, sext(v27) dst_sel:DWORD dst_unused:UNUSED_PAD src0_sel:BYTE_3
	v_fmac_f32_e32 v13, v25, v23
	v_cvt_f32_i32_sdwa v25, sext(v28) dst_sel:DWORD dst_unused:UNUSED_PAD src0_sel:BYTE_0
	v_fmac_f32_e32 v26, v25, v24
	v_cvt_f32_i32_sdwa v25, sext(v28) dst_sel:DWORD dst_unused:UNUSED_PAD src0_sel:BYTE_1
	v_fmac_f32_e32 v26, v25, v31
	v_cvt_f32_i32_sdwa v25, sext(v28) dst_sel:DWORD dst_unused:UNUSED_PAD src0_sel:BYTE_2
	v_fmac_f32_e32 v26, v25, v32
	v_cvt_f32_i32_sdwa v25, sext(v28) dst_sel:DWORD dst_unused:UNUSED_PAD src0_sel:BYTE_3
	v_fmac_f32_e32 v26, v25, v23
	v_cvt_f32_i32_sdwa v25, sext(v29) dst_sel:DWORD dst_unused:UNUSED_PAD src0_sel:BYTE_0
	;; [unrolled: 8-line block ×3, first 2 shown]
	v_fmac_f32_e32 v3, v25, v24
	v_cvt_f32_i32_sdwa v24, sext(v30) dst_sel:DWORD dst_unused:UNUSED_PAD src0_sel:BYTE_1
	v_fmac_f32_e32 v3, v24, v31
	v_cvt_f32_i32_sdwa v24, sext(v30) dst_sel:DWORD dst_unused:UNUSED_PAD src0_sel:BYTE_2
	v_fmac_f32_e32 v3, v24, v32
	v_cvt_f32_i32_sdwa v24, sext(v30) dst_sel:DWORD dst_unused:UNUSED_PAD src0_sel:BYTE_3
	global_load_dwordx4 v[27:30], v[18:19], off offset:384
	v_fmac_f32_e32 v3, v24, v23
	global_load_dwordx2 v[23:24], v[20:21], off offset:64
	s_waitcnt vmcnt(1)
	v_cvt_f32_i32_sdwa v25, sext(v27) dst_sel:DWORD dst_unused:UNUSED_PAD src0_sel:BYTE_0
	s_waitcnt vmcnt(0)
	v_sub_co_u32_e32 v23, vcc, v23, v1
	v_subb_co_u32_e32 v24, vcc, v24, v2, vcc
	v_lshlrev_b64 v[23:24], 2, v[23:24]
	v_add_co_u32_e32 v23, vcc, s6, v23
	v_addc_co_u32_e32 v24, vcc, v22, v24, vcc
	global_load_dword v23, v[23:24], off
	v_add_co_u32_e32 v18, vcc, s14, v18
	v_addc_co_u32_e32 v19, vcc, 0, v19, vcc
	v_add_co_u32_e32 v16, vcc, 32, v16
	v_addc_co_u32_e32 v17, vcc, 0, v17, vcc
	;; [unrolled: 2-line block ×3, first 2 shown]
	v_cmp_ge_i64_e32 vcc, v[16:17], v[8:9]
	s_or_b64 s[10:11], vcc, s[10:11]
	s_waitcnt vmcnt(0)
	v_cvt_f32_i32_sdwa v24, sext(v23) dst_sel:DWORD dst_unused:UNUSED_PAD src0_sel:BYTE_0
	v_cvt_f32_i32_sdwa v31, sext(v23) dst_sel:DWORD dst_unused:UNUSED_PAD src0_sel:BYTE_1
	v_cvt_f32_i32_sdwa v32, sext(v23) dst_sel:DWORD dst_unused:UNUSED_PAD src0_sel:BYTE_2
	v_cvt_f32_i32_sdwa v23, sext(v23) dst_sel:DWORD dst_unused:UNUSED_PAD src0_sel:BYTE_3
	v_fmac_f32_e32 v13, v25, v24
	v_cvt_f32_i32_sdwa v25, sext(v27) dst_sel:DWORD dst_unused:UNUSED_PAD src0_sel:BYTE_1
	v_fmac_f32_e32 v13, v25, v31
	v_cvt_f32_i32_sdwa v25, sext(v27) dst_sel:DWORD dst_unused:UNUSED_PAD src0_sel:BYTE_2
	v_fmac_f32_e32 v13, v25, v32
	v_cvt_f32_i32_sdwa v25, sext(v27) dst_sel:DWORD dst_unused:UNUSED_PAD src0_sel:BYTE_3
	v_fmac_f32_e32 v13, v25, v23
	v_cvt_f32_i32_sdwa v25, sext(v28) dst_sel:DWORD dst_unused:UNUSED_PAD src0_sel:BYTE_0
	v_fmac_f32_e32 v26, v25, v24
	v_cvt_f32_i32_sdwa v25, sext(v28) dst_sel:DWORD dst_unused:UNUSED_PAD src0_sel:BYTE_1
	v_fmac_f32_e32 v26, v25, v31
	v_cvt_f32_i32_sdwa v25, sext(v28) dst_sel:DWORD dst_unused:UNUSED_PAD src0_sel:BYTE_2
	v_fmac_f32_e32 v26, v25, v32
	v_cvt_f32_i32_sdwa v25, sext(v28) dst_sel:DWORD dst_unused:UNUSED_PAD src0_sel:BYTE_3
	v_fmac_f32_e32 v26, v25, v23
	v_cvt_f32_i32_sdwa v25, sext(v29) dst_sel:DWORD dst_unused:UNUSED_PAD src0_sel:BYTE_0
	;; [unrolled: 8-line block ×3, first 2 shown]
	v_fmac_f32_e32 v3, v25, v24
	v_cvt_f32_i32_sdwa v24, sext(v30) dst_sel:DWORD dst_unused:UNUSED_PAD src0_sel:BYTE_1
	v_fmac_f32_e32 v3, v24, v31
	v_cvt_f32_i32_sdwa v24, sext(v30) dst_sel:DWORD dst_unused:UNUSED_PAD src0_sel:BYTE_2
	v_fmac_f32_e32 v3, v24, v32
	v_cvt_f32_i32_sdwa v24, sext(v30) dst_sel:DWORD dst_unused:UNUSED_PAD src0_sel:BYTE_3
	v_fmac_f32_e32 v3, v24, v23
	s_andn2_b64 exec, exec, s[10:11]
	s_cbranch_execnz .LBB86_23
; %bb.24:
	s_or_b64 exec, exec, s[10:11]
.LBB86_25:
	s_or_b64 exec, exec, s[2:3]
.LBB86_26:
	s_or_b64 exec, exec, s[8:9]
	s_cbranch_execz .LBB86_28
	s_branch .LBB86_39
.LBB86_27:
                                        ; implicit-def: $vgpr3
                                        ; implicit-def: $vgpr12
                                        ; implicit-def: $vgpr26
                                        ; implicit-def: $vgpr13
.LBB86_28:
	v_mov_b32_e32 v3, 0
	v_mov_b32_e32 v12, 0
	;; [unrolled: 1-line block ×4, first 2 shown]
	s_and_saveexec_b64 s[2:3], s[0:1]
	s_cbranch_execz .LBB86_38
; %bb.29:
	v_or_b32_e32 v3, 8, v0
	v_sub_co_u32_e32 v3, vcc, v3, v1
	v_subb_co_u32_e32 v13, vcc, 0, v2, vcc
	v_add_co_u32_e32 v12, vcc, v3, v14
	v_addc_co_u32_e32 v13, vcc, v13, v15, vcc
	v_cmp_gt_i64_e32 vcc, v[12:13], v[8:9]
	v_not_b32_e32 v14, v14
	v_cndmask_b32_e32 v3, v9, v13, vcc
	v_cndmask_b32_e32 v12, v8, v12, vcc
	v_not_b32_e32 v13, v15
	v_sub_co_u32_e32 v15, vcc, v1, v0
	v_subbrev_co_u32_e32 v16, vcc, 0, v2, vcc
	v_add_co_u32_e32 v14, vcc, v15, v14
	v_addc_co_u32_e32 v13, vcc, v16, v13, vcc
	v_add_co_u32_e32 v14, vcc, v14, v12
	v_addc_co_u32_e32 v15, vcc, v13, v3, vcc
	v_and_b32_e32 v12, 24, v14
	v_mov_b32_e32 v13, 0
	v_cmp_ne_u64_e32 vcc, 24, v[12:13]
	v_mov_b32_e32 v26, v13
	v_mov_b32_e32 v12, v13
	;; [unrolled: 1-line block ×3, first 2 shown]
	s_and_saveexec_b64 s[8:9], vcc
	s_cbranch_execz .LBB86_33
; %bb.30:
	v_lshlrev_b64 v[12:13], 3, v[6:7]
	v_lshrrev_b32_e32 v3, 3, v14
	v_add_u32_e32 v3, 1, v3
	v_mov_b32_e32 v17, s13
	v_add_co_u32_e32 v16, vcc, s12, v12
	v_and_b32_e32 v18, 3, v3
	v_addc_co_u32_e32 v17, vcc, v17, v13, vcc
	v_sub_co_u32_e32 v18, vcc, 0, v18
	v_mov_b32_e32 v3, 0
	s_mov_b64 s[10:11], 0
	v_subb_co_u32_e64 v19, s[0:1], 0, 0, vcc
	s_movk_i32 s14, 0x80
	v_mov_b32_e32 v20, s7
	v_mov_b32_e32 v12, 0
	;; [unrolled: 1-line block ×4, first 2 shown]
.LBB86_31:                              ; =>This Inner Loop Header: Depth=1
	global_load_dwordx2 v[27:28], v[16:17], off
	global_load_dwordx4 v[21:24], v[10:11], off
	v_add_co_u32_e64 v6, s[0:1], 8, v6
	v_addc_co_u32_e64 v7, s[0:1], 0, v7, s[0:1]
	v_add_co_u32_e64 v16, s[0:1], 64, v16
	v_addc_co_u32_e64 v17, s[0:1], 0, v17, s[0:1]
	;; [unrolled: 2-line block ×3, first 2 shown]
	v_cmp_eq_u64_e64 s[0:1], 0, v[18:19]
	s_or_b64 s[10:11], s[0:1], s[10:11]
	s_waitcnt vmcnt(1)
	v_sub_co_u32_e32 v27, vcc, v27, v1
	v_subb_co_u32_e32 v28, vcc, v28, v2, vcc
	v_lshlrev_b64 v[27:28], 2, v[27:28]
	s_waitcnt vmcnt(0)
	v_cvt_f32_i32_sdwa v29, sext(v21) dst_sel:DWORD dst_unused:UNUSED_PAD src0_sel:BYTE_2
	v_add_co_u32_e32 v27, vcc, s6, v27
	v_addc_co_u32_e32 v28, vcc, v20, v28, vcc
	global_load_dword v25, v[27:28], off
	v_cvt_f32_i32_sdwa v27, sext(v21) dst_sel:DWORD dst_unused:UNUSED_PAD src0_sel:BYTE_0
	v_cvt_f32_i32_sdwa v28, sext(v21) dst_sel:DWORD dst_unused:UNUSED_PAD src0_sel:BYTE_1
	v_cvt_f32_i32_sdwa v21, sext(v21) dst_sel:DWORD dst_unused:UNUSED_PAD src0_sel:BYTE_3
	v_cvt_f32_i32_sdwa v30, sext(v22) dst_sel:DWORD dst_unused:UNUSED_PAD src0_sel:BYTE_0
	v_cvt_f32_i32_sdwa v31, sext(v22) dst_sel:DWORD dst_unused:UNUSED_PAD src0_sel:BYTE_1
	v_cvt_f32_i32_sdwa v32, sext(v22) dst_sel:DWORD dst_unused:UNUSED_PAD src0_sel:BYTE_2
	v_cvt_f32_i32_sdwa v22, sext(v22) dst_sel:DWORD dst_unused:UNUSED_PAD src0_sel:BYTE_3
	v_cvt_f32_i32_sdwa v33, sext(v23) dst_sel:DWORD dst_unused:UNUSED_PAD src0_sel:BYTE_0
	v_cvt_f32_i32_sdwa v34, sext(v23) dst_sel:DWORD dst_unused:UNUSED_PAD src0_sel:BYTE_1
	v_cvt_f32_i32_sdwa v35, sext(v23) dst_sel:DWORD dst_unused:UNUSED_PAD src0_sel:BYTE_2
	;; [unrolled: 4-line block ×3, first 2 shown]
	v_cvt_f32_i32_sdwa v24, sext(v24) dst_sel:DWORD dst_unused:UNUSED_PAD src0_sel:BYTE_3
	v_add_co_u32_e32 v10, vcc, s14, v10
	v_addc_co_u32_e32 v11, vcc, 0, v11, vcc
	s_waitcnt vmcnt(0)
	v_cvt_f32_i32_sdwa v39, sext(v25) dst_sel:DWORD dst_unused:UNUSED_PAD src0_sel:BYTE_0
	v_cvt_f32_i32_sdwa v40, sext(v25) dst_sel:DWORD dst_unused:UNUSED_PAD src0_sel:BYTE_1
	v_cvt_f32_i32_sdwa v41, sext(v25) dst_sel:DWORD dst_unused:UNUSED_PAD src0_sel:BYTE_2
	v_cvt_f32_i32_sdwa v25, sext(v25) dst_sel:DWORD dst_unused:UNUSED_PAD src0_sel:BYTE_3
	v_fmac_f32_e32 v13, v27, v39
	v_fmac_f32_e32 v26, v28, v39
	;; [unrolled: 1-line block ×16, first 2 shown]
	s_andn2_b64 exec, exec, s[10:11]
	s_cbranch_execnz .LBB86_31
; %bb.32:
	s_or_b64 exec, exec, s[10:11]
.LBB86_33:
	s_or_b64 exec, exec, s[8:9]
	v_cmp_lt_u64_e32 vcc, 23, v[14:15]
	s_and_saveexec_b64 s[0:1], vcc
	s_cbranch_execz .LBB86_37
; %bb.34:
	v_lshlrev_b64 v[14:15], 3, v[6:7]
	v_mov_b32_e32 v16, s13
	v_add_co_u32_e32 v14, vcc, s12, v14
	v_addc_co_u32_e32 v15, vcc, v16, v15, vcc
	v_add_co_u32_e32 v14, vcc, 0x80, v14
	v_addc_co_u32_e32 v15, vcc, 0, v15, vcc
	s_mov_b64 s[8:9], 0
	v_mov_b32_e32 v16, s7
	s_movk_i32 s7, 0x200
.LBB86_35:                              ; =>This Inner Loop Header: Depth=1
	global_load_dwordx2 v[17:18], v[14:15], off offset:-128
	s_waitcnt vmcnt(0)
	v_sub_co_u32_e32 v17, vcc, v17, v1
	v_subb_co_u32_e32 v18, vcc, v18, v2, vcc
	v_lshlrev_b64 v[21:22], 2, v[17:18]
	global_load_dwordx4 v[17:20], v[10:11], off
	v_add_co_u32_e32 v21, vcc, s6, v21
	v_addc_co_u32_e32 v22, vcc, v16, v22, vcc
	global_load_dword v21, v[21:22], off
	s_waitcnt vmcnt(1)
	v_cvt_f32_i32_sdwa v23, sext(v17) dst_sel:DWORD dst_unused:UNUSED_PAD src0_sel:BYTE_0
	s_waitcnt vmcnt(0)
	v_cvt_f32_i32_sdwa v22, sext(v21) dst_sel:DWORD dst_unused:UNUSED_PAD src0_sel:BYTE_0
	v_fmac_f32_e32 v13, v23, v22
	v_cvt_f32_i32_sdwa v23, sext(v17) dst_sel:DWORD dst_unused:UNUSED_PAD src0_sel:BYTE_1
	v_fmac_f32_e32 v26, v23, v22
	v_cvt_f32_i32_sdwa v23, sext(v17) dst_sel:DWORD dst_unused:UNUSED_PAD src0_sel:BYTE_2
	v_cvt_f32_i32_sdwa v17, sext(v17) dst_sel:DWORD dst_unused:UNUSED_PAD src0_sel:BYTE_3
	v_fmac_f32_e32 v12, v23, v22
	v_fmac_f32_e32 v3, v17, v22
	v_cvt_f32_i32_sdwa v17, sext(v18) dst_sel:DWORD dst_unused:UNUSED_PAD src0_sel:BYTE_0
	v_cvt_f32_i32_sdwa v22, sext(v21) dst_sel:DWORD dst_unused:UNUSED_PAD src0_sel:BYTE_1
	v_fmac_f32_e32 v13, v17, v22
	v_cvt_f32_i32_sdwa v17, sext(v18) dst_sel:DWORD dst_unused:UNUSED_PAD src0_sel:BYTE_1
	v_fmac_f32_e32 v26, v17, v22
	v_cvt_f32_i32_sdwa v17, sext(v18) dst_sel:DWORD dst_unused:UNUSED_PAD src0_sel:BYTE_2
	v_fmac_f32_e32 v12, v17, v22
	v_cvt_f32_i32_sdwa v17, sext(v18) dst_sel:DWORD dst_unused:UNUSED_PAD src0_sel:BYTE_3
	v_cvt_f32_i32_sdwa v18, sext(v21) dst_sel:DWORD dst_unused:UNUSED_PAD src0_sel:BYTE_2
	v_fmac_f32_e32 v3, v17, v22
	v_cvt_f32_i32_sdwa v17, sext(v19) dst_sel:DWORD dst_unused:UNUSED_PAD src0_sel:BYTE_0
	v_fmac_f32_e32 v13, v17, v18
	v_cvt_f32_i32_sdwa v17, sext(v19) dst_sel:DWORD dst_unused:UNUSED_PAD src0_sel:BYTE_1
	v_fmac_f32_e32 v26, v17, v18
	v_cvt_f32_i32_sdwa v17, sext(v19) dst_sel:DWORD dst_unused:UNUSED_PAD src0_sel:BYTE_2
	v_fmac_f32_e32 v12, v17, v18
	v_cvt_f32_i32_sdwa v17, sext(v19) dst_sel:DWORD dst_unused:UNUSED_PAD src0_sel:BYTE_3
	v_fmac_f32_e32 v3, v17, v18
	v_cvt_f32_i32_sdwa v17, sext(v20) dst_sel:DWORD dst_unused:UNUSED_PAD src0_sel:BYTE_0
	v_cvt_f32_i32_sdwa v18, sext(v21) dst_sel:DWORD dst_unused:UNUSED_PAD src0_sel:BYTE_3
	v_fmac_f32_e32 v13, v17, v18
	v_cvt_f32_i32_sdwa v17, sext(v20) dst_sel:DWORD dst_unused:UNUSED_PAD src0_sel:BYTE_1
	v_fmac_f32_e32 v26, v17, v18
	v_cvt_f32_i32_sdwa v17, sext(v20) dst_sel:DWORD dst_unused:UNUSED_PAD src0_sel:BYTE_2
	v_fmac_f32_e32 v12, v17, v18
	v_cvt_f32_i32_sdwa v17, sext(v20) dst_sel:DWORD dst_unused:UNUSED_PAD src0_sel:BYTE_3
	v_fmac_f32_e32 v3, v17, v18
	global_load_dwordx2 v[17:18], v[14:15], off offset:-64
	s_waitcnt vmcnt(0)
	v_sub_co_u32_e32 v17, vcc, v17, v1
	v_subb_co_u32_e32 v18, vcc, v18, v2, vcc
	v_lshlrev_b64 v[21:22], 2, v[17:18]
	global_load_dwordx4 v[17:20], v[10:11], off offset:128
	v_add_co_u32_e32 v21, vcc, s6, v21
	v_addc_co_u32_e32 v22, vcc, v16, v22, vcc
	global_load_dword v21, v[21:22], off
	s_waitcnt vmcnt(1)
	v_cvt_f32_i32_sdwa v23, sext(v17) dst_sel:DWORD dst_unused:UNUSED_PAD src0_sel:BYTE_0
	s_waitcnt vmcnt(0)
	v_cvt_f32_i32_sdwa v22, sext(v21) dst_sel:DWORD dst_unused:UNUSED_PAD src0_sel:BYTE_0
	v_fmac_f32_e32 v13, v23, v22
	v_cvt_f32_i32_sdwa v23, sext(v17) dst_sel:DWORD dst_unused:UNUSED_PAD src0_sel:BYTE_1
	v_fmac_f32_e32 v26, v23, v22
	v_cvt_f32_i32_sdwa v23, sext(v17) dst_sel:DWORD dst_unused:UNUSED_PAD src0_sel:BYTE_2
	v_cvt_f32_i32_sdwa v17, sext(v17) dst_sel:DWORD dst_unused:UNUSED_PAD src0_sel:BYTE_3
	v_fmac_f32_e32 v12, v23, v22
	v_fmac_f32_e32 v3, v17, v22
	v_cvt_f32_i32_sdwa v17, sext(v18) dst_sel:DWORD dst_unused:UNUSED_PAD src0_sel:BYTE_0
	v_cvt_f32_i32_sdwa v22, sext(v21) dst_sel:DWORD dst_unused:UNUSED_PAD src0_sel:BYTE_1
	v_fmac_f32_e32 v13, v17, v22
	v_cvt_f32_i32_sdwa v17, sext(v18) dst_sel:DWORD dst_unused:UNUSED_PAD src0_sel:BYTE_1
	v_fmac_f32_e32 v26, v17, v22
	v_cvt_f32_i32_sdwa v17, sext(v18) dst_sel:DWORD dst_unused:UNUSED_PAD src0_sel:BYTE_2
	v_fmac_f32_e32 v12, v17, v22
	v_cvt_f32_i32_sdwa v17, sext(v18) dst_sel:DWORD dst_unused:UNUSED_PAD src0_sel:BYTE_3
	v_cvt_f32_i32_sdwa v18, sext(v21) dst_sel:DWORD dst_unused:UNUSED_PAD src0_sel:BYTE_2
	v_fmac_f32_e32 v3, v17, v22
	v_cvt_f32_i32_sdwa v17, sext(v19) dst_sel:DWORD dst_unused:UNUSED_PAD src0_sel:BYTE_0
	v_fmac_f32_e32 v13, v17, v18
	v_cvt_f32_i32_sdwa v17, sext(v19) dst_sel:DWORD dst_unused:UNUSED_PAD src0_sel:BYTE_1
	v_fmac_f32_e32 v26, v17, v18
	v_cvt_f32_i32_sdwa v17, sext(v19) dst_sel:DWORD dst_unused:UNUSED_PAD src0_sel:BYTE_2
	v_fmac_f32_e32 v12, v17, v18
	v_cvt_f32_i32_sdwa v17, sext(v19) dst_sel:DWORD dst_unused:UNUSED_PAD src0_sel:BYTE_3
	v_fmac_f32_e32 v3, v17, v18
	v_cvt_f32_i32_sdwa v17, sext(v20) dst_sel:DWORD dst_unused:UNUSED_PAD src0_sel:BYTE_0
	v_cvt_f32_i32_sdwa v18, sext(v21) dst_sel:DWORD dst_unused:UNUSED_PAD src0_sel:BYTE_3
	v_fmac_f32_e32 v13, v17, v18
	v_cvt_f32_i32_sdwa v17, sext(v20) dst_sel:DWORD dst_unused:UNUSED_PAD src0_sel:BYTE_1
	v_fmac_f32_e32 v26, v17, v18
	v_cvt_f32_i32_sdwa v17, sext(v20) dst_sel:DWORD dst_unused:UNUSED_PAD src0_sel:BYTE_2
	v_fmac_f32_e32 v12, v17, v18
	v_cvt_f32_i32_sdwa v17, sext(v20) dst_sel:DWORD dst_unused:UNUSED_PAD src0_sel:BYTE_3
	v_fmac_f32_e32 v3, v17, v18
	global_load_dwordx2 v[17:18], v[14:15], off
	s_waitcnt vmcnt(0)
	v_sub_co_u32_e32 v17, vcc, v17, v1
	v_subb_co_u32_e32 v18, vcc, v18, v2, vcc
	v_lshlrev_b64 v[21:22], 2, v[17:18]
	global_load_dwordx4 v[17:20], v[10:11], off offset:256
	v_add_co_u32_e32 v21, vcc, s6, v21
	v_addc_co_u32_e32 v22, vcc, v16, v22, vcc
	global_load_dword v21, v[21:22], off
	s_waitcnt vmcnt(1)
	v_cvt_f32_i32_sdwa v23, sext(v17) dst_sel:DWORD dst_unused:UNUSED_PAD src0_sel:BYTE_0
	s_waitcnt vmcnt(0)
	v_cvt_f32_i32_sdwa v22, sext(v21) dst_sel:DWORD dst_unused:UNUSED_PAD src0_sel:BYTE_0
	v_fmac_f32_e32 v13, v23, v22
	v_cvt_f32_i32_sdwa v23, sext(v17) dst_sel:DWORD dst_unused:UNUSED_PAD src0_sel:BYTE_1
	v_fmac_f32_e32 v26, v23, v22
	v_cvt_f32_i32_sdwa v23, sext(v17) dst_sel:DWORD dst_unused:UNUSED_PAD src0_sel:BYTE_2
	v_cvt_f32_i32_sdwa v17, sext(v17) dst_sel:DWORD dst_unused:UNUSED_PAD src0_sel:BYTE_3
	v_fmac_f32_e32 v12, v23, v22
	v_fmac_f32_e32 v3, v17, v22
	v_cvt_f32_i32_sdwa v17, sext(v18) dst_sel:DWORD dst_unused:UNUSED_PAD src0_sel:BYTE_0
	v_cvt_f32_i32_sdwa v22, sext(v21) dst_sel:DWORD dst_unused:UNUSED_PAD src0_sel:BYTE_1
	v_fmac_f32_e32 v13, v17, v22
	v_cvt_f32_i32_sdwa v17, sext(v18) dst_sel:DWORD dst_unused:UNUSED_PAD src0_sel:BYTE_1
	v_fmac_f32_e32 v26, v17, v22
	v_cvt_f32_i32_sdwa v17, sext(v18) dst_sel:DWORD dst_unused:UNUSED_PAD src0_sel:BYTE_2
	v_fmac_f32_e32 v12, v17, v22
	v_cvt_f32_i32_sdwa v17, sext(v18) dst_sel:DWORD dst_unused:UNUSED_PAD src0_sel:BYTE_3
	v_cvt_f32_i32_sdwa v18, sext(v21) dst_sel:DWORD dst_unused:UNUSED_PAD src0_sel:BYTE_2
	v_fmac_f32_e32 v3, v17, v22
	v_cvt_f32_i32_sdwa v17, sext(v19) dst_sel:DWORD dst_unused:UNUSED_PAD src0_sel:BYTE_0
	v_fmac_f32_e32 v13, v17, v18
	v_cvt_f32_i32_sdwa v17, sext(v19) dst_sel:DWORD dst_unused:UNUSED_PAD src0_sel:BYTE_1
	v_fmac_f32_e32 v26, v17, v18
	v_cvt_f32_i32_sdwa v17, sext(v19) dst_sel:DWORD dst_unused:UNUSED_PAD src0_sel:BYTE_2
	v_fmac_f32_e32 v12, v17, v18
	v_cvt_f32_i32_sdwa v17, sext(v19) dst_sel:DWORD dst_unused:UNUSED_PAD src0_sel:BYTE_3
	v_fmac_f32_e32 v3, v17, v18
	v_cvt_f32_i32_sdwa v17, sext(v20) dst_sel:DWORD dst_unused:UNUSED_PAD src0_sel:BYTE_0
	v_cvt_f32_i32_sdwa v18, sext(v21) dst_sel:DWORD dst_unused:UNUSED_PAD src0_sel:BYTE_3
	v_fmac_f32_e32 v13, v17, v18
	v_cvt_f32_i32_sdwa v17, sext(v20) dst_sel:DWORD dst_unused:UNUSED_PAD src0_sel:BYTE_1
	v_fmac_f32_e32 v26, v17, v18
	v_cvt_f32_i32_sdwa v17, sext(v20) dst_sel:DWORD dst_unused:UNUSED_PAD src0_sel:BYTE_2
	v_fmac_f32_e32 v12, v17, v18
	v_cvt_f32_i32_sdwa v17, sext(v20) dst_sel:DWORD dst_unused:UNUSED_PAD src0_sel:BYTE_3
	v_fmac_f32_e32 v3, v17, v18
	global_load_dwordx2 v[17:18], v[14:15], off offset:64
	s_waitcnt vmcnt(0)
	v_sub_co_u32_e32 v17, vcc, v17, v1
	v_subb_co_u32_e32 v18, vcc, v18, v2, vcc
	v_lshlrev_b64 v[21:22], 2, v[17:18]
	global_load_dwordx4 v[17:20], v[10:11], off offset:384
	v_add_co_u32_e32 v21, vcc, s6, v21
	v_addc_co_u32_e32 v22, vcc, v16, v22, vcc
	global_load_dword v21, v[21:22], off
	v_add_co_u32_e32 v10, vcc, s7, v10
	v_addc_co_u32_e32 v11, vcc, 0, v11, vcc
	v_add_co_u32_e32 v6, vcc, 32, v6
	v_addc_co_u32_e32 v7, vcc, 0, v7, vcc
	;; [unrolled: 2-line block ×3, first 2 shown]
	v_cmp_ge_i64_e32 vcc, v[6:7], v[8:9]
	s_or_b64 s[8:9], vcc, s[8:9]
	s_waitcnt vmcnt(1)
	v_cvt_f32_i32_sdwa v23, sext(v17) dst_sel:DWORD dst_unused:UNUSED_PAD src0_sel:BYTE_0
	s_waitcnt vmcnt(0)
	v_cvt_f32_i32_sdwa v22, sext(v21) dst_sel:DWORD dst_unused:UNUSED_PAD src0_sel:BYTE_0
	v_fmac_f32_e32 v13, v23, v22
	v_cvt_f32_i32_sdwa v23, sext(v17) dst_sel:DWORD dst_unused:UNUSED_PAD src0_sel:BYTE_1
	v_fmac_f32_e32 v26, v23, v22
	v_cvt_f32_i32_sdwa v23, sext(v17) dst_sel:DWORD dst_unused:UNUSED_PAD src0_sel:BYTE_2
	v_cvt_f32_i32_sdwa v17, sext(v17) dst_sel:DWORD dst_unused:UNUSED_PAD src0_sel:BYTE_3
	v_fmac_f32_e32 v12, v23, v22
	v_fmac_f32_e32 v3, v17, v22
	v_cvt_f32_i32_sdwa v17, sext(v18) dst_sel:DWORD dst_unused:UNUSED_PAD src0_sel:BYTE_0
	v_cvt_f32_i32_sdwa v22, sext(v21) dst_sel:DWORD dst_unused:UNUSED_PAD src0_sel:BYTE_1
	v_fmac_f32_e32 v13, v17, v22
	v_cvt_f32_i32_sdwa v17, sext(v18) dst_sel:DWORD dst_unused:UNUSED_PAD src0_sel:BYTE_1
	v_fmac_f32_e32 v26, v17, v22
	v_cvt_f32_i32_sdwa v17, sext(v18) dst_sel:DWORD dst_unused:UNUSED_PAD src0_sel:BYTE_2
	v_fmac_f32_e32 v12, v17, v22
	v_cvt_f32_i32_sdwa v17, sext(v18) dst_sel:DWORD dst_unused:UNUSED_PAD src0_sel:BYTE_3
	v_cvt_f32_i32_sdwa v18, sext(v21) dst_sel:DWORD dst_unused:UNUSED_PAD src0_sel:BYTE_2
	v_fmac_f32_e32 v3, v17, v22
	v_cvt_f32_i32_sdwa v17, sext(v19) dst_sel:DWORD dst_unused:UNUSED_PAD src0_sel:BYTE_0
	v_fmac_f32_e32 v13, v17, v18
	v_cvt_f32_i32_sdwa v17, sext(v19) dst_sel:DWORD dst_unused:UNUSED_PAD src0_sel:BYTE_1
	v_fmac_f32_e32 v26, v17, v18
	v_cvt_f32_i32_sdwa v17, sext(v19) dst_sel:DWORD dst_unused:UNUSED_PAD src0_sel:BYTE_2
	v_fmac_f32_e32 v12, v17, v18
	v_cvt_f32_i32_sdwa v17, sext(v19) dst_sel:DWORD dst_unused:UNUSED_PAD src0_sel:BYTE_3
	v_fmac_f32_e32 v3, v17, v18
	v_cvt_f32_i32_sdwa v17, sext(v20) dst_sel:DWORD dst_unused:UNUSED_PAD src0_sel:BYTE_0
	v_cvt_f32_i32_sdwa v18, sext(v21) dst_sel:DWORD dst_unused:UNUSED_PAD src0_sel:BYTE_3
	v_fmac_f32_e32 v13, v17, v18
	v_cvt_f32_i32_sdwa v17, sext(v20) dst_sel:DWORD dst_unused:UNUSED_PAD src0_sel:BYTE_1
	v_fmac_f32_e32 v26, v17, v18
	v_cvt_f32_i32_sdwa v17, sext(v20) dst_sel:DWORD dst_unused:UNUSED_PAD src0_sel:BYTE_2
	v_fmac_f32_e32 v12, v17, v18
	v_cvt_f32_i32_sdwa v17, sext(v20) dst_sel:DWORD dst_unused:UNUSED_PAD src0_sel:BYTE_3
	v_fmac_f32_e32 v3, v17, v18
	s_andn2_b64 exec, exec, s[8:9]
	s_cbranch_execnz .LBB86_35
; %bb.36:
	s_or_b64 exec, exec, s[8:9]
.LBB86_37:
	s_or_b64 exec, exec, s[0:1]
.LBB86_38:
	s_or_b64 exec, exec, s[2:3]
.LBB86_39:
	v_mov_b32_dpp v1, v13 row_shr:1 row_mask:0xf bank_mask:0xf
	v_mov_b32_dpp v6, v26 row_shr:1 row_mask:0xf bank_mask:0xf
	;; [unrolled: 1-line block ×4, first 2 shown]
	v_add_f32_e32 v1, v13, v1
	v_add_f32_e32 v6, v26, v6
	;; [unrolled: 1-line block ×4, first 2 shown]
	v_mov_b32_dpp v2, v1 row_shr:2 row_mask:0xf bank_mask:0xf
	v_mov_b32_dpp v7, v6 row_shr:2 row_mask:0xf bank_mask:0xf
	;; [unrolled: 1-line block ×4, first 2 shown]
	v_add_f32_e32 v1, v1, v2
	v_add_f32_e32 v6, v6, v7
	;; [unrolled: 1-line block ×4, first 2 shown]
	v_mov_b32_dpp v2, v1 row_shr:4 row_mask:0xf bank_mask:0xe
	v_mov_b32_dpp v7, v6 row_shr:4 row_mask:0xf bank_mask:0xe
	;; [unrolled: 1-line block ×4, first 2 shown]
	v_cmp_eq_u32_e32 vcc, 7, v0
	s_and_b64 exec, exec, vcc
	s_cbranch_execz .LBB86_10
; %bb.40:
	s_load_dwordx2 s[0:1], s[4:5], 0x58
	v_add_f32_e32 v0, v1, v2
	v_add_f32_e32 v1, v6, v7
	;; [unrolled: 1-line block ×4, first 2 shown]
	v_cmp_eq_f32_e64 s[2:3], s20, 0
	v_lshlrev_b64 v[4:5], 4, v[4:5]
	s_and_b64 vcc, exec, s[2:3]
	v_mul_f32_e32 v0, s16, v0
	v_mul_f32_e32 v1, s16, v1
	;; [unrolled: 1-line block ×4, first 2 shown]
	s_cbranch_vccz .LBB86_42
; %bb.41:
	s_waitcnt lgkmcnt(0)
	v_mov_b32_e32 v7, s1
	v_add_co_u32_e32 v6, vcc, s0, v4
	v_addc_co_u32_e32 v7, vcc, v7, v5, vcc
	global_store_dwordx4 v[6:7], v[0:3], off
	s_cbranch_execnz .LBB86_10
	s_branch .LBB86_43
.LBB86_42:
.LBB86_43:
	s_waitcnt lgkmcnt(0)
	v_mov_b32_e32 v6, s1
	v_add_co_u32_e32 v8, vcc, s0, v4
	v_addc_co_u32_e32 v9, vcc, v6, v5, vcc
	global_load_dwordx4 v[4:7], v[8:9], off
	s_waitcnt vmcnt(0)
	v_fmac_f32_e32 v0, s20, v4
	v_fmac_f32_e32 v1, s20, v5
	;; [unrolled: 1-line block ×4, first 2 shown]
	global_store_dwordx4 v[8:9], v[0:3], off
	s_endpgm
	.section	.rodata,"a",@progbits
	.p2align	6, 0x0
	.amdhsa_kernel _ZN9rocsparseL18bsrxmvn_4x4_kernelILj128ELj8EfllaafEEvT3_20rocsparse_direction_NS_24const_host_device_scalarIT1_EES1_PKS1_PKT2_SA_S7_PKT4_PKT5_S5_PT6_21rocsparse_index_base_b
		.amdhsa_group_segment_fixed_size 0
		.amdhsa_private_segment_fixed_size 0
		.amdhsa_kernarg_size 104
		.amdhsa_user_sgpr_count 6
		.amdhsa_user_sgpr_private_segment_buffer 1
		.amdhsa_user_sgpr_dispatch_ptr 0
		.amdhsa_user_sgpr_queue_ptr 0
		.amdhsa_user_sgpr_kernarg_segment_ptr 1
		.amdhsa_user_sgpr_dispatch_id 0
		.amdhsa_user_sgpr_flat_scratch_init 0
		.amdhsa_user_sgpr_private_segment_size 0
		.amdhsa_uses_dynamic_stack 0
		.amdhsa_system_sgpr_private_segment_wavefront_offset 0
		.amdhsa_system_sgpr_workgroup_id_x 1
		.amdhsa_system_sgpr_workgroup_id_y 0
		.amdhsa_system_sgpr_workgroup_id_z 0
		.amdhsa_system_sgpr_workgroup_info 0
		.amdhsa_system_vgpr_workitem_id 0
		.amdhsa_next_free_vgpr 48
		.amdhsa_next_free_sgpr 22
		.amdhsa_reserve_vcc 1
		.amdhsa_reserve_flat_scratch 0
		.amdhsa_float_round_mode_32 0
		.amdhsa_float_round_mode_16_64 0
		.amdhsa_float_denorm_mode_32 3
		.amdhsa_float_denorm_mode_16_64 3
		.amdhsa_dx10_clamp 1
		.amdhsa_ieee_mode 1
		.amdhsa_fp16_overflow 0
		.amdhsa_exception_fp_ieee_invalid_op 0
		.amdhsa_exception_fp_denorm_src 0
		.amdhsa_exception_fp_ieee_div_zero 0
		.amdhsa_exception_fp_ieee_overflow 0
		.amdhsa_exception_fp_ieee_underflow 0
		.amdhsa_exception_fp_ieee_inexact 0
		.amdhsa_exception_int_div_zero 0
	.end_amdhsa_kernel
	.section	.text._ZN9rocsparseL18bsrxmvn_4x4_kernelILj128ELj8EfllaafEEvT3_20rocsparse_direction_NS_24const_host_device_scalarIT1_EES1_PKS1_PKT2_SA_S7_PKT4_PKT5_S5_PT6_21rocsparse_index_base_b,"axG",@progbits,_ZN9rocsparseL18bsrxmvn_4x4_kernelILj128ELj8EfllaafEEvT3_20rocsparse_direction_NS_24const_host_device_scalarIT1_EES1_PKS1_PKT2_SA_S7_PKT4_PKT5_S5_PT6_21rocsparse_index_base_b,comdat
.Lfunc_end86:
	.size	_ZN9rocsparseL18bsrxmvn_4x4_kernelILj128ELj8EfllaafEEvT3_20rocsparse_direction_NS_24const_host_device_scalarIT1_EES1_PKS1_PKT2_SA_S7_PKT4_PKT5_S5_PT6_21rocsparse_index_base_b, .Lfunc_end86-_ZN9rocsparseL18bsrxmvn_4x4_kernelILj128ELj8EfllaafEEvT3_20rocsparse_direction_NS_24const_host_device_scalarIT1_EES1_PKS1_PKT2_SA_S7_PKT4_PKT5_S5_PT6_21rocsparse_index_base_b
                                        ; -- End function
	.set _ZN9rocsparseL18bsrxmvn_4x4_kernelILj128ELj8EfllaafEEvT3_20rocsparse_direction_NS_24const_host_device_scalarIT1_EES1_PKS1_PKT2_SA_S7_PKT4_PKT5_S5_PT6_21rocsparse_index_base_b.num_vgpr, 48
	.set _ZN9rocsparseL18bsrxmvn_4x4_kernelILj128ELj8EfllaafEEvT3_20rocsparse_direction_NS_24const_host_device_scalarIT1_EES1_PKS1_PKT2_SA_S7_PKT4_PKT5_S5_PT6_21rocsparse_index_base_b.num_agpr, 0
	.set _ZN9rocsparseL18bsrxmvn_4x4_kernelILj128ELj8EfllaafEEvT3_20rocsparse_direction_NS_24const_host_device_scalarIT1_EES1_PKS1_PKT2_SA_S7_PKT4_PKT5_S5_PT6_21rocsparse_index_base_b.numbered_sgpr, 22
	.set _ZN9rocsparseL18bsrxmvn_4x4_kernelILj128ELj8EfllaafEEvT3_20rocsparse_direction_NS_24const_host_device_scalarIT1_EES1_PKS1_PKT2_SA_S7_PKT4_PKT5_S5_PT6_21rocsparse_index_base_b.num_named_barrier, 0
	.set _ZN9rocsparseL18bsrxmvn_4x4_kernelILj128ELj8EfllaafEEvT3_20rocsparse_direction_NS_24const_host_device_scalarIT1_EES1_PKS1_PKT2_SA_S7_PKT4_PKT5_S5_PT6_21rocsparse_index_base_b.private_seg_size, 0
	.set _ZN9rocsparseL18bsrxmvn_4x4_kernelILj128ELj8EfllaafEEvT3_20rocsparse_direction_NS_24const_host_device_scalarIT1_EES1_PKS1_PKT2_SA_S7_PKT4_PKT5_S5_PT6_21rocsparse_index_base_b.uses_vcc, 1
	.set _ZN9rocsparseL18bsrxmvn_4x4_kernelILj128ELj8EfllaafEEvT3_20rocsparse_direction_NS_24const_host_device_scalarIT1_EES1_PKS1_PKT2_SA_S7_PKT4_PKT5_S5_PT6_21rocsparse_index_base_b.uses_flat_scratch, 0
	.set _ZN9rocsparseL18bsrxmvn_4x4_kernelILj128ELj8EfllaafEEvT3_20rocsparse_direction_NS_24const_host_device_scalarIT1_EES1_PKS1_PKT2_SA_S7_PKT4_PKT5_S5_PT6_21rocsparse_index_base_b.has_dyn_sized_stack, 0
	.set _ZN9rocsparseL18bsrxmvn_4x4_kernelILj128ELj8EfllaafEEvT3_20rocsparse_direction_NS_24const_host_device_scalarIT1_EES1_PKS1_PKT2_SA_S7_PKT4_PKT5_S5_PT6_21rocsparse_index_base_b.has_recursion, 0
	.set _ZN9rocsparseL18bsrxmvn_4x4_kernelILj128ELj8EfllaafEEvT3_20rocsparse_direction_NS_24const_host_device_scalarIT1_EES1_PKS1_PKT2_SA_S7_PKT4_PKT5_S5_PT6_21rocsparse_index_base_b.has_indirect_call, 0
	.section	.AMDGPU.csdata,"",@progbits
; Kernel info:
; codeLenInByte = 4416
; TotalNumSgprs: 26
; NumVgprs: 48
; ScratchSize: 0
; MemoryBound: 0
; FloatMode: 240
; IeeeMode: 1
; LDSByteSize: 0 bytes/workgroup (compile time only)
; SGPRBlocks: 3
; VGPRBlocks: 11
; NumSGPRsForWavesPerEU: 26
; NumVGPRsForWavesPerEU: 48
; Occupancy: 5
; WaveLimiterHint : 1
; COMPUTE_PGM_RSRC2:SCRATCH_EN: 0
; COMPUTE_PGM_RSRC2:USER_SGPR: 6
; COMPUTE_PGM_RSRC2:TRAP_HANDLER: 0
; COMPUTE_PGM_RSRC2:TGID_X_EN: 1
; COMPUTE_PGM_RSRC2:TGID_Y_EN: 0
; COMPUTE_PGM_RSRC2:TGID_Z_EN: 0
; COMPUTE_PGM_RSRC2:TIDIG_COMP_CNT: 0
	.section	.text._ZN9rocsparseL18bsrxmvn_4x4_kernelILj128ELj16EfllaafEEvT3_20rocsparse_direction_NS_24const_host_device_scalarIT1_EES1_PKS1_PKT2_SA_S7_PKT4_PKT5_S5_PT6_21rocsparse_index_base_b,"axG",@progbits,_ZN9rocsparseL18bsrxmvn_4x4_kernelILj128ELj16EfllaafEEvT3_20rocsparse_direction_NS_24const_host_device_scalarIT1_EES1_PKS1_PKT2_SA_S7_PKT4_PKT5_S5_PT6_21rocsparse_index_base_b,comdat
	.globl	_ZN9rocsparseL18bsrxmvn_4x4_kernelILj128ELj16EfllaafEEvT3_20rocsparse_direction_NS_24const_host_device_scalarIT1_EES1_PKS1_PKT2_SA_S7_PKT4_PKT5_S5_PT6_21rocsparse_index_base_b ; -- Begin function _ZN9rocsparseL18bsrxmvn_4x4_kernelILj128ELj16EfllaafEEvT3_20rocsparse_direction_NS_24const_host_device_scalarIT1_EES1_PKS1_PKT2_SA_S7_PKT4_PKT5_S5_PT6_21rocsparse_index_base_b
	.p2align	8
	.type	_ZN9rocsparseL18bsrxmvn_4x4_kernelILj128ELj16EfllaafEEvT3_20rocsparse_direction_NS_24const_host_device_scalarIT1_EES1_PKS1_PKT2_SA_S7_PKT4_PKT5_S5_PT6_21rocsparse_index_base_b,@function
_ZN9rocsparseL18bsrxmvn_4x4_kernelILj128ELj16EfllaafEEvT3_20rocsparse_direction_NS_24const_host_device_scalarIT1_EES1_PKS1_PKT2_SA_S7_PKT4_PKT5_S5_PT6_21rocsparse_index_base_b: ; @_ZN9rocsparseL18bsrxmvn_4x4_kernelILj128ELj16EfllaafEEvT3_20rocsparse_direction_NS_24const_host_device_scalarIT1_EES1_PKS1_PKT2_SA_S7_PKT4_PKT5_S5_PT6_21rocsparse_index_base_b
; %bb.0:
	s_load_dwordx2 s[0:1], s[4:5], 0x60
	s_load_dwordx4 s[16:19], s[4:5], 0x10
	s_load_dwordx2 s[20:21], s[4:5], 0x50
	s_waitcnt lgkmcnt(0)
	s_bitcmp1_b32 s1, 0
	s_cselect_b64 s[8:9], -1, 0
	s_xor_b64 s[2:3], s[8:9], -1
	s_and_b64 vcc, exec, s[8:9]
	s_cbranch_vccnz .LBB87_2
; %bb.1:
	s_load_dword s16, s[16:17], 0x0
.LBB87_2:
	s_andn2_b64 vcc, exec, s[2:3]
	s_cbranch_vccnz .LBB87_4
; %bb.3:
	s_load_dword s20, s[20:21], 0x0
.LBB87_4:
	s_waitcnt lgkmcnt(0)
	v_cmp_neq_f32_e64 s[2:3], s16, 0
	v_cmp_neq_f32_e64 s[8:9], s20, 1.0
	s_or_b64 s[2:3], s[2:3], s[8:9]
	s_andn2_b64 vcc, exec, s[2:3]
	s_cbranch_vccnz .LBB87_10
; %bb.5:
	s_load_dwordx2 s[8:9], s[4:5], 0x20
	v_lshrrev_b32_e32 v1, 4, v0
	v_lshl_or_b32 v6, s6, 3, v1
	v_mov_b32_e32 v7, 0
	s_mov_b64 s[2:3], 0
	s_waitcnt lgkmcnt(0)
	s_cmp_lg_u64 s[8:9], 0
	s_cbranch_scc0 .LBB87_11
; %bb.6:
	v_cmp_gt_i64_e32 vcc, s[18:19], v[6:7]
                                        ; implicit-def: $vgpr4_vgpr5
                                        ; implicit-def: $vgpr1_vgpr2
	s_and_saveexec_b64 s[6:7], vcc
	s_xor_b64 s[6:7], exec, s[6:7]
	s_cbranch_execz .LBB87_8
; %bb.7:
	v_lshlrev_b64 v[1:2], 3, v[6:7]
	v_mov_b32_e32 v3, s9
	v_add_co_u32_e32 v1, vcc, s8, v1
	v_addc_co_u32_e32 v2, vcc, v3, v2, vcc
	global_load_dwordx2 v[1:2], v[1:2], off
	s_mov_b32 s1, 0
	s_mov_b64 s[2:3], exec
	s_waitcnt vmcnt(0)
	v_subrev_co_u32_e32 v4, vcc, s0, v1
	v_subbrev_co_u32_e32 v5, vcc, 0, v2, vcc
	v_mov_b32_e32 v2, s1
	v_mov_b32_e32 v1, s0
.LBB87_8:
	s_or_b64 exec, exec, s[6:7]
.LBB87_9:
	s_and_saveexec_b64 s[0:1], s[2:3]
	s_cbranch_execnz .LBB87_15
.LBB87_10:
	s_endpgm
.LBB87_11:
                                        ; implicit-def: $vgpr4_vgpr5
                                        ; implicit-def: $vgpr1_vgpr2
	s_cbranch_execz .LBB87_9
; %bb.12:
	s_load_dwordx2 s[6:7], s[4:5], 0x0
	s_waitcnt lgkmcnt(0)
	v_cmp_gt_i64_e32 vcc, s[6:7], v[6:7]
	s_and_saveexec_b64 s[6:7], vcc
; %bb.13:
	s_mov_b32 s1, 0
	s_or_b64 s[2:3], s[2:3], exec
; %bb.14:
	s_or_b64 exec, exec, s[6:7]
	v_mov_b32_e32 v2, s1
	v_mov_b32_e32 v4, v6
	;; [unrolled: 1-line block ×4, first 2 shown]
	s_and_saveexec_b64 s[0:1], s[2:3]
	s_cbranch_execz .LBB87_10
.LBB87_15:
	s_load_dwordx8 s[8:15], s[4:5], 0x28
	v_lshlrev_b64 v[6:7], 3, v[4:5]
	v_and_b32_e32 v0, 15, v0
	s_waitcnt lgkmcnt(0)
	v_mov_b32_e32 v3, s9
	v_add_co_u32_e32 v8, vcc, s8, v6
	v_addc_co_u32_e32 v9, vcc, v3, v7, vcc
	v_add_co_u32_e32 v3, vcc, 8, v8
	global_load_dwordx2 v[14:15], v[8:9], off
	v_addc_co_u32_e32 v8, vcc, 0, v9, vcc
	v_mov_b32_e32 v9, s11
	v_add_co_u32_e32 v6, vcc, s10, v6
	s_cmp_eq_u64 s[10:11], 0
	v_addc_co_u32_e32 v7, vcc, v9, v7, vcc
	s_cselect_b64 vcc, -1, 0
	v_cndmask_b32_e32 v7, v7, v8, vcc
	v_cndmask_b32_e32 v6, v6, v3, vcc
	global_load_dwordx2 v[8:9], v[6:7], off
	s_load_dword s0, s[4:5], 0x8
	s_load_dwordx2 s[6:7], s[4:5], 0x48
	v_mov_b32_e32 v12, s15
	v_mov_b32_e32 v3, 0
	s_waitcnt lgkmcnt(0)
	s_cmp_eq_u32 s0, 1
	s_waitcnt vmcnt(1)
	v_sub_co_u32_e32 v6, vcc, v14, v1
	v_subb_co_u32_e32 v7, vcc, v15, v2, vcc
	v_add_co_u32_e32 v6, vcc, v6, v0
	v_addc_co_u32_e32 v7, vcc, 0, v7, vcc
	v_lshlrev_b64 v[10:11], 4, v[6:7]
	s_waitcnt vmcnt(0)
	v_sub_co_u32_e32 v8, vcc, v8, v1
	v_subb_co_u32_e32 v9, vcc, v9, v2, vcc
	v_cmp_lt_i64_e64 s[0:1], v[6:7], v[8:9]
	v_add_co_u32_e32 v10, vcc, s14, v10
	v_addc_co_u32_e32 v11, vcc, v12, v11, vcc
	s_cbranch_scc1 .LBB87_27
; %bb.16:
	v_mov_b32_e32 v12, 0
	v_mov_b32_e32 v26, 0
	;; [unrolled: 1-line block ×3, first 2 shown]
	s_and_saveexec_b64 s[8:9], s[0:1]
	s_cbranch_execz .LBB87_26
; %bb.17:
	v_or_b32_e32 v3, 16, v0
	v_sub_co_u32_e32 v3, vcc, v3, v1
	v_subb_co_u32_e32 v13, vcc, 0, v2, vcc
	v_add_co_u32_e32 v12, vcc, v3, v14
	v_addc_co_u32_e32 v13, vcc, v13, v15, vcc
	v_cmp_gt_i64_e32 vcc, v[12:13], v[8:9]
	v_not_b32_e32 v16, v14
	v_cndmask_b32_e32 v3, v9, v13, vcc
	v_cndmask_b32_e32 v12, v8, v12, vcc
	v_sub_co_u32_e32 v17, vcc, v1, v0
	v_subbrev_co_u32_e32 v18, vcc, 0, v2, vcc
	v_not_b32_e32 v13, v15
	v_add_co_u32_e32 v16, vcc, v17, v16
	v_addc_co_u32_e32 v13, vcc, v18, v13, vcc
	v_add_co_u32_e32 v20, vcc, v16, v12
	v_addc_co_u32_e32 v21, vcc, v13, v3, vcc
	v_and_b32_e32 v12, 48, v20
	v_mov_b32_e32 v13, 0
	v_cmp_ne_u64_e32 vcc, 48, v[12:13]
	v_mov_b32_e32 v17, v7
	v_mov_b32_e32 v19, v11
	;; [unrolled: 1-line block ×7, first 2 shown]
	s_and_saveexec_b64 s[10:11], vcc
	s_cbranch_execz .LBB87_21
; %bb.18:
	v_lshlrev_b64 v[12:13], 3, v[6:7]
	v_lshrrev_b32_e32 v3, 4, v20
	v_add_u32_e32 v3, 1, v3
	v_mov_b32_e32 v17, s13
	v_add_co_u32_e32 v22, vcc, s12, v12
	v_and_b32_e32 v16, 3, v3
	v_addc_co_u32_e32 v23, vcc, v17, v13, vcc
	v_sub_co_u32_e32 v24, vcc, 0, v16
	v_mov_b32_e32 v19, v11
	v_mov_b32_e32 v17, v7
	;; [unrolled: 1-line block ×3, first 2 shown]
	s_mov_b64 s[14:15], 0
	v_subb_co_u32_e64 v25, s[2:3], 0, 0, vcc
	s_movk_i32 s17, 0x100
	v_mov_b32_e32 v27, s7
	v_mov_b32_e32 v18, v10
	;; [unrolled: 1-line block ×6, first 2 shown]
.LBB87_19:                              ; =>This Inner Loop Header: Depth=1
	global_load_dwordx2 v[32:33], v[22:23], off
	global_load_dwordx4 v[28:31], v[18:19], off
	s_waitcnt vmcnt(1)
	v_sub_co_u32_e32 v32, vcc, v32, v1
	v_subb_co_u32_e32 v33, vcc, v33, v2, vcc
	v_lshlrev_b64 v[32:33], 2, v[32:33]
	s_waitcnt vmcnt(0)
	v_cvt_f32_i32_sdwa v36, sext(v29) dst_sel:DWORD dst_unused:UNUSED_PAD src0_sel:BYTE_0
	v_add_co_u32_e32 v32, vcc, s6, v32
	v_addc_co_u32_e32 v33, vcc, v27, v33, vcc
	global_load_dword v32, v[32:33], off
	v_add_co_u32_e32 v18, vcc, s17, v18
	v_cvt_f32_i32_sdwa v33, sext(v28) dst_sel:DWORD dst_unused:UNUSED_PAD src0_sel:BYTE_0
	v_cvt_f32_i32_sdwa v39, sext(v30) dst_sel:DWORD dst_unused:UNUSED_PAD src0_sel:BYTE_0
	;; [unrolled: 1-line block ×3, first 2 shown]
	s_mov_b64 s[2:3], vcc
	v_add_co_u32_e32 v16, vcc, 16, v16
	v_cvt_f32_i32_sdwa v34, sext(v28) dst_sel:DWORD dst_unused:UNUSED_PAD src0_sel:BYTE_1
	v_cvt_f32_i32_sdwa v37, sext(v29) dst_sel:DWORD dst_unused:UNUSED_PAD src0_sel:BYTE_1
	;; [unrolled: 1-line block ×4, first 2 shown]
	v_addc_co_u32_e32 v17, vcc, 0, v17, vcc
	v_cvt_f32_i32_sdwa v35, sext(v28) dst_sel:DWORD dst_unused:UNUSED_PAD src0_sel:BYTE_2
	v_cvt_f32_i32_sdwa v38, sext(v29) dst_sel:DWORD dst_unused:UNUSED_PAD src0_sel:BYTE_2
	;; [unrolled: 1-line block ×4, first 2 shown]
	v_add_co_u32_e32 v24, vcc, 1, v24
	v_cvt_f32_i32_sdwa v28, sext(v28) dst_sel:DWORD dst_unused:UNUSED_PAD src0_sel:BYTE_3
	v_cvt_f32_i32_sdwa v29, sext(v29) dst_sel:DWORD dst_unused:UNUSED_PAD src0_sel:BYTE_3
	;; [unrolled: 1-line block ×4, first 2 shown]
	v_addc_co_u32_e32 v25, vcc, 0, v25, vcc
	v_addc_co_u32_e64 v19, s[2:3], 0, v19, s[2:3]
	v_cmp_eq_u64_e64 s[2:3], 0, v[24:25]
	v_add_co_u32_e32 v22, vcc, 0x80, v22
	v_addc_co_u32_e32 v23, vcc, 0, v23, vcc
	s_or_b64 s[14:15], s[2:3], s[14:15]
	s_waitcnt vmcnt(0)
	v_cvt_f32_i32_sdwa v45, sext(v32) dst_sel:DWORD dst_unused:UNUSED_PAD src0_sel:BYTE_0
	v_cvt_f32_i32_sdwa v46, sext(v32) dst_sel:DWORD dst_unused:UNUSED_PAD src0_sel:BYTE_1
	v_cvt_f32_i32_sdwa v47, sext(v32) dst_sel:DWORD dst_unused:UNUSED_PAD src0_sel:BYTE_2
	v_cvt_f32_i32_sdwa v32, sext(v32) dst_sel:DWORD dst_unused:UNUSED_PAD src0_sel:BYTE_3
	v_fmac_f32_e32 v13, v33, v45
	v_fmac_f32_e32 v26, v36, v45
	v_fmac_f32_e32 v12, v39, v45
	v_fmac_f32_e32 v3, v42, v45
	v_fmac_f32_e32 v13, v34, v46
	v_fmac_f32_e32 v26, v37, v46
	v_fmac_f32_e32 v12, v40, v46
	v_fmac_f32_e32 v3, v43, v46
	v_fmac_f32_e32 v13, v35, v47
	v_fmac_f32_e32 v26, v38, v47
	v_fmac_f32_e32 v12, v41, v47
	v_fmac_f32_e32 v3, v44, v47
	v_fmac_f32_e32 v13, v28, v32
	v_fmac_f32_e32 v26, v29, v32
	v_fmac_f32_e32 v12, v30, v32
	v_fmac_f32_e32 v3, v31, v32
	s_andn2_b64 exec, exec, s[14:15]
	s_cbranch_execnz .LBB87_19
; %bb.20:
	s_or_b64 exec, exec, s[14:15]
.LBB87_21:
	s_or_b64 exec, exec, s[10:11]
	v_cmp_lt_u64_e32 vcc, 47, v[20:21]
	s_and_saveexec_b64 s[2:3], vcc
	s_cbranch_execz .LBB87_25
; %bb.22:
	v_lshlrev_b64 v[20:21], 3, v[16:17]
	v_mov_b32_e32 v22, s13
	v_add_co_u32_e32 v20, vcc, s12, v20
	v_addc_co_u32_e32 v21, vcc, v22, v21, vcc
	v_add_co_u32_e32 v20, vcc, 0x100, v20
	v_addc_co_u32_e32 v21, vcc, 0, v21, vcc
	s_mov_b64 s[10:11], 0
	v_mov_b32_e32 v22, s7
	s_movk_i32 s14, 0x400
.LBB87_23:                              ; =>This Inner Loop Header: Depth=1
	global_load_dwordx2 v[23:24], v[20:21], off offset:-256
	global_load_dwordx4 v[27:30], v[18:19], off
	s_waitcnt vmcnt(1)
	v_sub_co_u32_e32 v23, vcc, v23, v1
	v_subb_co_u32_e32 v24, vcc, v24, v2, vcc
	v_lshlrev_b64 v[23:24], 2, v[23:24]
	s_waitcnt vmcnt(0)
	v_cvt_f32_i32_sdwa v25, sext(v27) dst_sel:DWORD dst_unused:UNUSED_PAD src0_sel:BYTE_0
	v_add_co_u32_e32 v23, vcc, s6, v23
	v_addc_co_u32_e32 v24, vcc, v22, v24, vcc
	global_load_dword v23, v[23:24], off
	s_waitcnt vmcnt(0)
	v_cvt_f32_i32_sdwa v24, sext(v23) dst_sel:DWORD dst_unused:UNUSED_PAD src0_sel:BYTE_0
	v_cvt_f32_i32_sdwa v31, sext(v23) dst_sel:DWORD dst_unused:UNUSED_PAD src0_sel:BYTE_1
	v_cvt_f32_i32_sdwa v32, sext(v23) dst_sel:DWORD dst_unused:UNUSED_PAD src0_sel:BYTE_2
	v_cvt_f32_i32_sdwa v23, sext(v23) dst_sel:DWORD dst_unused:UNUSED_PAD src0_sel:BYTE_3
	v_fmac_f32_e32 v13, v25, v24
	v_cvt_f32_i32_sdwa v25, sext(v27) dst_sel:DWORD dst_unused:UNUSED_PAD src0_sel:BYTE_1
	v_fmac_f32_e32 v13, v25, v31
	v_cvt_f32_i32_sdwa v25, sext(v27) dst_sel:DWORD dst_unused:UNUSED_PAD src0_sel:BYTE_2
	v_fmac_f32_e32 v13, v25, v32
	v_cvt_f32_i32_sdwa v25, sext(v27) dst_sel:DWORD dst_unused:UNUSED_PAD src0_sel:BYTE_3
	v_fmac_f32_e32 v13, v25, v23
	v_cvt_f32_i32_sdwa v25, sext(v28) dst_sel:DWORD dst_unused:UNUSED_PAD src0_sel:BYTE_0
	v_fmac_f32_e32 v26, v25, v24
	v_cvt_f32_i32_sdwa v25, sext(v28) dst_sel:DWORD dst_unused:UNUSED_PAD src0_sel:BYTE_1
	v_fmac_f32_e32 v26, v25, v31
	v_cvt_f32_i32_sdwa v25, sext(v28) dst_sel:DWORD dst_unused:UNUSED_PAD src0_sel:BYTE_2
	v_fmac_f32_e32 v26, v25, v32
	v_cvt_f32_i32_sdwa v25, sext(v28) dst_sel:DWORD dst_unused:UNUSED_PAD src0_sel:BYTE_3
	v_fmac_f32_e32 v26, v25, v23
	v_cvt_f32_i32_sdwa v25, sext(v29) dst_sel:DWORD dst_unused:UNUSED_PAD src0_sel:BYTE_0
	;; [unrolled: 8-line block ×3, first 2 shown]
	v_fmac_f32_e32 v3, v25, v24
	v_cvt_f32_i32_sdwa v24, sext(v30) dst_sel:DWORD dst_unused:UNUSED_PAD src0_sel:BYTE_1
	v_fmac_f32_e32 v3, v24, v31
	v_cvt_f32_i32_sdwa v24, sext(v30) dst_sel:DWORD dst_unused:UNUSED_PAD src0_sel:BYTE_2
	v_fmac_f32_e32 v3, v24, v32
	v_cvt_f32_i32_sdwa v24, sext(v30) dst_sel:DWORD dst_unused:UNUSED_PAD src0_sel:BYTE_3
	global_load_dwordx4 v[27:30], v[18:19], off offset:256
	v_fmac_f32_e32 v3, v24, v23
	global_load_dwordx2 v[23:24], v[20:21], off offset:-128
	s_waitcnt vmcnt(1)
	v_cvt_f32_i32_sdwa v25, sext(v27) dst_sel:DWORD dst_unused:UNUSED_PAD src0_sel:BYTE_0
	s_waitcnt vmcnt(0)
	v_sub_co_u32_e32 v23, vcc, v23, v1
	v_subb_co_u32_e32 v24, vcc, v24, v2, vcc
	v_lshlrev_b64 v[23:24], 2, v[23:24]
	v_add_co_u32_e32 v23, vcc, s6, v23
	v_addc_co_u32_e32 v24, vcc, v22, v24, vcc
	global_load_dword v23, v[23:24], off
	s_waitcnt vmcnt(0)
	v_cvt_f32_i32_sdwa v24, sext(v23) dst_sel:DWORD dst_unused:UNUSED_PAD src0_sel:BYTE_0
	v_cvt_f32_i32_sdwa v31, sext(v23) dst_sel:DWORD dst_unused:UNUSED_PAD src0_sel:BYTE_1
	v_cvt_f32_i32_sdwa v32, sext(v23) dst_sel:DWORD dst_unused:UNUSED_PAD src0_sel:BYTE_2
	v_cvt_f32_i32_sdwa v23, sext(v23) dst_sel:DWORD dst_unused:UNUSED_PAD src0_sel:BYTE_3
	v_fmac_f32_e32 v13, v25, v24
	v_cvt_f32_i32_sdwa v25, sext(v27) dst_sel:DWORD dst_unused:UNUSED_PAD src0_sel:BYTE_1
	v_fmac_f32_e32 v13, v25, v31
	v_cvt_f32_i32_sdwa v25, sext(v27) dst_sel:DWORD dst_unused:UNUSED_PAD src0_sel:BYTE_2
	v_fmac_f32_e32 v13, v25, v32
	v_cvt_f32_i32_sdwa v25, sext(v27) dst_sel:DWORD dst_unused:UNUSED_PAD src0_sel:BYTE_3
	v_fmac_f32_e32 v13, v25, v23
	v_cvt_f32_i32_sdwa v25, sext(v28) dst_sel:DWORD dst_unused:UNUSED_PAD src0_sel:BYTE_0
	v_fmac_f32_e32 v26, v25, v24
	v_cvt_f32_i32_sdwa v25, sext(v28) dst_sel:DWORD dst_unused:UNUSED_PAD src0_sel:BYTE_1
	v_fmac_f32_e32 v26, v25, v31
	v_cvt_f32_i32_sdwa v25, sext(v28) dst_sel:DWORD dst_unused:UNUSED_PAD src0_sel:BYTE_2
	v_fmac_f32_e32 v26, v25, v32
	v_cvt_f32_i32_sdwa v25, sext(v28) dst_sel:DWORD dst_unused:UNUSED_PAD src0_sel:BYTE_3
	v_fmac_f32_e32 v26, v25, v23
	v_cvt_f32_i32_sdwa v25, sext(v29) dst_sel:DWORD dst_unused:UNUSED_PAD src0_sel:BYTE_0
	;; [unrolled: 8-line block ×3, first 2 shown]
	v_fmac_f32_e32 v3, v25, v24
	v_cvt_f32_i32_sdwa v24, sext(v30) dst_sel:DWORD dst_unused:UNUSED_PAD src0_sel:BYTE_1
	v_fmac_f32_e32 v3, v24, v31
	v_cvt_f32_i32_sdwa v24, sext(v30) dst_sel:DWORD dst_unused:UNUSED_PAD src0_sel:BYTE_2
	v_fmac_f32_e32 v3, v24, v32
	v_cvt_f32_i32_sdwa v24, sext(v30) dst_sel:DWORD dst_unused:UNUSED_PAD src0_sel:BYTE_3
	global_load_dwordx4 v[27:30], v[18:19], off offset:512
	v_fmac_f32_e32 v3, v24, v23
	global_load_dwordx2 v[23:24], v[20:21], off
	s_waitcnt vmcnt(1)
	v_cvt_f32_i32_sdwa v25, sext(v27) dst_sel:DWORD dst_unused:UNUSED_PAD src0_sel:BYTE_0
	s_waitcnt vmcnt(0)
	v_sub_co_u32_e32 v23, vcc, v23, v1
	v_subb_co_u32_e32 v24, vcc, v24, v2, vcc
	v_lshlrev_b64 v[23:24], 2, v[23:24]
	v_add_co_u32_e32 v23, vcc, s6, v23
	v_addc_co_u32_e32 v24, vcc, v22, v24, vcc
	global_load_dword v23, v[23:24], off
	s_waitcnt vmcnt(0)
	v_cvt_f32_i32_sdwa v24, sext(v23) dst_sel:DWORD dst_unused:UNUSED_PAD src0_sel:BYTE_0
	v_cvt_f32_i32_sdwa v31, sext(v23) dst_sel:DWORD dst_unused:UNUSED_PAD src0_sel:BYTE_1
	v_cvt_f32_i32_sdwa v32, sext(v23) dst_sel:DWORD dst_unused:UNUSED_PAD src0_sel:BYTE_2
	v_cvt_f32_i32_sdwa v23, sext(v23) dst_sel:DWORD dst_unused:UNUSED_PAD src0_sel:BYTE_3
	v_fmac_f32_e32 v13, v25, v24
	v_cvt_f32_i32_sdwa v25, sext(v27) dst_sel:DWORD dst_unused:UNUSED_PAD src0_sel:BYTE_1
	v_fmac_f32_e32 v13, v25, v31
	v_cvt_f32_i32_sdwa v25, sext(v27) dst_sel:DWORD dst_unused:UNUSED_PAD src0_sel:BYTE_2
	v_fmac_f32_e32 v13, v25, v32
	v_cvt_f32_i32_sdwa v25, sext(v27) dst_sel:DWORD dst_unused:UNUSED_PAD src0_sel:BYTE_3
	v_fmac_f32_e32 v13, v25, v23
	v_cvt_f32_i32_sdwa v25, sext(v28) dst_sel:DWORD dst_unused:UNUSED_PAD src0_sel:BYTE_0
	v_fmac_f32_e32 v26, v25, v24
	v_cvt_f32_i32_sdwa v25, sext(v28) dst_sel:DWORD dst_unused:UNUSED_PAD src0_sel:BYTE_1
	v_fmac_f32_e32 v26, v25, v31
	v_cvt_f32_i32_sdwa v25, sext(v28) dst_sel:DWORD dst_unused:UNUSED_PAD src0_sel:BYTE_2
	v_fmac_f32_e32 v26, v25, v32
	v_cvt_f32_i32_sdwa v25, sext(v28) dst_sel:DWORD dst_unused:UNUSED_PAD src0_sel:BYTE_3
	v_fmac_f32_e32 v26, v25, v23
	v_cvt_f32_i32_sdwa v25, sext(v29) dst_sel:DWORD dst_unused:UNUSED_PAD src0_sel:BYTE_0
	;; [unrolled: 8-line block ×3, first 2 shown]
	v_fmac_f32_e32 v3, v25, v24
	v_cvt_f32_i32_sdwa v24, sext(v30) dst_sel:DWORD dst_unused:UNUSED_PAD src0_sel:BYTE_1
	v_fmac_f32_e32 v3, v24, v31
	v_cvt_f32_i32_sdwa v24, sext(v30) dst_sel:DWORD dst_unused:UNUSED_PAD src0_sel:BYTE_2
	v_fmac_f32_e32 v3, v24, v32
	v_cvt_f32_i32_sdwa v24, sext(v30) dst_sel:DWORD dst_unused:UNUSED_PAD src0_sel:BYTE_3
	global_load_dwordx4 v[27:30], v[18:19], off offset:768
	v_fmac_f32_e32 v3, v24, v23
	global_load_dwordx2 v[23:24], v[20:21], off offset:128
	s_waitcnt vmcnt(1)
	v_cvt_f32_i32_sdwa v25, sext(v27) dst_sel:DWORD dst_unused:UNUSED_PAD src0_sel:BYTE_0
	s_waitcnt vmcnt(0)
	v_sub_co_u32_e32 v23, vcc, v23, v1
	v_subb_co_u32_e32 v24, vcc, v24, v2, vcc
	v_lshlrev_b64 v[23:24], 2, v[23:24]
	v_add_co_u32_e32 v23, vcc, s6, v23
	v_addc_co_u32_e32 v24, vcc, v22, v24, vcc
	global_load_dword v23, v[23:24], off
	v_add_co_u32_e32 v18, vcc, s14, v18
	v_addc_co_u32_e32 v19, vcc, 0, v19, vcc
	v_add_co_u32_e32 v16, vcc, 64, v16
	v_addc_co_u32_e32 v17, vcc, 0, v17, vcc
	;; [unrolled: 2-line block ×3, first 2 shown]
	v_cmp_ge_i64_e32 vcc, v[16:17], v[8:9]
	s_or_b64 s[10:11], vcc, s[10:11]
	s_waitcnt vmcnt(0)
	v_cvt_f32_i32_sdwa v24, sext(v23) dst_sel:DWORD dst_unused:UNUSED_PAD src0_sel:BYTE_0
	v_cvt_f32_i32_sdwa v31, sext(v23) dst_sel:DWORD dst_unused:UNUSED_PAD src0_sel:BYTE_1
	v_cvt_f32_i32_sdwa v32, sext(v23) dst_sel:DWORD dst_unused:UNUSED_PAD src0_sel:BYTE_2
	v_cvt_f32_i32_sdwa v23, sext(v23) dst_sel:DWORD dst_unused:UNUSED_PAD src0_sel:BYTE_3
	v_fmac_f32_e32 v13, v25, v24
	v_cvt_f32_i32_sdwa v25, sext(v27) dst_sel:DWORD dst_unused:UNUSED_PAD src0_sel:BYTE_1
	v_fmac_f32_e32 v13, v25, v31
	v_cvt_f32_i32_sdwa v25, sext(v27) dst_sel:DWORD dst_unused:UNUSED_PAD src0_sel:BYTE_2
	v_fmac_f32_e32 v13, v25, v32
	v_cvt_f32_i32_sdwa v25, sext(v27) dst_sel:DWORD dst_unused:UNUSED_PAD src0_sel:BYTE_3
	v_fmac_f32_e32 v13, v25, v23
	v_cvt_f32_i32_sdwa v25, sext(v28) dst_sel:DWORD dst_unused:UNUSED_PAD src0_sel:BYTE_0
	v_fmac_f32_e32 v26, v25, v24
	v_cvt_f32_i32_sdwa v25, sext(v28) dst_sel:DWORD dst_unused:UNUSED_PAD src0_sel:BYTE_1
	v_fmac_f32_e32 v26, v25, v31
	v_cvt_f32_i32_sdwa v25, sext(v28) dst_sel:DWORD dst_unused:UNUSED_PAD src0_sel:BYTE_2
	v_fmac_f32_e32 v26, v25, v32
	v_cvt_f32_i32_sdwa v25, sext(v28) dst_sel:DWORD dst_unused:UNUSED_PAD src0_sel:BYTE_3
	v_fmac_f32_e32 v26, v25, v23
	v_cvt_f32_i32_sdwa v25, sext(v29) dst_sel:DWORD dst_unused:UNUSED_PAD src0_sel:BYTE_0
	;; [unrolled: 8-line block ×3, first 2 shown]
	v_fmac_f32_e32 v3, v25, v24
	v_cvt_f32_i32_sdwa v24, sext(v30) dst_sel:DWORD dst_unused:UNUSED_PAD src0_sel:BYTE_1
	v_fmac_f32_e32 v3, v24, v31
	v_cvt_f32_i32_sdwa v24, sext(v30) dst_sel:DWORD dst_unused:UNUSED_PAD src0_sel:BYTE_2
	v_fmac_f32_e32 v3, v24, v32
	v_cvt_f32_i32_sdwa v24, sext(v30) dst_sel:DWORD dst_unused:UNUSED_PAD src0_sel:BYTE_3
	v_fmac_f32_e32 v3, v24, v23
	s_andn2_b64 exec, exec, s[10:11]
	s_cbranch_execnz .LBB87_23
; %bb.24:
	s_or_b64 exec, exec, s[10:11]
.LBB87_25:
	s_or_b64 exec, exec, s[2:3]
.LBB87_26:
	s_or_b64 exec, exec, s[8:9]
	s_cbranch_execz .LBB87_28
	s_branch .LBB87_39
.LBB87_27:
                                        ; implicit-def: $vgpr3
                                        ; implicit-def: $vgpr12
                                        ; implicit-def: $vgpr26
                                        ; implicit-def: $vgpr13
.LBB87_28:
	v_mov_b32_e32 v3, 0
	v_mov_b32_e32 v12, 0
	;; [unrolled: 1-line block ×4, first 2 shown]
	s_and_saveexec_b64 s[2:3], s[0:1]
	s_cbranch_execz .LBB87_38
; %bb.29:
	v_or_b32_e32 v3, 16, v0
	v_sub_co_u32_e32 v3, vcc, v3, v1
	v_subb_co_u32_e32 v13, vcc, 0, v2, vcc
	v_add_co_u32_e32 v12, vcc, v3, v14
	v_addc_co_u32_e32 v13, vcc, v13, v15, vcc
	v_cmp_gt_i64_e32 vcc, v[12:13], v[8:9]
	v_not_b32_e32 v14, v14
	v_cndmask_b32_e32 v3, v9, v13, vcc
	v_cndmask_b32_e32 v12, v8, v12, vcc
	v_not_b32_e32 v13, v15
	v_sub_co_u32_e32 v15, vcc, v1, v0
	v_subbrev_co_u32_e32 v16, vcc, 0, v2, vcc
	v_add_co_u32_e32 v14, vcc, v15, v14
	v_addc_co_u32_e32 v13, vcc, v16, v13, vcc
	v_add_co_u32_e32 v14, vcc, v14, v12
	v_addc_co_u32_e32 v15, vcc, v13, v3, vcc
	v_and_b32_e32 v12, 48, v14
	v_mov_b32_e32 v13, 0
	v_cmp_ne_u64_e32 vcc, 48, v[12:13]
	v_mov_b32_e32 v26, v13
	v_mov_b32_e32 v12, v13
	;; [unrolled: 1-line block ×3, first 2 shown]
	s_and_saveexec_b64 s[8:9], vcc
	s_cbranch_execz .LBB87_33
; %bb.30:
	v_lshlrev_b64 v[12:13], 3, v[6:7]
	v_lshrrev_b32_e32 v3, 4, v14
	v_add_u32_e32 v3, 1, v3
	v_mov_b32_e32 v17, s13
	v_add_co_u32_e32 v16, vcc, s12, v12
	v_and_b32_e32 v18, 3, v3
	v_addc_co_u32_e32 v17, vcc, v17, v13, vcc
	v_sub_co_u32_e32 v18, vcc, 0, v18
	v_mov_b32_e32 v3, 0
	s_mov_b64 s[10:11], 0
	v_subb_co_u32_e64 v19, s[0:1], 0, 0, vcc
	s_movk_i32 s14, 0x100
	v_mov_b32_e32 v20, s7
	v_mov_b32_e32 v12, 0
	;; [unrolled: 1-line block ×4, first 2 shown]
.LBB87_31:                              ; =>This Inner Loop Header: Depth=1
	global_load_dwordx2 v[27:28], v[16:17], off
	global_load_dwordx4 v[21:24], v[10:11], off
	v_add_co_u32_e64 v6, s[0:1], 16, v6
	v_addc_co_u32_e64 v7, s[0:1], 0, v7, s[0:1]
	v_add_co_u32_e64 v18, s[0:1], 1, v18
	v_addc_co_u32_e64 v19, s[0:1], 0, v19, s[0:1]
	v_cmp_eq_u64_e64 s[0:1], 0, v[18:19]
	s_or_b64 s[10:11], s[0:1], s[10:11]
	s_waitcnt vmcnt(1)
	v_sub_co_u32_e32 v27, vcc, v27, v1
	v_subb_co_u32_e32 v28, vcc, v28, v2, vcc
	v_lshlrev_b64 v[27:28], 2, v[27:28]
	s_waitcnt vmcnt(0)
	v_cvt_f32_i32_sdwa v29, sext(v21) dst_sel:DWORD dst_unused:UNUSED_PAD src0_sel:BYTE_2
	v_add_co_u32_e32 v27, vcc, s6, v27
	v_addc_co_u32_e32 v28, vcc, v20, v28, vcc
	global_load_dword v25, v[27:28], off
	v_cvt_f32_i32_sdwa v27, sext(v21) dst_sel:DWORD dst_unused:UNUSED_PAD src0_sel:BYTE_0
	v_cvt_f32_i32_sdwa v28, sext(v21) dst_sel:DWORD dst_unused:UNUSED_PAD src0_sel:BYTE_1
	v_cvt_f32_i32_sdwa v21, sext(v21) dst_sel:DWORD dst_unused:UNUSED_PAD src0_sel:BYTE_3
	v_cvt_f32_i32_sdwa v30, sext(v22) dst_sel:DWORD dst_unused:UNUSED_PAD src0_sel:BYTE_0
	v_cvt_f32_i32_sdwa v31, sext(v22) dst_sel:DWORD dst_unused:UNUSED_PAD src0_sel:BYTE_1
	v_cvt_f32_i32_sdwa v32, sext(v22) dst_sel:DWORD dst_unused:UNUSED_PAD src0_sel:BYTE_2
	v_cvt_f32_i32_sdwa v22, sext(v22) dst_sel:DWORD dst_unused:UNUSED_PAD src0_sel:BYTE_3
	v_cvt_f32_i32_sdwa v33, sext(v23) dst_sel:DWORD dst_unused:UNUSED_PAD src0_sel:BYTE_0
	v_cvt_f32_i32_sdwa v34, sext(v23) dst_sel:DWORD dst_unused:UNUSED_PAD src0_sel:BYTE_1
	v_cvt_f32_i32_sdwa v35, sext(v23) dst_sel:DWORD dst_unused:UNUSED_PAD src0_sel:BYTE_2
	;; [unrolled: 4-line block ×3, first 2 shown]
	v_cvt_f32_i32_sdwa v24, sext(v24) dst_sel:DWORD dst_unused:UNUSED_PAD src0_sel:BYTE_3
	v_add_co_u32_e32 v10, vcc, s14, v10
	v_addc_co_u32_e32 v11, vcc, 0, v11, vcc
	v_add_co_u32_e32 v16, vcc, 0x80, v16
	v_addc_co_u32_e32 v17, vcc, 0, v17, vcc
	s_waitcnt vmcnt(0)
	v_cvt_f32_i32_sdwa v39, sext(v25) dst_sel:DWORD dst_unused:UNUSED_PAD src0_sel:BYTE_0
	v_cvt_f32_i32_sdwa v40, sext(v25) dst_sel:DWORD dst_unused:UNUSED_PAD src0_sel:BYTE_1
	v_cvt_f32_i32_sdwa v41, sext(v25) dst_sel:DWORD dst_unused:UNUSED_PAD src0_sel:BYTE_2
	v_cvt_f32_i32_sdwa v25, sext(v25) dst_sel:DWORD dst_unused:UNUSED_PAD src0_sel:BYTE_3
	v_fmac_f32_e32 v13, v27, v39
	v_fmac_f32_e32 v26, v28, v39
	;; [unrolled: 1-line block ×16, first 2 shown]
	s_andn2_b64 exec, exec, s[10:11]
	s_cbranch_execnz .LBB87_31
; %bb.32:
	s_or_b64 exec, exec, s[10:11]
.LBB87_33:
	s_or_b64 exec, exec, s[8:9]
	v_cmp_lt_u64_e32 vcc, 47, v[14:15]
	s_and_saveexec_b64 s[0:1], vcc
	s_cbranch_execz .LBB87_37
; %bb.34:
	v_lshlrev_b64 v[14:15], 3, v[6:7]
	v_mov_b32_e32 v16, s13
	v_add_co_u32_e32 v14, vcc, s12, v14
	v_addc_co_u32_e32 v15, vcc, v16, v15, vcc
	v_add_co_u32_e32 v14, vcc, 0x100, v14
	v_addc_co_u32_e32 v15, vcc, 0, v15, vcc
	s_mov_b64 s[8:9], 0
	v_mov_b32_e32 v16, s7
	s_movk_i32 s7, 0x400
.LBB87_35:                              ; =>This Inner Loop Header: Depth=1
	global_load_dwordx2 v[17:18], v[14:15], off offset:-256
	s_waitcnt vmcnt(0)
	v_sub_co_u32_e32 v17, vcc, v17, v1
	v_subb_co_u32_e32 v18, vcc, v18, v2, vcc
	v_lshlrev_b64 v[21:22], 2, v[17:18]
	global_load_dwordx4 v[17:20], v[10:11], off
	v_add_co_u32_e32 v21, vcc, s6, v21
	v_addc_co_u32_e32 v22, vcc, v16, v22, vcc
	global_load_dword v21, v[21:22], off
	s_waitcnt vmcnt(1)
	v_cvt_f32_i32_sdwa v23, sext(v17) dst_sel:DWORD dst_unused:UNUSED_PAD src0_sel:BYTE_0
	s_waitcnt vmcnt(0)
	v_cvt_f32_i32_sdwa v22, sext(v21) dst_sel:DWORD dst_unused:UNUSED_PAD src0_sel:BYTE_0
	v_fmac_f32_e32 v13, v23, v22
	v_cvt_f32_i32_sdwa v23, sext(v17) dst_sel:DWORD dst_unused:UNUSED_PAD src0_sel:BYTE_1
	v_fmac_f32_e32 v26, v23, v22
	v_cvt_f32_i32_sdwa v23, sext(v17) dst_sel:DWORD dst_unused:UNUSED_PAD src0_sel:BYTE_2
	v_cvt_f32_i32_sdwa v17, sext(v17) dst_sel:DWORD dst_unused:UNUSED_PAD src0_sel:BYTE_3
	v_fmac_f32_e32 v12, v23, v22
	v_fmac_f32_e32 v3, v17, v22
	v_cvt_f32_i32_sdwa v17, sext(v18) dst_sel:DWORD dst_unused:UNUSED_PAD src0_sel:BYTE_0
	v_cvt_f32_i32_sdwa v22, sext(v21) dst_sel:DWORD dst_unused:UNUSED_PAD src0_sel:BYTE_1
	v_fmac_f32_e32 v13, v17, v22
	v_cvt_f32_i32_sdwa v17, sext(v18) dst_sel:DWORD dst_unused:UNUSED_PAD src0_sel:BYTE_1
	v_fmac_f32_e32 v26, v17, v22
	v_cvt_f32_i32_sdwa v17, sext(v18) dst_sel:DWORD dst_unused:UNUSED_PAD src0_sel:BYTE_2
	v_fmac_f32_e32 v12, v17, v22
	v_cvt_f32_i32_sdwa v17, sext(v18) dst_sel:DWORD dst_unused:UNUSED_PAD src0_sel:BYTE_3
	v_cvt_f32_i32_sdwa v18, sext(v21) dst_sel:DWORD dst_unused:UNUSED_PAD src0_sel:BYTE_2
	v_fmac_f32_e32 v3, v17, v22
	v_cvt_f32_i32_sdwa v17, sext(v19) dst_sel:DWORD dst_unused:UNUSED_PAD src0_sel:BYTE_0
	v_fmac_f32_e32 v13, v17, v18
	v_cvt_f32_i32_sdwa v17, sext(v19) dst_sel:DWORD dst_unused:UNUSED_PAD src0_sel:BYTE_1
	v_fmac_f32_e32 v26, v17, v18
	v_cvt_f32_i32_sdwa v17, sext(v19) dst_sel:DWORD dst_unused:UNUSED_PAD src0_sel:BYTE_2
	v_fmac_f32_e32 v12, v17, v18
	v_cvt_f32_i32_sdwa v17, sext(v19) dst_sel:DWORD dst_unused:UNUSED_PAD src0_sel:BYTE_3
	v_fmac_f32_e32 v3, v17, v18
	v_cvt_f32_i32_sdwa v17, sext(v20) dst_sel:DWORD dst_unused:UNUSED_PAD src0_sel:BYTE_0
	v_cvt_f32_i32_sdwa v18, sext(v21) dst_sel:DWORD dst_unused:UNUSED_PAD src0_sel:BYTE_3
	v_fmac_f32_e32 v13, v17, v18
	v_cvt_f32_i32_sdwa v17, sext(v20) dst_sel:DWORD dst_unused:UNUSED_PAD src0_sel:BYTE_1
	v_fmac_f32_e32 v26, v17, v18
	v_cvt_f32_i32_sdwa v17, sext(v20) dst_sel:DWORD dst_unused:UNUSED_PAD src0_sel:BYTE_2
	v_fmac_f32_e32 v12, v17, v18
	v_cvt_f32_i32_sdwa v17, sext(v20) dst_sel:DWORD dst_unused:UNUSED_PAD src0_sel:BYTE_3
	v_fmac_f32_e32 v3, v17, v18
	global_load_dwordx2 v[17:18], v[14:15], off offset:-128
	s_waitcnt vmcnt(0)
	v_sub_co_u32_e32 v17, vcc, v17, v1
	v_subb_co_u32_e32 v18, vcc, v18, v2, vcc
	v_lshlrev_b64 v[21:22], 2, v[17:18]
	global_load_dwordx4 v[17:20], v[10:11], off offset:256
	v_add_co_u32_e32 v21, vcc, s6, v21
	v_addc_co_u32_e32 v22, vcc, v16, v22, vcc
	global_load_dword v21, v[21:22], off
	s_waitcnt vmcnt(1)
	v_cvt_f32_i32_sdwa v23, sext(v17) dst_sel:DWORD dst_unused:UNUSED_PAD src0_sel:BYTE_0
	s_waitcnt vmcnt(0)
	v_cvt_f32_i32_sdwa v22, sext(v21) dst_sel:DWORD dst_unused:UNUSED_PAD src0_sel:BYTE_0
	v_fmac_f32_e32 v13, v23, v22
	v_cvt_f32_i32_sdwa v23, sext(v17) dst_sel:DWORD dst_unused:UNUSED_PAD src0_sel:BYTE_1
	v_fmac_f32_e32 v26, v23, v22
	v_cvt_f32_i32_sdwa v23, sext(v17) dst_sel:DWORD dst_unused:UNUSED_PAD src0_sel:BYTE_2
	v_cvt_f32_i32_sdwa v17, sext(v17) dst_sel:DWORD dst_unused:UNUSED_PAD src0_sel:BYTE_3
	v_fmac_f32_e32 v12, v23, v22
	v_fmac_f32_e32 v3, v17, v22
	v_cvt_f32_i32_sdwa v17, sext(v18) dst_sel:DWORD dst_unused:UNUSED_PAD src0_sel:BYTE_0
	v_cvt_f32_i32_sdwa v22, sext(v21) dst_sel:DWORD dst_unused:UNUSED_PAD src0_sel:BYTE_1
	v_fmac_f32_e32 v13, v17, v22
	v_cvt_f32_i32_sdwa v17, sext(v18) dst_sel:DWORD dst_unused:UNUSED_PAD src0_sel:BYTE_1
	v_fmac_f32_e32 v26, v17, v22
	v_cvt_f32_i32_sdwa v17, sext(v18) dst_sel:DWORD dst_unused:UNUSED_PAD src0_sel:BYTE_2
	v_fmac_f32_e32 v12, v17, v22
	v_cvt_f32_i32_sdwa v17, sext(v18) dst_sel:DWORD dst_unused:UNUSED_PAD src0_sel:BYTE_3
	v_cvt_f32_i32_sdwa v18, sext(v21) dst_sel:DWORD dst_unused:UNUSED_PAD src0_sel:BYTE_2
	v_fmac_f32_e32 v3, v17, v22
	v_cvt_f32_i32_sdwa v17, sext(v19) dst_sel:DWORD dst_unused:UNUSED_PAD src0_sel:BYTE_0
	v_fmac_f32_e32 v13, v17, v18
	v_cvt_f32_i32_sdwa v17, sext(v19) dst_sel:DWORD dst_unused:UNUSED_PAD src0_sel:BYTE_1
	v_fmac_f32_e32 v26, v17, v18
	v_cvt_f32_i32_sdwa v17, sext(v19) dst_sel:DWORD dst_unused:UNUSED_PAD src0_sel:BYTE_2
	v_fmac_f32_e32 v12, v17, v18
	v_cvt_f32_i32_sdwa v17, sext(v19) dst_sel:DWORD dst_unused:UNUSED_PAD src0_sel:BYTE_3
	v_fmac_f32_e32 v3, v17, v18
	v_cvt_f32_i32_sdwa v17, sext(v20) dst_sel:DWORD dst_unused:UNUSED_PAD src0_sel:BYTE_0
	v_cvt_f32_i32_sdwa v18, sext(v21) dst_sel:DWORD dst_unused:UNUSED_PAD src0_sel:BYTE_3
	v_fmac_f32_e32 v13, v17, v18
	v_cvt_f32_i32_sdwa v17, sext(v20) dst_sel:DWORD dst_unused:UNUSED_PAD src0_sel:BYTE_1
	v_fmac_f32_e32 v26, v17, v18
	v_cvt_f32_i32_sdwa v17, sext(v20) dst_sel:DWORD dst_unused:UNUSED_PAD src0_sel:BYTE_2
	v_fmac_f32_e32 v12, v17, v18
	v_cvt_f32_i32_sdwa v17, sext(v20) dst_sel:DWORD dst_unused:UNUSED_PAD src0_sel:BYTE_3
	v_fmac_f32_e32 v3, v17, v18
	global_load_dwordx2 v[17:18], v[14:15], off
	s_waitcnt vmcnt(0)
	v_sub_co_u32_e32 v17, vcc, v17, v1
	v_subb_co_u32_e32 v18, vcc, v18, v2, vcc
	v_lshlrev_b64 v[21:22], 2, v[17:18]
	global_load_dwordx4 v[17:20], v[10:11], off offset:512
	v_add_co_u32_e32 v21, vcc, s6, v21
	v_addc_co_u32_e32 v22, vcc, v16, v22, vcc
	global_load_dword v21, v[21:22], off
	s_waitcnt vmcnt(1)
	v_cvt_f32_i32_sdwa v23, sext(v17) dst_sel:DWORD dst_unused:UNUSED_PAD src0_sel:BYTE_0
	s_waitcnt vmcnt(0)
	v_cvt_f32_i32_sdwa v22, sext(v21) dst_sel:DWORD dst_unused:UNUSED_PAD src0_sel:BYTE_0
	v_fmac_f32_e32 v13, v23, v22
	v_cvt_f32_i32_sdwa v23, sext(v17) dst_sel:DWORD dst_unused:UNUSED_PAD src0_sel:BYTE_1
	v_fmac_f32_e32 v26, v23, v22
	v_cvt_f32_i32_sdwa v23, sext(v17) dst_sel:DWORD dst_unused:UNUSED_PAD src0_sel:BYTE_2
	v_cvt_f32_i32_sdwa v17, sext(v17) dst_sel:DWORD dst_unused:UNUSED_PAD src0_sel:BYTE_3
	v_fmac_f32_e32 v12, v23, v22
	v_fmac_f32_e32 v3, v17, v22
	v_cvt_f32_i32_sdwa v17, sext(v18) dst_sel:DWORD dst_unused:UNUSED_PAD src0_sel:BYTE_0
	v_cvt_f32_i32_sdwa v22, sext(v21) dst_sel:DWORD dst_unused:UNUSED_PAD src0_sel:BYTE_1
	v_fmac_f32_e32 v13, v17, v22
	v_cvt_f32_i32_sdwa v17, sext(v18) dst_sel:DWORD dst_unused:UNUSED_PAD src0_sel:BYTE_1
	v_fmac_f32_e32 v26, v17, v22
	v_cvt_f32_i32_sdwa v17, sext(v18) dst_sel:DWORD dst_unused:UNUSED_PAD src0_sel:BYTE_2
	v_fmac_f32_e32 v12, v17, v22
	v_cvt_f32_i32_sdwa v17, sext(v18) dst_sel:DWORD dst_unused:UNUSED_PAD src0_sel:BYTE_3
	v_cvt_f32_i32_sdwa v18, sext(v21) dst_sel:DWORD dst_unused:UNUSED_PAD src0_sel:BYTE_2
	v_fmac_f32_e32 v3, v17, v22
	v_cvt_f32_i32_sdwa v17, sext(v19) dst_sel:DWORD dst_unused:UNUSED_PAD src0_sel:BYTE_0
	v_fmac_f32_e32 v13, v17, v18
	v_cvt_f32_i32_sdwa v17, sext(v19) dst_sel:DWORD dst_unused:UNUSED_PAD src0_sel:BYTE_1
	v_fmac_f32_e32 v26, v17, v18
	v_cvt_f32_i32_sdwa v17, sext(v19) dst_sel:DWORD dst_unused:UNUSED_PAD src0_sel:BYTE_2
	v_fmac_f32_e32 v12, v17, v18
	v_cvt_f32_i32_sdwa v17, sext(v19) dst_sel:DWORD dst_unused:UNUSED_PAD src0_sel:BYTE_3
	v_fmac_f32_e32 v3, v17, v18
	v_cvt_f32_i32_sdwa v17, sext(v20) dst_sel:DWORD dst_unused:UNUSED_PAD src0_sel:BYTE_0
	v_cvt_f32_i32_sdwa v18, sext(v21) dst_sel:DWORD dst_unused:UNUSED_PAD src0_sel:BYTE_3
	v_fmac_f32_e32 v13, v17, v18
	v_cvt_f32_i32_sdwa v17, sext(v20) dst_sel:DWORD dst_unused:UNUSED_PAD src0_sel:BYTE_1
	v_fmac_f32_e32 v26, v17, v18
	v_cvt_f32_i32_sdwa v17, sext(v20) dst_sel:DWORD dst_unused:UNUSED_PAD src0_sel:BYTE_2
	v_fmac_f32_e32 v12, v17, v18
	v_cvt_f32_i32_sdwa v17, sext(v20) dst_sel:DWORD dst_unused:UNUSED_PAD src0_sel:BYTE_3
	v_fmac_f32_e32 v3, v17, v18
	global_load_dwordx2 v[17:18], v[14:15], off offset:128
	s_waitcnt vmcnt(0)
	v_sub_co_u32_e32 v17, vcc, v17, v1
	v_subb_co_u32_e32 v18, vcc, v18, v2, vcc
	v_lshlrev_b64 v[21:22], 2, v[17:18]
	global_load_dwordx4 v[17:20], v[10:11], off offset:768
	v_add_co_u32_e32 v21, vcc, s6, v21
	v_addc_co_u32_e32 v22, vcc, v16, v22, vcc
	global_load_dword v21, v[21:22], off
	v_add_co_u32_e32 v10, vcc, s7, v10
	v_addc_co_u32_e32 v11, vcc, 0, v11, vcc
	v_add_co_u32_e32 v6, vcc, 64, v6
	v_addc_co_u32_e32 v7, vcc, 0, v7, vcc
	v_add_co_u32_e32 v14, vcc, 0x200, v14
	v_addc_co_u32_e32 v15, vcc, 0, v15, vcc
	v_cmp_ge_i64_e32 vcc, v[6:7], v[8:9]
	s_or_b64 s[8:9], vcc, s[8:9]
	s_waitcnt vmcnt(1)
	v_cvt_f32_i32_sdwa v23, sext(v17) dst_sel:DWORD dst_unused:UNUSED_PAD src0_sel:BYTE_0
	s_waitcnt vmcnt(0)
	v_cvt_f32_i32_sdwa v22, sext(v21) dst_sel:DWORD dst_unused:UNUSED_PAD src0_sel:BYTE_0
	v_fmac_f32_e32 v13, v23, v22
	v_cvt_f32_i32_sdwa v23, sext(v17) dst_sel:DWORD dst_unused:UNUSED_PAD src0_sel:BYTE_1
	v_fmac_f32_e32 v26, v23, v22
	v_cvt_f32_i32_sdwa v23, sext(v17) dst_sel:DWORD dst_unused:UNUSED_PAD src0_sel:BYTE_2
	v_cvt_f32_i32_sdwa v17, sext(v17) dst_sel:DWORD dst_unused:UNUSED_PAD src0_sel:BYTE_3
	v_fmac_f32_e32 v12, v23, v22
	v_fmac_f32_e32 v3, v17, v22
	v_cvt_f32_i32_sdwa v17, sext(v18) dst_sel:DWORD dst_unused:UNUSED_PAD src0_sel:BYTE_0
	v_cvt_f32_i32_sdwa v22, sext(v21) dst_sel:DWORD dst_unused:UNUSED_PAD src0_sel:BYTE_1
	v_fmac_f32_e32 v13, v17, v22
	v_cvt_f32_i32_sdwa v17, sext(v18) dst_sel:DWORD dst_unused:UNUSED_PAD src0_sel:BYTE_1
	v_fmac_f32_e32 v26, v17, v22
	v_cvt_f32_i32_sdwa v17, sext(v18) dst_sel:DWORD dst_unused:UNUSED_PAD src0_sel:BYTE_2
	v_fmac_f32_e32 v12, v17, v22
	v_cvt_f32_i32_sdwa v17, sext(v18) dst_sel:DWORD dst_unused:UNUSED_PAD src0_sel:BYTE_3
	v_cvt_f32_i32_sdwa v18, sext(v21) dst_sel:DWORD dst_unused:UNUSED_PAD src0_sel:BYTE_2
	v_fmac_f32_e32 v3, v17, v22
	v_cvt_f32_i32_sdwa v17, sext(v19) dst_sel:DWORD dst_unused:UNUSED_PAD src0_sel:BYTE_0
	v_fmac_f32_e32 v13, v17, v18
	v_cvt_f32_i32_sdwa v17, sext(v19) dst_sel:DWORD dst_unused:UNUSED_PAD src0_sel:BYTE_1
	v_fmac_f32_e32 v26, v17, v18
	v_cvt_f32_i32_sdwa v17, sext(v19) dst_sel:DWORD dst_unused:UNUSED_PAD src0_sel:BYTE_2
	v_fmac_f32_e32 v12, v17, v18
	v_cvt_f32_i32_sdwa v17, sext(v19) dst_sel:DWORD dst_unused:UNUSED_PAD src0_sel:BYTE_3
	v_fmac_f32_e32 v3, v17, v18
	v_cvt_f32_i32_sdwa v17, sext(v20) dst_sel:DWORD dst_unused:UNUSED_PAD src0_sel:BYTE_0
	v_cvt_f32_i32_sdwa v18, sext(v21) dst_sel:DWORD dst_unused:UNUSED_PAD src0_sel:BYTE_3
	v_fmac_f32_e32 v13, v17, v18
	v_cvt_f32_i32_sdwa v17, sext(v20) dst_sel:DWORD dst_unused:UNUSED_PAD src0_sel:BYTE_1
	v_fmac_f32_e32 v26, v17, v18
	v_cvt_f32_i32_sdwa v17, sext(v20) dst_sel:DWORD dst_unused:UNUSED_PAD src0_sel:BYTE_2
	v_fmac_f32_e32 v12, v17, v18
	v_cvt_f32_i32_sdwa v17, sext(v20) dst_sel:DWORD dst_unused:UNUSED_PAD src0_sel:BYTE_3
	v_fmac_f32_e32 v3, v17, v18
	s_andn2_b64 exec, exec, s[8:9]
	s_cbranch_execnz .LBB87_35
; %bb.36:
	s_or_b64 exec, exec, s[8:9]
.LBB87_37:
	s_or_b64 exec, exec, s[0:1]
.LBB87_38:
	s_or_b64 exec, exec, s[2:3]
.LBB87_39:
	v_mov_b32_dpp v1, v13 row_shr:1 row_mask:0xf bank_mask:0xf
	v_mov_b32_dpp v6, v26 row_shr:1 row_mask:0xf bank_mask:0xf
	v_mov_b32_dpp v8, v12 row_shr:1 row_mask:0xf bank_mask:0xf
	v_mov_b32_dpp v10, v3 row_shr:1 row_mask:0xf bank_mask:0xf
	v_add_f32_e32 v1, v13, v1
	v_add_f32_e32 v6, v26, v6
	v_add_f32_e32 v8, v12, v8
	v_add_f32_e32 v3, v3, v10
	v_mov_b32_dpp v2, v1 row_shr:2 row_mask:0xf bank_mask:0xf
	v_mov_b32_dpp v7, v6 row_shr:2 row_mask:0xf bank_mask:0xf
	v_mov_b32_dpp v9, v8 row_shr:2 row_mask:0xf bank_mask:0xf
	v_mov_b32_dpp v10, v3 row_shr:2 row_mask:0xf bank_mask:0xf
	v_add_f32_e32 v1, v1, v2
	v_add_f32_e32 v6, v6, v7
	v_add_f32_e32 v8, v8, v9
	v_add_f32_e32 v3, v3, v10
	;; [unrolled: 8-line block ×3, first 2 shown]
	v_mov_b32_dpp v2, v1 row_shr:8 row_mask:0xf bank_mask:0xc
	v_mov_b32_dpp v7, v6 row_shr:8 row_mask:0xf bank_mask:0xc
	;; [unrolled: 1-line block ×4, first 2 shown]
	v_cmp_eq_u32_e32 vcc, 15, v0
	s_and_b64 exec, exec, vcc
	s_cbranch_execz .LBB87_10
; %bb.40:
	s_load_dwordx2 s[0:1], s[4:5], 0x58
	v_add_f32_e32 v0, v1, v2
	v_add_f32_e32 v1, v6, v7
	;; [unrolled: 1-line block ×4, first 2 shown]
	v_cmp_eq_f32_e64 s[2:3], s20, 0
	v_lshlrev_b64 v[4:5], 4, v[4:5]
	s_and_b64 vcc, exec, s[2:3]
	v_mul_f32_e32 v0, s16, v0
	v_mul_f32_e32 v1, s16, v1
	;; [unrolled: 1-line block ×4, first 2 shown]
	s_cbranch_vccz .LBB87_42
; %bb.41:
	s_waitcnt lgkmcnt(0)
	v_mov_b32_e32 v7, s1
	v_add_co_u32_e32 v6, vcc, s0, v4
	v_addc_co_u32_e32 v7, vcc, v7, v5, vcc
	global_store_dwordx4 v[6:7], v[0:3], off
	s_cbranch_execnz .LBB87_10
	s_branch .LBB87_43
.LBB87_42:
.LBB87_43:
	s_waitcnt lgkmcnt(0)
	v_mov_b32_e32 v6, s1
	v_add_co_u32_e32 v8, vcc, s0, v4
	v_addc_co_u32_e32 v9, vcc, v6, v5, vcc
	global_load_dwordx4 v[4:7], v[8:9], off
	s_waitcnt vmcnt(0)
	v_fmac_f32_e32 v0, s20, v4
	v_fmac_f32_e32 v1, s20, v5
	;; [unrolled: 1-line block ×4, first 2 shown]
	global_store_dwordx4 v[8:9], v[0:3], off
	s_endpgm
	.section	.rodata,"a",@progbits
	.p2align	6, 0x0
	.amdhsa_kernel _ZN9rocsparseL18bsrxmvn_4x4_kernelILj128ELj16EfllaafEEvT3_20rocsparse_direction_NS_24const_host_device_scalarIT1_EES1_PKS1_PKT2_SA_S7_PKT4_PKT5_S5_PT6_21rocsparse_index_base_b
		.amdhsa_group_segment_fixed_size 0
		.amdhsa_private_segment_fixed_size 0
		.amdhsa_kernarg_size 104
		.amdhsa_user_sgpr_count 6
		.amdhsa_user_sgpr_private_segment_buffer 1
		.amdhsa_user_sgpr_dispatch_ptr 0
		.amdhsa_user_sgpr_queue_ptr 0
		.amdhsa_user_sgpr_kernarg_segment_ptr 1
		.amdhsa_user_sgpr_dispatch_id 0
		.amdhsa_user_sgpr_flat_scratch_init 0
		.amdhsa_user_sgpr_private_segment_size 0
		.amdhsa_uses_dynamic_stack 0
		.amdhsa_system_sgpr_private_segment_wavefront_offset 0
		.amdhsa_system_sgpr_workgroup_id_x 1
		.amdhsa_system_sgpr_workgroup_id_y 0
		.amdhsa_system_sgpr_workgroup_id_z 0
		.amdhsa_system_sgpr_workgroup_info 0
		.amdhsa_system_vgpr_workitem_id 0
		.amdhsa_next_free_vgpr 48
		.amdhsa_next_free_sgpr 22
		.amdhsa_reserve_vcc 1
		.amdhsa_reserve_flat_scratch 0
		.amdhsa_float_round_mode_32 0
		.amdhsa_float_round_mode_16_64 0
		.amdhsa_float_denorm_mode_32 3
		.amdhsa_float_denorm_mode_16_64 3
		.amdhsa_dx10_clamp 1
		.amdhsa_ieee_mode 1
		.amdhsa_fp16_overflow 0
		.amdhsa_exception_fp_ieee_invalid_op 0
		.amdhsa_exception_fp_denorm_src 0
		.amdhsa_exception_fp_ieee_div_zero 0
		.amdhsa_exception_fp_ieee_overflow 0
		.amdhsa_exception_fp_ieee_underflow 0
		.amdhsa_exception_fp_ieee_inexact 0
		.amdhsa_exception_int_div_zero 0
	.end_amdhsa_kernel
	.section	.text._ZN9rocsparseL18bsrxmvn_4x4_kernelILj128ELj16EfllaafEEvT3_20rocsparse_direction_NS_24const_host_device_scalarIT1_EES1_PKS1_PKT2_SA_S7_PKT4_PKT5_S5_PT6_21rocsparse_index_base_b,"axG",@progbits,_ZN9rocsparseL18bsrxmvn_4x4_kernelILj128ELj16EfllaafEEvT3_20rocsparse_direction_NS_24const_host_device_scalarIT1_EES1_PKS1_PKT2_SA_S7_PKT4_PKT5_S5_PT6_21rocsparse_index_base_b,comdat
.Lfunc_end87:
	.size	_ZN9rocsparseL18bsrxmvn_4x4_kernelILj128ELj16EfllaafEEvT3_20rocsparse_direction_NS_24const_host_device_scalarIT1_EES1_PKS1_PKT2_SA_S7_PKT4_PKT5_S5_PT6_21rocsparse_index_base_b, .Lfunc_end87-_ZN9rocsparseL18bsrxmvn_4x4_kernelILj128ELj16EfllaafEEvT3_20rocsparse_direction_NS_24const_host_device_scalarIT1_EES1_PKS1_PKT2_SA_S7_PKT4_PKT5_S5_PT6_21rocsparse_index_base_b
                                        ; -- End function
	.set _ZN9rocsparseL18bsrxmvn_4x4_kernelILj128ELj16EfllaafEEvT3_20rocsparse_direction_NS_24const_host_device_scalarIT1_EES1_PKS1_PKT2_SA_S7_PKT4_PKT5_S5_PT6_21rocsparse_index_base_b.num_vgpr, 48
	.set _ZN9rocsparseL18bsrxmvn_4x4_kernelILj128ELj16EfllaafEEvT3_20rocsparse_direction_NS_24const_host_device_scalarIT1_EES1_PKS1_PKT2_SA_S7_PKT4_PKT5_S5_PT6_21rocsparse_index_base_b.num_agpr, 0
	.set _ZN9rocsparseL18bsrxmvn_4x4_kernelILj128ELj16EfllaafEEvT3_20rocsparse_direction_NS_24const_host_device_scalarIT1_EES1_PKS1_PKT2_SA_S7_PKT4_PKT5_S5_PT6_21rocsparse_index_base_b.numbered_sgpr, 22
	.set _ZN9rocsparseL18bsrxmvn_4x4_kernelILj128ELj16EfllaafEEvT3_20rocsparse_direction_NS_24const_host_device_scalarIT1_EES1_PKS1_PKT2_SA_S7_PKT4_PKT5_S5_PT6_21rocsparse_index_base_b.num_named_barrier, 0
	.set _ZN9rocsparseL18bsrxmvn_4x4_kernelILj128ELj16EfllaafEEvT3_20rocsparse_direction_NS_24const_host_device_scalarIT1_EES1_PKS1_PKT2_SA_S7_PKT4_PKT5_S5_PT6_21rocsparse_index_base_b.private_seg_size, 0
	.set _ZN9rocsparseL18bsrxmvn_4x4_kernelILj128ELj16EfllaafEEvT3_20rocsparse_direction_NS_24const_host_device_scalarIT1_EES1_PKS1_PKT2_SA_S7_PKT4_PKT5_S5_PT6_21rocsparse_index_base_b.uses_vcc, 1
	.set _ZN9rocsparseL18bsrxmvn_4x4_kernelILj128ELj16EfllaafEEvT3_20rocsparse_direction_NS_24const_host_device_scalarIT1_EES1_PKS1_PKT2_SA_S7_PKT4_PKT5_S5_PT6_21rocsparse_index_base_b.uses_flat_scratch, 0
	.set _ZN9rocsparseL18bsrxmvn_4x4_kernelILj128ELj16EfllaafEEvT3_20rocsparse_direction_NS_24const_host_device_scalarIT1_EES1_PKS1_PKT2_SA_S7_PKT4_PKT5_S5_PT6_21rocsparse_index_base_b.has_dyn_sized_stack, 0
	.set _ZN9rocsparseL18bsrxmvn_4x4_kernelILj128ELj16EfllaafEEvT3_20rocsparse_direction_NS_24const_host_device_scalarIT1_EES1_PKS1_PKT2_SA_S7_PKT4_PKT5_S5_PT6_21rocsparse_index_base_b.has_recursion, 0
	.set _ZN9rocsparseL18bsrxmvn_4x4_kernelILj128ELj16EfllaafEEvT3_20rocsparse_direction_NS_24const_host_device_scalarIT1_EES1_PKS1_PKT2_SA_S7_PKT4_PKT5_S5_PT6_21rocsparse_index_base_b.has_indirect_call, 0
	.section	.AMDGPU.csdata,"",@progbits
; Kernel info:
; codeLenInByte = 4448
; TotalNumSgprs: 26
; NumVgprs: 48
; ScratchSize: 0
; MemoryBound: 0
; FloatMode: 240
; IeeeMode: 1
; LDSByteSize: 0 bytes/workgroup (compile time only)
; SGPRBlocks: 3
; VGPRBlocks: 11
; NumSGPRsForWavesPerEU: 26
; NumVGPRsForWavesPerEU: 48
; Occupancy: 5
; WaveLimiterHint : 1
; COMPUTE_PGM_RSRC2:SCRATCH_EN: 0
; COMPUTE_PGM_RSRC2:USER_SGPR: 6
; COMPUTE_PGM_RSRC2:TRAP_HANDLER: 0
; COMPUTE_PGM_RSRC2:TGID_X_EN: 1
; COMPUTE_PGM_RSRC2:TGID_Y_EN: 0
; COMPUTE_PGM_RSRC2:TGID_Z_EN: 0
; COMPUTE_PGM_RSRC2:TIDIG_COMP_CNT: 0
	.section	.text._ZN9rocsparseL18bsrxmvn_4x4_kernelILj128ELj32EfllaafEEvT3_20rocsparse_direction_NS_24const_host_device_scalarIT1_EES1_PKS1_PKT2_SA_S7_PKT4_PKT5_S5_PT6_21rocsparse_index_base_b,"axG",@progbits,_ZN9rocsparseL18bsrxmvn_4x4_kernelILj128ELj32EfllaafEEvT3_20rocsparse_direction_NS_24const_host_device_scalarIT1_EES1_PKS1_PKT2_SA_S7_PKT4_PKT5_S5_PT6_21rocsparse_index_base_b,comdat
	.globl	_ZN9rocsparseL18bsrxmvn_4x4_kernelILj128ELj32EfllaafEEvT3_20rocsparse_direction_NS_24const_host_device_scalarIT1_EES1_PKS1_PKT2_SA_S7_PKT4_PKT5_S5_PT6_21rocsparse_index_base_b ; -- Begin function _ZN9rocsparseL18bsrxmvn_4x4_kernelILj128ELj32EfllaafEEvT3_20rocsparse_direction_NS_24const_host_device_scalarIT1_EES1_PKS1_PKT2_SA_S7_PKT4_PKT5_S5_PT6_21rocsparse_index_base_b
	.p2align	8
	.type	_ZN9rocsparseL18bsrxmvn_4x4_kernelILj128ELj32EfllaafEEvT3_20rocsparse_direction_NS_24const_host_device_scalarIT1_EES1_PKS1_PKT2_SA_S7_PKT4_PKT5_S5_PT6_21rocsparse_index_base_b,@function
_ZN9rocsparseL18bsrxmvn_4x4_kernelILj128ELj32EfllaafEEvT3_20rocsparse_direction_NS_24const_host_device_scalarIT1_EES1_PKS1_PKT2_SA_S7_PKT4_PKT5_S5_PT6_21rocsparse_index_base_b: ; @_ZN9rocsparseL18bsrxmvn_4x4_kernelILj128ELj32EfllaafEEvT3_20rocsparse_direction_NS_24const_host_device_scalarIT1_EES1_PKS1_PKT2_SA_S7_PKT4_PKT5_S5_PT6_21rocsparse_index_base_b
; %bb.0:
	s_load_dwordx2 s[0:1], s[4:5], 0x60
	s_load_dwordx4 s[16:19], s[4:5], 0x10
	s_load_dwordx2 s[20:21], s[4:5], 0x50
	s_waitcnt lgkmcnt(0)
	s_bitcmp1_b32 s1, 0
	s_cselect_b64 s[8:9], -1, 0
	s_xor_b64 s[2:3], s[8:9], -1
	s_and_b64 vcc, exec, s[8:9]
	s_cbranch_vccnz .LBB88_2
; %bb.1:
	s_load_dword s16, s[16:17], 0x0
.LBB88_2:
	s_andn2_b64 vcc, exec, s[2:3]
	s_cbranch_vccnz .LBB88_4
; %bb.3:
	s_load_dword s20, s[20:21], 0x0
.LBB88_4:
	s_waitcnt lgkmcnt(0)
	v_cmp_neq_f32_e64 s[2:3], s16, 0
	v_cmp_neq_f32_e64 s[8:9], s20, 1.0
	s_or_b64 s[2:3], s[2:3], s[8:9]
	s_andn2_b64 vcc, exec, s[2:3]
	s_cbranch_vccnz .LBB88_10
; %bb.5:
	s_load_dwordx2 s[8:9], s[4:5], 0x20
	v_lshrrev_b32_e32 v1, 5, v0
	v_lshl_or_b32 v6, s6, 2, v1
	v_mov_b32_e32 v7, 0
	s_mov_b64 s[2:3], 0
	s_waitcnt lgkmcnt(0)
	s_cmp_lg_u64 s[8:9], 0
	s_cbranch_scc0 .LBB88_11
; %bb.6:
	v_cmp_gt_i64_e32 vcc, s[18:19], v[6:7]
                                        ; implicit-def: $vgpr4_vgpr5
                                        ; implicit-def: $vgpr1_vgpr2
	s_and_saveexec_b64 s[6:7], vcc
	s_xor_b64 s[6:7], exec, s[6:7]
	s_cbranch_execz .LBB88_8
; %bb.7:
	v_lshlrev_b64 v[1:2], 3, v[6:7]
	v_mov_b32_e32 v3, s9
	v_add_co_u32_e32 v1, vcc, s8, v1
	v_addc_co_u32_e32 v2, vcc, v3, v2, vcc
	global_load_dwordx2 v[1:2], v[1:2], off
	s_mov_b32 s1, 0
	s_mov_b64 s[2:3], exec
	s_waitcnt vmcnt(0)
	v_subrev_co_u32_e32 v4, vcc, s0, v1
	v_subbrev_co_u32_e32 v5, vcc, 0, v2, vcc
	v_mov_b32_e32 v2, s1
	v_mov_b32_e32 v1, s0
.LBB88_8:
	s_or_b64 exec, exec, s[6:7]
.LBB88_9:
	s_and_saveexec_b64 s[0:1], s[2:3]
	s_cbranch_execnz .LBB88_15
.LBB88_10:
	s_endpgm
.LBB88_11:
                                        ; implicit-def: $vgpr4_vgpr5
                                        ; implicit-def: $vgpr1_vgpr2
	s_cbranch_execz .LBB88_9
; %bb.12:
	s_load_dwordx2 s[6:7], s[4:5], 0x0
	s_waitcnt lgkmcnt(0)
	v_cmp_gt_i64_e32 vcc, s[6:7], v[6:7]
	s_and_saveexec_b64 s[6:7], vcc
; %bb.13:
	s_mov_b32 s1, 0
	s_or_b64 s[2:3], s[2:3], exec
; %bb.14:
	s_or_b64 exec, exec, s[6:7]
	v_mov_b32_e32 v2, s1
	v_mov_b32_e32 v4, v6
	;; [unrolled: 1-line block ×4, first 2 shown]
	s_and_saveexec_b64 s[0:1], s[2:3]
	s_cbranch_execz .LBB88_10
.LBB88_15:
	s_load_dwordx8 s[8:15], s[4:5], 0x28
	v_lshlrev_b64 v[6:7], 3, v[4:5]
	v_and_b32_e32 v0, 31, v0
	s_waitcnt lgkmcnt(0)
	v_mov_b32_e32 v3, s9
	v_add_co_u32_e32 v8, vcc, s8, v6
	v_addc_co_u32_e32 v9, vcc, v3, v7, vcc
	v_add_co_u32_e32 v3, vcc, 8, v8
	global_load_dwordx2 v[14:15], v[8:9], off
	v_addc_co_u32_e32 v8, vcc, 0, v9, vcc
	v_mov_b32_e32 v9, s11
	v_add_co_u32_e32 v6, vcc, s10, v6
	s_cmp_eq_u64 s[10:11], 0
	v_addc_co_u32_e32 v7, vcc, v9, v7, vcc
	s_cselect_b64 vcc, -1, 0
	v_cndmask_b32_e32 v7, v7, v8, vcc
	v_cndmask_b32_e32 v6, v6, v3, vcc
	global_load_dwordx2 v[8:9], v[6:7], off
	s_load_dword s0, s[4:5], 0x8
	s_load_dwordx2 s[6:7], s[4:5], 0x48
	v_mov_b32_e32 v12, s15
	v_mov_b32_e32 v3, 0
	s_waitcnt lgkmcnt(0)
	s_cmp_eq_u32 s0, 1
	s_waitcnt vmcnt(1)
	v_sub_co_u32_e32 v6, vcc, v14, v1
	v_subb_co_u32_e32 v7, vcc, v15, v2, vcc
	v_add_co_u32_e32 v6, vcc, v6, v0
	v_addc_co_u32_e32 v7, vcc, 0, v7, vcc
	v_lshlrev_b64 v[10:11], 4, v[6:7]
	s_waitcnt vmcnt(0)
	v_sub_co_u32_e32 v8, vcc, v8, v1
	v_subb_co_u32_e32 v9, vcc, v9, v2, vcc
	v_cmp_lt_i64_e64 s[0:1], v[6:7], v[8:9]
	v_add_co_u32_e32 v10, vcc, s14, v10
	v_addc_co_u32_e32 v11, vcc, v12, v11, vcc
	s_cbranch_scc1 .LBB88_27
; %bb.16:
	v_mov_b32_e32 v12, 0
	v_mov_b32_e32 v26, 0
	;; [unrolled: 1-line block ×3, first 2 shown]
	s_and_saveexec_b64 s[8:9], s[0:1]
	s_cbranch_execz .LBB88_26
; %bb.17:
	v_or_b32_e32 v3, 32, v0
	v_sub_co_u32_e32 v3, vcc, v3, v1
	v_subb_co_u32_e32 v13, vcc, 0, v2, vcc
	v_add_co_u32_e32 v12, vcc, v3, v14
	v_addc_co_u32_e32 v13, vcc, v13, v15, vcc
	v_cmp_gt_i64_e32 vcc, v[12:13], v[8:9]
	v_not_b32_e32 v16, v14
	v_cndmask_b32_e32 v3, v9, v13, vcc
	v_cndmask_b32_e32 v12, v8, v12, vcc
	v_sub_co_u32_e32 v17, vcc, v1, v0
	v_subbrev_co_u32_e32 v18, vcc, 0, v2, vcc
	v_not_b32_e32 v13, v15
	v_add_co_u32_e32 v16, vcc, v17, v16
	v_addc_co_u32_e32 v13, vcc, v18, v13, vcc
	v_add_co_u32_e32 v20, vcc, v16, v12
	v_addc_co_u32_e32 v21, vcc, v13, v3, vcc
	v_and_b32_e32 v12, 0x60, v20
	v_mov_b32_e32 v13, 0
	s_mov_b64 s[2:3], 0x60
	v_cmp_ne_u64_e32 vcc, s[2:3], v[12:13]
	v_mov_b32_e32 v17, v7
	v_mov_b32_e32 v19, v11
	;; [unrolled: 1-line block ×7, first 2 shown]
	s_and_saveexec_b64 s[10:11], vcc
	s_cbranch_execz .LBB88_21
; %bb.18:
	v_lshlrev_b64 v[12:13], 3, v[6:7]
	v_lshrrev_b32_e32 v3, 5, v20
	v_add_u32_e32 v3, 1, v3
	v_mov_b32_e32 v17, s13
	v_add_co_u32_e32 v22, vcc, s12, v12
	v_and_b32_e32 v16, 3, v3
	v_addc_co_u32_e32 v23, vcc, v17, v13, vcc
	v_sub_co_u32_e32 v24, vcc, 0, v16
	v_mov_b32_e32 v19, v11
	v_mov_b32_e32 v17, v7
	;; [unrolled: 1-line block ×3, first 2 shown]
	s_mov_b64 s[14:15], 0
	v_subb_co_u32_e64 v25, s[2:3], 0, 0, vcc
	s_movk_i32 s17, 0x200
	v_mov_b32_e32 v27, s7
	v_mov_b32_e32 v18, v10
	;; [unrolled: 1-line block ×6, first 2 shown]
.LBB88_19:                              ; =>This Inner Loop Header: Depth=1
	global_load_dwordx2 v[32:33], v[22:23], off
	global_load_dwordx4 v[28:31], v[18:19], off
	s_waitcnt vmcnt(1)
	v_sub_co_u32_e32 v32, vcc, v32, v1
	v_subb_co_u32_e32 v33, vcc, v33, v2, vcc
	v_lshlrev_b64 v[32:33], 2, v[32:33]
	s_waitcnt vmcnt(0)
	v_cvt_f32_i32_sdwa v36, sext(v29) dst_sel:DWORD dst_unused:UNUSED_PAD src0_sel:BYTE_0
	v_add_co_u32_e32 v32, vcc, s6, v32
	v_addc_co_u32_e32 v33, vcc, v27, v33, vcc
	global_load_dword v32, v[32:33], off
	v_add_co_u32_e32 v18, vcc, s17, v18
	v_cvt_f32_i32_sdwa v33, sext(v28) dst_sel:DWORD dst_unused:UNUSED_PAD src0_sel:BYTE_0
	v_cvt_f32_i32_sdwa v39, sext(v30) dst_sel:DWORD dst_unused:UNUSED_PAD src0_sel:BYTE_0
	;; [unrolled: 1-line block ×3, first 2 shown]
	s_mov_b64 s[2:3], vcc
	v_add_co_u32_e32 v16, vcc, 32, v16
	v_cvt_f32_i32_sdwa v34, sext(v28) dst_sel:DWORD dst_unused:UNUSED_PAD src0_sel:BYTE_1
	v_cvt_f32_i32_sdwa v37, sext(v29) dst_sel:DWORD dst_unused:UNUSED_PAD src0_sel:BYTE_1
	;; [unrolled: 1-line block ×4, first 2 shown]
	v_addc_co_u32_e32 v17, vcc, 0, v17, vcc
	v_cvt_f32_i32_sdwa v35, sext(v28) dst_sel:DWORD dst_unused:UNUSED_PAD src0_sel:BYTE_2
	v_cvt_f32_i32_sdwa v38, sext(v29) dst_sel:DWORD dst_unused:UNUSED_PAD src0_sel:BYTE_2
	v_cvt_f32_i32_sdwa v41, sext(v30) dst_sel:DWORD dst_unused:UNUSED_PAD src0_sel:BYTE_2
	v_cvt_f32_i32_sdwa v44, sext(v31) dst_sel:DWORD dst_unused:UNUSED_PAD src0_sel:BYTE_2
	v_add_co_u32_e32 v24, vcc, 1, v24
	v_cvt_f32_i32_sdwa v28, sext(v28) dst_sel:DWORD dst_unused:UNUSED_PAD src0_sel:BYTE_3
	v_cvt_f32_i32_sdwa v29, sext(v29) dst_sel:DWORD dst_unused:UNUSED_PAD src0_sel:BYTE_3
	;; [unrolled: 1-line block ×4, first 2 shown]
	v_addc_co_u32_e32 v25, vcc, 0, v25, vcc
	v_addc_co_u32_e64 v19, s[2:3], 0, v19, s[2:3]
	v_cmp_eq_u64_e64 s[2:3], 0, v[24:25]
	v_add_co_u32_e32 v22, vcc, 0x100, v22
	v_addc_co_u32_e32 v23, vcc, 0, v23, vcc
	s_or_b64 s[14:15], s[2:3], s[14:15]
	s_waitcnt vmcnt(0)
	v_cvt_f32_i32_sdwa v45, sext(v32) dst_sel:DWORD dst_unused:UNUSED_PAD src0_sel:BYTE_0
	v_cvt_f32_i32_sdwa v46, sext(v32) dst_sel:DWORD dst_unused:UNUSED_PAD src0_sel:BYTE_1
	v_cvt_f32_i32_sdwa v47, sext(v32) dst_sel:DWORD dst_unused:UNUSED_PAD src0_sel:BYTE_2
	v_cvt_f32_i32_sdwa v32, sext(v32) dst_sel:DWORD dst_unused:UNUSED_PAD src0_sel:BYTE_3
	v_fmac_f32_e32 v13, v33, v45
	v_fmac_f32_e32 v26, v36, v45
	;; [unrolled: 1-line block ×16, first 2 shown]
	s_andn2_b64 exec, exec, s[14:15]
	s_cbranch_execnz .LBB88_19
; %bb.20:
	s_or_b64 exec, exec, s[14:15]
.LBB88_21:
	s_or_b64 exec, exec, s[10:11]
	s_mov_b64 s[2:3], 0x5f
	v_cmp_lt_u64_e32 vcc, s[2:3], v[20:21]
	s_and_saveexec_b64 s[2:3], vcc
	s_cbranch_execz .LBB88_25
; %bb.22:
	v_lshlrev_b64 v[20:21], 3, v[16:17]
	v_mov_b32_e32 v22, s13
	v_add_co_u32_e32 v20, vcc, s12, v20
	v_addc_co_u32_e32 v21, vcc, v22, v21, vcc
	v_add_co_u32_e32 v20, vcc, 0x200, v20
	v_addc_co_u32_e32 v21, vcc, 0, v21, vcc
	s_mov_b64 s[10:11], 0
	v_mov_b32_e32 v22, s7
	s_movk_i32 s14, 0x800
.LBB88_23:                              ; =>This Inner Loop Header: Depth=1
	global_load_dwordx2 v[23:24], v[20:21], off offset:-512
	global_load_dwordx4 v[27:30], v[18:19], off
	s_waitcnt vmcnt(1)
	v_sub_co_u32_e32 v23, vcc, v23, v1
	v_subb_co_u32_e32 v24, vcc, v24, v2, vcc
	v_lshlrev_b64 v[23:24], 2, v[23:24]
	s_waitcnt vmcnt(0)
	v_cvt_f32_i32_sdwa v25, sext(v27) dst_sel:DWORD dst_unused:UNUSED_PAD src0_sel:BYTE_0
	v_add_co_u32_e32 v23, vcc, s6, v23
	v_addc_co_u32_e32 v24, vcc, v22, v24, vcc
	global_load_dword v23, v[23:24], off
	s_waitcnt vmcnt(0)
	v_cvt_f32_i32_sdwa v24, sext(v23) dst_sel:DWORD dst_unused:UNUSED_PAD src0_sel:BYTE_0
	v_cvt_f32_i32_sdwa v31, sext(v23) dst_sel:DWORD dst_unused:UNUSED_PAD src0_sel:BYTE_1
	v_cvt_f32_i32_sdwa v32, sext(v23) dst_sel:DWORD dst_unused:UNUSED_PAD src0_sel:BYTE_2
	v_cvt_f32_i32_sdwa v23, sext(v23) dst_sel:DWORD dst_unused:UNUSED_PAD src0_sel:BYTE_3
	v_fmac_f32_e32 v13, v25, v24
	v_cvt_f32_i32_sdwa v25, sext(v27) dst_sel:DWORD dst_unused:UNUSED_PAD src0_sel:BYTE_1
	v_fmac_f32_e32 v13, v25, v31
	v_cvt_f32_i32_sdwa v25, sext(v27) dst_sel:DWORD dst_unused:UNUSED_PAD src0_sel:BYTE_2
	v_fmac_f32_e32 v13, v25, v32
	v_cvt_f32_i32_sdwa v25, sext(v27) dst_sel:DWORD dst_unused:UNUSED_PAD src0_sel:BYTE_3
	v_fmac_f32_e32 v13, v25, v23
	v_cvt_f32_i32_sdwa v25, sext(v28) dst_sel:DWORD dst_unused:UNUSED_PAD src0_sel:BYTE_0
	v_fmac_f32_e32 v26, v25, v24
	v_cvt_f32_i32_sdwa v25, sext(v28) dst_sel:DWORD dst_unused:UNUSED_PAD src0_sel:BYTE_1
	v_fmac_f32_e32 v26, v25, v31
	v_cvt_f32_i32_sdwa v25, sext(v28) dst_sel:DWORD dst_unused:UNUSED_PAD src0_sel:BYTE_2
	v_fmac_f32_e32 v26, v25, v32
	v_cvt_f32_i32_sdwa v25, sext(v28) dst_sel:DWORD dst_unused:UNUSED_PAD src0_sel:BYTE_3
	v_fmac_f32_e32 v26, v25, v23
	v_cvt_f32_i32_sdwa v25, sext(v29) dst_sel:DWORD dst_unused:UNUSED_PAD src0_sel:BYTE_0
	;; [unrolled: 8-line block ×3, first 2 shown]
	v_fmac_f32_e32 v3, v25, v24
	v_cvt_f32_i32_sdwa v24, sext(v30) dst_sel:DWORD dst_unused:UNUSED_PAD src0_sel:BYTE_1
	v_fmac_f32_e32 v3, v24, v31
	v_cvt_f32_i32_sdwa v24, sext(v30) dst_sel:DWORD dst_unused:UNUSED_PAD src0_sel:BYTE_2
	v_fmac_f32_e32 v3, v24, v32
	v_cvt_f32_i32_sdwa v24, sext(v30) dst_sel:DWORD dst_unused:UNUSED_PAD src0_sel:BYTE_3
	global_load_dwordx4 v[27:30], v[18:19], off offset:512
	v_fmac_f32_e32 v3, v24, v23
	global_load_dwordx2 v[23:24], v[20:21], off offset:-256
	s_waitcnt vmcnt(1)
	v_cvt_f32_i32_sdwa v25, sext(v27) dst_sel:DWORD dst_unused:UNUSED_PAD src0_sel:BYTE_0
	s_waitcnt vmcnt(0)
	v_sub_co_u32_e32 v23, vcc, v23, v1
	v_subb_co_u32_e32 v24, vcc, v24, v2, vcc
	v_lshlrev_b64 v[23:24], 2, v[23:24]
	v_add_co_u32_e32 v23, vcc, s6, v23
	v_addc_co_u32_e32 v24, vcc, v22, v24, vcc
	global_load_dword v23, v[23:24], off
	s_waitcnt vmcnt(0)
	v_cvt_f32_i32_sdwa v24, sext(v23) dst_sel:DWORD dst_unused:UNUSED_PAD src0_sel:BYTE_0
	v_cvt_f32_i32_sdwa v31, sext(v23) dst_sel:DWORD dst_unused:UNUSED_PAD src0_sel:BYTE_1
	v_cvt_f32_i32_sdwa v32, sext(v23) dst_sel:DWORD dst_unused:UNUSED_PAD src0_sel:BYTE_2
	v_cvt_f32_i32_sdwa v23, sext(v23) dst_sel:DWORD dst_unused:UNUSED_PAD src0_sel:BYTE_3
	v_fmac_f32_e32 v13, v25, v24
	v_cvt_f32_i32_sdwa v25, sext(v27) dst_sel:DWORD dst_unused:UNUSED_PAD src0_sel:BYTE_1
	v_fmac_f32_e32 v13, v25, v31
	v_cvt_f32_i32_sdwa v25, sext(v27) dst_sel:DWORD dst_unused:UNUSED_PAD src0_sel:BYTE_2
	v_fmac_f32_e32 v13, v25, v32
	v_cvt_f32_i32_sdwa v25, sext(v27) dst_sel:DWORD dst_unused:UNUSED_PAD src0_sel:BYTE_3
	v_fmac_f32_e32 v13, v25, v23
	v_cvt_f32_i32_sdwa v25, sext(v28) dst_sel:DWORD dst_unused:UNUSED_PAD src0_sel:BYTE_0
	v_fmac_f32_e32 v26, v25, v24
	v_cvt_f32_i32_sdwa v25, sext(v28) dst_sel:DWORD dst_unused:UNUSED_PAD src0_sel:BYTE_1
	v_fmac_f32_e32 v26, v25, v31
	v_cvt_f32_i32_sdwa v25, sext(v28) dst_sel:DWORD dst_unused:UNUSED_PAD src0_sel:BYTE_2
	v_fmac_f32_e32 v26, v25, v32
	v_cvt_f32_i32_sdwa v25, sext(v28) dst_sel:DWORD dst_unused:UNUSED_PAD src0_sel:BYTE_3
	v_fmac_f32_e32 v26, v25, v23
	v_cvt_f32_i32_sdwa v25, sext(v29) dst_sel:DWORD dst_unused:UNUSED_PAD src0_sel:BYTE_0
	;; [unrolled: 8-line block ×3, first 2 shown]
	v_fmac_f32_e32 v3, v25, v24
	v_cvt_f32_i32_sdwa v24, sext(v30) dst_sel:DWORD dst_unused:UNUSED_PAD src0_sel:BYTE_1
	v_fmac_f32_e32 v3, v24, v31
	v_cvt_f32_i32_sdwa v24, sext(v30) dst_sel:DWORD dst_unused:UNUSED_PAD src0_sel:BYTE_2
	v_fmac_f32_e32 v3, v24, v32
	v_cvt_f32_i32_sdwa v24, sext(v30) dst_sel:DWORD dst_unused:UNUSED_PAD src0_sel:BYTE_3
	global_load_dwordx4 v[27:30], v[18:19], off offset:1024
	v_fmac_f32_e32 v3, v24, v23
	global_load_dwordx2 v[23:24], v[20:21], off
	s_waitcnt vmcnt(1)
	v_cvt_f32_i32_sdwa v25, sext(v27) dst_sel:DWORD dst_unused:UNUSED_PAD src0_sel:BYTE_0
	s_waitcnt vmcnt(0)
	v_sub_co_u32_e32 v23, vcc, v23, v1
	v_subb_co_u32_e32 v24, vcc, v24, v2, vcc
	v_lshlrev_b64 v[23:24], 2, v[23:24]
	v_add_co_u32_e32 v23, vcc, s6, v23
	v_addc_co_u32_e32 v24, vcc, v22, v24, vcc
	global_load_dword v23, v[23:24], off
	s_waitcnt vmcnt(0)
	v_cvt_f32_i32_sdwa v24, sext(v23) dst_sel:DWORD dst_unused:UNUSED_PAD src0_sel:BYTE_0
	v_cvt_f32_i32_sdwa v31, sext(v23) dst_sel:DWORD dst_unused:UNUSED_PAD src0_sel:BYTE_1
	v_cvt_f32_i32_sdwa v32, sext(v23) dst_sel:DWORD dst_unused:UNUSED_PAD src0_sel:BYTE_2
	v_cvt_f32_i32_sdwa v23, sext(v23) dst_sel:DWORD dst_unused:UNUSED_PAD src0_sel:BYTE_3
	v_fmac_f32_e32 v13, v25, v24
	v_cvt_f32_i32_sdwa v25, sext(v27) dst_sel:DWORD dst_unused:UNUSED_PAD src0_sel:BYTE_1
	v_fmac_f32_e32 v13, v25, v31
	v_cvt_f32_i32_sdwa v25, sext(v27) dst_sel:DWORD dst_unused:UNUSED_PAD src0_sel:BYTE_2
	v_fmac_f32_e32 v13, v25, v32
	v_cvt_f32_i32_sdwa v25, sext(v27) dst_sel:DWORD dst_unused:UNUSED_PAD src0_sel:BYTE_3
	v_fmac_f32_e32 v13, v25, v23
	v_cvt_f32_i32_sdwa v25, sext(v28) dst_sel:DWORD dst_unused:UNUSED_PAD src0_sel:BYTE_0
	v_fmac_f32_e32 v26, v25, v24
	v_cvt_f32_i32_sdwa v25, sext(v28) dst_sel:DWORD dst_unused:UNUSED_PAD src0_sel:BYTE_1
	v_fmac_f32_e32 v26, v25, v31
	v_cvt_f32_i32_sdwa v25, sext(v28) dst_sel:DWORD dst_unused:UNUSED_PAD src0_sel:BYTE_2
	v_fmac_f32_e32 v26, v25, v32
	v_cvt_f32_i32_sdwa v25, sext(v28) dst_sel:DWORD dst_unused:UNUSED_PAD src0_sel:BYTE_3
	v_fmac_f32_e32 v26, v25, v23
	v_cvt_f32_i32_sdwa v25, sext(v29) dst_sel:DWORD dst_unused:UNUSED_PAD src0_sel:BYTE_0
	;; [unrolled: 8-line block ×3, first 2 shown]
	v_fmac_f32_e32 v3, v25, v24
	v_cvt_f32_i32_sdwa v24, sext(v30) dst_sel:DWORD dst_unused:UNUSED_PAD src0_sel:BYTE_1
	v_fmac_f32_e32 v3, v24, v31
	v_cvt_f32_i32_sdwa v24, sext(v30) dst_sel:DWORD dst_unused:UNUSED_PAD src0_sel:BYTE_2
	v_fmac_f32_e32 v3, v24, v32
	v_cvt_f32_i32_sdwa v24, sext(v30) dst_sel:DWORD dst_unused:UNUSED_PAD src0_sel:BYTE_3
	global_load_dwordx4 v[27:30], v[18:19], off offset:1536
	v_fmac_f32_e32 v3, v24, v23
	global_load_dwordx2 v[23:24], v[20:21], off offset:256
	s_waitcnt vmcnt(1)
	v_cvt_f32_i32_sdwa v25, sext(v27) dst_sel:DWORD dst_unused:UNUSED_PAD src0_sel:BYTE_0
	s_waitcnt vmcnt(0)
	v_sub_co_u32_e32 v23, vcc, v23, v1
	v_subb_co_u32_e32 v24, vcc, v24, v2, vcc
	v_lshlrev_b64 v[23:24], 2, v[23:24]
	v_add_co_u32_e32 v23, vcc, s6, v23
	v_addc_co_u32_e32 v24, vcc, v22, v24, vcc
	global_load_dword v23, v[23:24], off
	v_add_co_u32_e32 v18, vcc, s14, v18
	v_addc_co_u32_e32 v19, vcc, 0, v19, vcc
	v_add_co_u32_e32 v16, vcc, 0x80, v16
	v_addc_co_u32_e32 v17, vcc, 0, v17, vcc
	;; [unrolled: 2-line block ×3, first 2 shown]
	v_cmp_ge_i64_e32 vcc, v[16:17], v[8:9]
	s_or_b64 s[10:11], vcc, s[10:11]
	s_waitcnt vmcnt(0)
	v_cvt_f32_i32_sdwa v24, sext(v23) dst_sel:DWORD dst_unused:UNUSED_PAD src0_sel:BYTE_0
	v_cvt_f32_i32_sdwa v31, sext(v23) dst_sel:DWORD dst_unused:UNUSED_PAD src0_sel:BYTE_1
	v_cvt_f32_i32_sdwa v32, sext(v23) dst_sel:DWORD dst_unused:UNUSED_PAD src0_sel:BYTE_2
	v_cvt_f32_i32_sdwa v23, sext(v23) dst_sel:DWORD dst_unused:UNUSED_PAD src0_sel:BYTE_3
	v_fmac_f32_e32 v13, v25, v24
	v_cvt_f32_i32_sdwa v25, sext(v27) dst_sel:DWORD dst_unused:UNUSED_PAD src0_sel:BYTE_1
	v_fmac_f32_e32 v13, v25, v31
	v_cvt_f32_i32_sdwa v25, sext(v27) dst_sel:DWORD dst_unused:UNUSED_PAD src0_sel:BYTE_2
	v_fmac_f32_e32 v13, v25, v32
	v_cvt_f32_i32_sdwa v25, sext(v27) dst_sel:DWORD dst_unused:UNUSED_PAD src0_sel:BYTE_3
	v_fmac_f32_e32 v13, v25, v23
	v_cvt_f32_i32_sdwa v25, sext(v28) dst_sel:DWORD dst_unused:UNUSED_PAD src0_sel:BYTE_0
	v_fmac_f32_e32 v26, v25, v24
	v_cvt_f32_i32_sdwa v25, sext(v28) dst_sel:DWORD dst_unused:UNUSED_PAD src0_sel:BYTE_1
	v_fmac_f32_e32 v26, v25, v31
	v_cvt_f32_i32_sdwa v25, sext(v28) dst_sel:DWORD dst_unused:UNUSED_PAD src0_sel:BYTE_2
	v_fmac_f32_e32 v26, v25, v32
	v_cvt_f32_i32_sdwa v25, sext(v28) dst_sel:DWORD dst_unused:UNUSED_PAD src0_sel:BYTE_3
	v_fmac_f32_e32 v26, v25, v23
	v_cvt_f32_i32_sdwa v25, sext(v29) dst_sel:DWORD dst_unused:UNUSED_PAD src0_sel:BYTE_0
	;; [unrolled: 8-line block ×3, first 2 shown]
	v_fmac_f32_e32 v3, v25, v24
	v_cvt_f32_i32_sdwa v24, sext(v30) dst_sel:DWORD dst_unused:UNUSED_PAD src0_sel:BYTE_1
	v_fmac_f32_e32 v3, v24, v31
	v_cvt_f32_i32_sdwa v24, sext(v30) dst_sel:DWORD dst_unused:UNUSED_PAD src0_sel:BYTE_2
	v_fmac_f32_e32 v3, v24, v32
	v_cvt_f32_i32_sdwa v24, sext(v30) dst_sel:DWORD dst_unused:UNUSED_PAD src0_sel:BYTE_3
	v_fmac_f32_e32 v3, v24, v23
	s_andn2_b64 exec, exec, s[10:11]
	s_cbranch_execnz .LBB88_23
; %bb.24:
	s_or_b64 exec, exec, s[10:11]
.LBB88_25:
	s_or_b64 exec, exec, s[2:3]
.LBB88_26:
	s_or_b64 exec, exec, s[8:9]
	s_cbranch_execz .LBB88_28
	s_branch .LBB88_39
.LBB88_27:
                                        ; implicit-def: $vgpr3
                                        ; implicit-def: $vgpr12
                                        ; implicit-def: $vgpr26
                                        ; implicit-def: $vgpr13
.LBB88_28:
	v_mov_b32_e32 v3, 0
	v_mov_b32_e32 v12, 0
	;; [unrolled: 1-line block ×4, first 2 shown]
	s_and_saveexec_b64 s[2:3], s[0:1]
	s_cbranch_execz .LBB88_38
; %bb.29:
	v_or_b32_e32 v3, 32, v0
	v_sub_co_u32_e32 v3, vcc, v3, v1
	v_subb_co_u32_e32 v13, vcc, 0, v2, vcc
	v_add_co_u32_e32 v12, vcc, v3, v14
	v_addc_co_u32_e32 v13, vcc, v13, v15, vcc
	v_cmp_gt_i64_e32 vcc, v[12:13], v[8:9]
	v_not_b32_e32 v14, v14
	v_cndmask_b32_e32 v3, v9, v13, vcc
	v_cndmask_b32_e32 v12, v8, v12, vcc
	v_not_b32_e32 v13, v15
	v_sub_co_u32_e32 v15, vcc, v1, v0
	v_subbrev_co_u32_e32 v16, vcc, 0, v2, vcc
	v_add_co_u32_e32 v14, vcc, v15, v14
	v_addc_co_u32_e32 v13, vcc, v16, v13, vcc
	v_add_co_u32_e32 v14, vcc, v14, v12
	v_addc_co_u32_e32 v15, vcc, v13, v3, vcc
	v_and_b32_e32 v12, 0x60, v14
	v_mov_b32_e32 v13, 0
	s_mov_b64 s[0:1], 0x60
	v_cmp_ne_u64_e32 vcc, s[0:1], v[12:13]
	v_mov_b32_e32 v26, v13
	v_mov_b32_e32 v12, v13
	;; [unrolled: 1-line block ×3, first 2 shown]
	s_and_saveexec_b64 s[8:9], vcc
	s_cbranch_execz .LBB88_33
; %bb.30:
	v_lshlrev_b64 v[12:13], 3, v[6:7]
	v_lshrrev_b32_e32 v3, 5, v14
	v_add_u32_e32 v3, 1, v3
	v_mov_b32_e32 v17, s13
	v_add_co_u32_e32 v16, vcc, s12, v12
	v_and_b32_e32 v18, 3, v3
	v_addc_co_u32_e32 v17, vcc, v17, v13, vcc
	v_sub_co_u32_e32 v18, vcc, 0, v18
	v_mov_b32_e32 v3, 0
	s_mov_b64 s[10:11], 0
	v_subb_co_u32_e64 v19, s[0:1], 0, 0, vcc
	s_movk_i32 s14, 0x200
	v_mov_b32_e32 v20, s7
	v_mov_b32_e32 v12, 0
	;; [unrolled: 1-line block ×4, first 2 shown]
.LBB88_31:                              ; =>This Inner Loop Header: Depth=1
	global_load_dwordx2 v[27:28], v[16:17], off
	global_load_dwordx4 v[21:24], v[10:11], off
	v_add_co_u32_e64 v6, s[0:1], 32, v6
	v_addc_co_u32_e64 v7, s[0:1], 0, v7, s[0:1]
	v_add_co_u32_e64 v18, s[0:1], 1, v18
	v_addc_co_u32_e64 v19, s[0:1], 0, v19, s[0:1]
	v_cmp_eq_u64_e64 s[0:1], 0, v[18:19]
	s_or_b64 s[10:11], s[0:1], s[10:11]
	s_waitcnt vmcnt(1)
	v_sub_co_u32_e32 v27, vcc, v27, v1
	v_subb_co_u32_e32 v28, vcc, v28, v2, vcc
	v_lshlrev_b64 v[27:28], 2, v[27:28]
	s_waitcnt vmcnt(0)
	v_cvt_f32_i32_sdwa v29, sext(v21) dst_sel:DWORD dst_unused:UNUSED_PAD src0_sel:BYTE_2
	v_add_co_u32_e32 v27, vcc, s6, v27
	v_addc_co_u32_e32 v28, vcc, v20, v28, vcc
	global_load_dword v25, v[27:28], off
	v_cvt_f32_i32_sdwa v27, sext(v21) dst_sel:DWORD dst_unused:UNUSED_PAD src0_sel:BYTE_0
	v_cvt_f32_i32_sdwa v28, sext(v21) dst_sel:DWORD dst_unused:UNUSED_PAD src0_sel:BYTE_1
	v_cvt_f32_i32_sdwa v21, sext(v21) dst_sel:DWORD dst_unused:UNUSED_PAD src0_sel:BYTE_3
	v_cvt_f32_i32_sdwa v30, sext(v22) dst_sel:DWORD dst_unused:UNUSED_PAD src0_sel:BYTE_0
	v_cvt_f32_i32_sdwa v31, sext(v22) dst_sel:DWORD dst_unused:UNUSED_PAD src0_sel:BYTE_1
	v_cvt_f32_i32_sdwa v32, sext(v22) dst_sel:DWORD dst_unused:UNUSED_PAD src0_sel:BYTE_2
	v_cvt_f32_i32_sdwa v22, sext(v22) dst_sel:DWORD dst_unused:UNUSED_PAD src0_sel:BYTE_3
	v_cvt_f32_i32_sdwa v33, sext(v23) dst_sel:DWORD dst_unused:UNUSED_PAD src0_sel:BYTE_0
	v_cvt_f32_i32_sdwa v34, sext(v23) dst_sel:DWORD dst_unused:UNUSED_PAD src0_sel:BYTE_1
	v_cvt_f32_i32_sdwa v35, sext(v23) dst_sel:DWORD dst_unused:UNUSED_PAD src0_sel:BYTE_2
	;; [unrolled: 4-line block ×3, first 2 shown]
	v_cvt_f32_i32_sdwa v24, sext(v24) dst_sel:DWORD dst_unused:UNUSED_PAD src0_sel:BYTE_3
	v_add_co_u32_e32 v10, vcc, s14, v10
	v_addc_co_u32_e32 v11, vcc, 0, v11, vcc
	v_add_co_u32_e32 v16, vcc, 0x100, v16
	v_addc_co_u32_e32 v17, vcc, 0, v17, vcc
	s_waitcnt vmcnt(0)
	v_cvt_f32_i32_sdwa v39, sext(v25) dst_sel:DWORD dst_unused:UNUSED_PAD src0_sel:BYTE_0
	v_cvt_f32_i32_sdwa v40, sext(v25) dst_sel:DWORD dst_unused:UNUSED_PAD src0_sel:BYTE_1
	v_cvt_f32_i32_sdwa v41, sext(v25) dst_sel:DWORD dst_unused:UNUSED_PAD src0_sel:BYTE_2
	v_cvt_f32_i32_sdwa v25, sext(v25) dst_sel:DWORD dst_unused:UNUSED_PAD src0_sel:BYTE_3
	v_fmac_f32_e32 v13, v27, v39
	v_fmac_f32_e32 v26, v28, v39
	;; [unrolled: 1-line block ×16, first 2 shown]
	s_andn2_b64 exec, exec, s[10:11]
	s_cbranch_execnz .LBB88_31
; %bb.32:
	s_or_b64 exec, exec, s[10:11]
.LBB88_33:
	s_or_b64 exec, exec, s[8:9]
	s_mov_b64 s[0:1], 0x5f
	v_cmp_lt_u64_e32 vcc, s[0:1], v[14:15]
	s_and_saveexec_b64 s[0:1], vcc
	s_cbranch_execz .LBB88_37
; %bb.34:
	v_lshlrev_b64 v[14:15], 3, v[6:7]
	v_mov_b32_e32 v16, s13
	v_add_co_u32_e32 v14, vcc, s12, v14
	v_addc_co_u32_e32 v15, vcc, v16, v15, vcc
	v_add_co_u32_e32 v14, vcc, 0x200, v14
	v_addc_co_u32_e32 v15, vcc, 0, v15, vcc
	s_mov_b64 s[8:9], 0
	v_mov_b32_e32 v16, s7
	s_movk_i32 s7, 0x800
.LBB88_35:                              ; =>This Inner Loop Header: Depth=1
	global_load_dwordx2 v[17:18], v[14:15], off offset:-512
	s_waitcnt vmcnt(0)
	v_sub_co_u32_e32 v17, vcc, v17, v1
	v_subb_co_u32_e32 v18, vcc, v18, v2, vcc
	v_lshlrev_b64 v[21:22], 2, v[17:18]
	global_load_dwordx4 v[17:20], v[10:11], off
	v_add_co_u32_e32 v21, vcc, s6, v21
	v_addc_co_u32_e32 v22, vcc, v16, v22, vcc
	global_load_dword v21, v[21:22], off
	s_waitcnt vmcnt(1)
	v_cvt_f32_i32_sdwa v23, sext(v17) dst_sel:DWORD dst_unused:UNUSED_PAD src0_sel:BYTE_0
	s_waitcnt vmcnt(0)
	v_cvt_f32_i32_sdwa v22, sext(v21) dst_sel:DWORD dst_unused:UNUSED_PAD src0_sel:BYTE_0
	v_fmac_f32_e32 v13, v23, v22
	v_cvt_f32_i32_sdwa v23, sext(v17) dst_sel:DWORD dst_unused:UNUSED_PAD src0_sel:BYTE_1
	v_fmac_f32_e32 v26, v23, v22
	v_cvt_f32_i32_sdwa v23, sext(v17) dst_sel:DWORD dst_unused:UNUSED_PAD src0_sel:BYTE_2
	v_cvt_f32_i32_sdwa v17, sext(v17) dst_sel:DWORD dst_unused:UNUSED_PAD src0_sel:BYTE_3
	v_fmac_f32_e32 v12, v23, v22
	v_fmac_f32_e32 v3, v17, v22
	v_cvt_f32_i32_sdwa v17, sext(v18) dst_sel:DWORD dst_unused:UNUSED_PAD src0_sel:BYTE_0
	v_cvt_f32_i32_sdwa v22, sext(v21) dst_sel:DWORD dst_unused:UNUSED_PAD src0_sel:BYTE_1
	v_fmac_f32_e32 v13, v17, v22
	v_cvt_f32_i32_sdwa v17, sext(v18) dst_sel:DWORD dst_unused:UNUSED_PAD src0_sel:BYTE_1
	v_fmac_f32_e32 v26, v17, v22
	v_cvt_f32_i32_sdwa v17, sext(v18) dst_sel:DWORD dst_unused:UNUSED_PAD src0_sel:BYTE_2
	v_fmac_f32_e32 v12, v17, v22
	v_cvt_f32_i32_sdwa v17, sext(v18) dst_sel:DWORD dst_unused:UNUSED_PAD src0_sel:BYTE_3
	v_cvt_f32_i32_sdwa v18, sext(v21) dst_sel:DWORD dst_unused:UNUSED_PAD src0_sel:BYTE_2
	v_fmac_f32_e32 v3, v17, v22
	v_cvt_f32_i32_sdwa v17, sext(v19) dst_sel:DWORD dst_unused:UNUSED_PAD src0_sel:BYTE_0
	v_fmac_f32_e32 v13, v17, v18
	v_cvt_f32_i32_sdwa v17, sext(v19) dst_sel:DWORD dst_unused:UNUSED_PAD src0_sel:BYTE_1
	v_fmac_f32_e32 v26, v17, v18
	v_cvt_f32_i32_sdwa v17, sext(v19) dst_sel:DWORD dst_unused:UNUSED_PAD src0_sel:BYTE_2
	v_fmac_f32_e32 v12, v17, v18
	v_cvt_f32_i32_sdwa v17, sext(v19) dst_sel:DWORD dst_unused:UNUSED_PAD src0_sel:BYTE_3
	v_fmac_f32_e32 v3, v17, v18
	v_cvt_f32_i32_sdwa v17, sext(v20) dst_sel:DWORD dst_unused:UNUSED_PAD src0_sel:BYTE_0
	v_cvt_f32_i32_sdwa v18, sext(v21) dst_sel:DWORD dst_unused:UNUSED_PAD src0_sel:BYTE_3
	v_fmac_f32_e32 v13, v17, v18
	v_cvt_f32_i32_sdwa v17, sext(v20) dst_sel:DWORD dst_unused:UNUSED_PAD src0_sel:BYTE_1
	v_fmac_f32_e32 v26, v17, v18
	v_cvt_f32_i32_sdwa v17, sext(v20) dst_sel:DWORD dst_unused:UNUSED_PAD src0_sel:BYTE_2
	v_fmac_f32_e32 v12, v17, v18
	v_cvt_f32_i32_sdwa v17, sext(v20) dst_sel:DWORD dst_unused:UNUSED_PAD src0_sel:BYTE_3
	v_fmac_f32_e32 v3, v17, v18
	global_load_dwordx2 v[17:18], v[14:15], off offset:-256
	s_waitcnt vmcnt(0)
	v_sub_co_u32_e32 v17, vcc, v17, v1
	v_subb_co_u32_e32 v18, vcc, v18, v2, vcc
	v_lshlrev_b64 v[21:22], 2, v[17:18]
	global_load_dwordx4 v[17:20], v[10:11], off offset:512
	v_add_co_u32_e32 v21, vcc, s6, v21
	v_addc_co_u32_e32 v22, vcc, v16, v22, vcc
	global_load_dword v21, v[21:22], off
	s_waitcnt vmcnt(1)
	v_cvt_f32_i32_sdwa v23, sext(v17) dst_sel:DWORD dst_unused:UNUSED_PAD src0_sel:BYTE_0
	s_waitcnt vmcnt(0)
	v_cvt_f32_i32_sdwa v22, sext(v21) dst_sel:DWORD dst_unused:UNUSED_PAD src0_sel:BYTE_0
	v_fmac_f32_e32 v13, v23, v22
	v_cvt_f32_i32_sdwa v23, sext(v17) dst_sel:DWORD dst_unused:UNUSED_PAD src0_sel:BYTE_1
	v_fmac_f32_e32 v26, v23, v22
	v_cvt_f32_i32_sdwa v23, sext(v17) dst_sel:DWORD dst_unused:UNUSED_PAD src0_sel:BYTE_2
	v_cvt_f32_i32_sdwa v17, sext(v17) dst_sel:DWORD dst_unused:UNUSED_PAD src0_sel:BYTE_3
	v_fmac_f32_e32 v12, v23, v22
	v_fmac_f32_e32 v3, v17, v22
	v_cvt_f32_i32_sdwa v17, sext(v18) dst_sel:DWORD dst_unused:UNUSED_PAD src0_sel:BYTE_0
	v_cvt_f32_i32_sdwa v22, sext(v21) dst_sel:DWORD dst_unused:UNUSED_PAD src0_sel:BYTE_1
	v_fmac_f32_e32 v13, v17, v22
	v_cvt_f32_i32_sdwa v17, sext(v18) dst_sel:DWORD dst_unused:UNUSED_PAD src0_sel:BYTE_1
	v_fmac_f32_e32 v26, v17, v22
	v_cvt_f32_i32_sdwa v17, sext(v18) dst_sel:DWORD dst_unused:UNUSED_PAD src0_sel:BYTE_2
	v_fmac_f32_e32 v12, v17, v22
	v_cvt_f32_i32_sdwa v17, sext(v18) dst_sel:DWORD dst_unused:UNUSED_PAD src0_sel:BYTE_3
	v_cvt_f32_i32_sdwa v18, sext(v21) dst_sel:DWORD dst_unused:UNUSED_PAD src0_sel:BYTE_2
	v_fmac_f32_e32 v3, v17, v22
	v_cvt_f32_i32_sdwa v17, sext(v19) dst_sel:DWORD dst_unused:UNUSED_PAD src0_sel:BYTE_0
	v_fmac_f32_e32 v13, v17, v18
	v_cvt_f32_i32_sdwa v17, sext(v19) dst_sel:DWORD dst_unused:UNUSED_PAD src0_sel:BYTE_1
	v_fmac_f32_e32 v26, v17, v18
	v_cvt_f32_i32_sdwa v17, sext(v19) dst_sel:DWORD dst_unused:UNUSED_PAD src0_sel:BYTE_2
	v_fmac_f32_e32 v12, v17, v18
	v_cvt_f32_i32_sdwa v17, sext(v19) dst_sel:DWORD dst_unused:UNUSED_PAD src0_sel:BYTE_3
	v_fmac_f32_e32 v3, v17, v18
	v_cvt_f32_i32_sdwa v17, sext(v20) dst_sel:DWORD dst_unused:UNUSED_PAD src0_sel:BYTE_0
	v_cvt_f32_i32_sdwa v18, sext(v21) dst_sel:DWORD dst_unused:UNUSED_PAD src0_sel:BYTE_3
	v_fmac_f32_e32 v13, v17, v18
	v_cvt_f32_i32_sdwa v17, sext(v20) dst_sel:DWORD dst_unused:UNUSED_PAD src0_sel:BYTE_1
	v_fmac_f32_e32 v26, v17, v18
	v_cvt_f32_i32_sdwa v17, sext(v20) dst_sel:DWORD dst_unused:UNUSED_PAD src0_sel:BYTE_2
	v_fmac_f32_e32 v12, v17, v18
	v_cvt_f32_i32_sdwa v17, sext(v20) dst_sel:DWORD dst_unused:UNUSED_PAD src0_sel:BYTE_3
	v_fmac_f32_e32 v3, v17, v18
	global_load_dwordx2 v[17:18], v[14:15], off
	s_waitcnt vmcnt(0)
	v_sub_co_u32_e32 v17, vcc, v17, v1
	v_subb_co_u32_e32 v18, vcc, v18, v2, vcc
	v_lshlrev_b64 v[21:22], 2, v[17:18]
	global_load_dwordx4 v[17:20], v[10:11], off offset:1024
	v_add_co_u32_e32 v21, vcc, s6, v21
	v_addc_co_u32_e32 v22, vcc, v16, v22, vcc
	global_load_dword v21, v[21:22], off
	s_waitcnt vmcnt(1)
	v_cvt_f32_i32_sdwa v23, sext(v17) dst_sel:DWORD dst_unused:UNUSED_PAD src0_sel:BYTE_0
	s_waitcnt vmcnt(0)
	v_cvt_f32_i32_sdwa v22, sext(v21) dst_sel:DWORD dst_unused:UNUSED_PAD src0_sel:BYTE_0
	v_fmac_f32_e32 v13, v23, v22
	v_cvt_f32_i32_sdwa v23, sext(v17) dst_sel:DWORD dst_unused:UNUSED_PAD src0_sel:BYTE_1
	v_fmac_f32_e32 v26, v23, v22
	v_cvt_f32_i32_sdwa v23, sext(v17) dst_sel:DWORD dst_unused:UNUSED_PAD src0_sel:BYTE_2
	v_cvt_f32_i32_sdwa v17, sext(v17) dst_sel:DWORD dst_unused:UNUSED_PAD src0_sel:BYTE_3
	v_fmac_f32_e32 v12, v23, v22
	v_fmac_f32_e32 v3, v17, v22
	v_cvt_f32_i32_sdwa v17, sext(v18) dst_sel:DWORD dst_unused:UNUSED_PAD src0_sel:BYTE_0
	v_cvt_f32_i32_sdwa v22, sext(v21) dst_sel:DWORD dst_unused:UNUSED_PAD src0_sel:BYTE_1
	v_fmac_f32_e32 v13, v17, v22
	v_cvt_f32_i32_sdwa v17, sext(v18) dst_sel:DWORD dst_unused:UNUSED_PAD src0_sel:BYTE_1
	v_fmac_f32_e32 v26, v17, v22
	v_cvt_f32_i32_sdwa v17, sext(v18) dst_sel:DWORD dst_unused:UNUSED_PAD src0_sel:BYTE_2
	v_fmac_f32_e32 v12, v17, v22
	v_cvt_f32_i32_sdwa v17, sext(v18) dst_sel:DWORD dst_unused:UNUSED_PAD src0_sel:BYTE_3
	v_cvt_f32_i32_sdwa v18, sext(v21) dst_sel:DWORD dst_unused:UNUSED_PAD src0_sel:BYTE_2
	v_fmac_f32_e32 v3, v17, v22
	v_cvt_f32_i32_sdwa v17, sext(v19) dst_sel:DWORD dst_unused:UNUSED_PAD src0_sel:BYTE_0
	v_fmac_f32_e32 v13, v17, v18
	v_cvt_f32_i32_sdwa v17, sext(v19) dst_sel:DWORD dst_unused:UNUSED_PAD src0_sel:BYTE_1
	v_fmac_f32_e32 v26, v17, v18
	v_cvt_f32_i32_sdwa v17, sext(v19) dst_sel:DWORD dst_unused:UNUSED_PAD src0_sel:BYTE_2
	v_fmac_f32_e32 v12, v17, v18
	v_cvt_f32_i32_sdwa v17, sext(v19) dst_sel:DWORD dst_unused:UNUSED_PAD src0_sel:BYTE_3
	v_fmac_f32_e32 v3, v17, v18
	v_cvt_f32_i32_sdwa v17, sext(v20) dst_sel:DWORD dst_unused:UNUSED_PAD src0_sel:BYTE_0
	v_cvt_f32_i32_sdwa v18, sext(v21) dst_sel:DWORD dst_unused:UNUSED_PAD src0_sel:BYTE_3
	v_fmac_f32_e32 v13, v17, v18
	v_cvt_f32_i32_sdwa v17, sext(v20) dst_sel:DWORD dst_unused:UNUSED_PAD src0_sel:BYTE_1
	v_fmac_f32_e32 v26, v17, v18
	v_cvt_f32_i32_sdwa v17, sext(v20) dst_sel:DWORD dst_unused:UNUSED_PAD src0_sel:BYTE_2
	v_fmac_f32_e32 v12, v17, v18
	v_cvt_f32_i32_sdwa v17, sext(v20) dst_sel:DWORD dst_unused:UNUSED_PAD src0_sel:BYTE_3
	v_fmac_f32_e32 v3, v17, v18
	global_load_dwordx2 v[17:18], v[14:15], off offset:256
	s_waitcnt vmcnt(0)
	v_sub_co_u32_e32 v17, vcc, v17, v1
	v_subb_co_u32_e32 v18, vcc, v18, v2, vcc
	v_lshlrev_b64 v[21:22], 2, v[17:18]
	global_load_dwordx4 v[17:20], v[10:11], off offset:1536
	v_add_co_u32_e32 v21, vcc, s6, v21
	v_addc_co_u32_e32 v22, vcc, v16, v22, vcc
	global_load_dword v21, v[21:22], off
	v_add_co_u32_e32 v10, vcc, s7, v10
	v_addc_co_u32_e32 v11, vcc, 0, v11, vcc
	v_add_co_u32_e32 v6, vcc, 0x80, v6
	v_addc_co_u32_e32 v7, vcc, 0, v7, vcc
	;; [unrolled: 2-line block ×3, first 2 shown]
	v_cmp_ge_i64_e32 vcc, v[6:7], v[8:9]
	s_or_b64 s[8:9], vcc, s[8:9]
	s_waitcnt vmcnt(1)
	v_cvt_f32_i32_sdwa v23, sext(v17) dst_sel:DWORD dst_unused:UNUSED_PAD src0_sel:BYTE_0
	s_waitcnt vmcnt(0)
	v_cvt_f32_i32_sdwa v22, sext(v21) dst_sel:DWORD dst_unused:UNUSED_PAD src0_sel:BYTE_0
	v_fmac_f32_e32 v13, v23, v22
	v_cvt_f32_i32_sdwa v23, sext(v17) dst_sel:DWORD dst_unused:UNUSED_PAD src0_sel:BYTE_1
	v_fmac_f32_e32 v26, v23, v22
	v_cvt_f32_i32_sdwa v23, sext(v17) dst_sel:DWORD dst_unused:UNUSED_PAD src0_sel:BYTE_2
	v_cvt_f32_i32_sdwa v17, sext(v17) dst_sel:DWORD dst_unused:UNUSED_PAD src0_sel:BYTE_3
	v_fmac_f32_e32 v12, v23, v22
	v_fmac_f32_e32 v3, v17, v22
	v_cvt_f32_i32_sdwa v17, sext(v18) dst_sel:DWORD dst_unused:UNUSED_PAD src0_sel:BYTE_0
	v_cvt_f32_i32_sdwa v22, sext(v21) dst_sel:DWORD dst_unused:UNUSED_PAD src0_sel:BYTE_1
	v_fmac_f32_e32 v13, v17, v22
	v_cvt_f32_i32_sdwa v17, sext(v18) dst_sel:DWORD dst_unused:UNUSED_PAD src0_sel:BYTE_1
	v_fmac_f32_e32 v26, v17, v22
	v_cvt_f32_i32_sdwa v17, sext(v18) dst_sel:DWORD dst_unused:UNUSED_PAD src0_sel:BYTE_2
	v_fmac_f32_e32 v12, v17, v22
	v_cvt_f32_i32_sdwa v17, sext(v18) dst_sel:DWORD dst_unused:UNUSED_PAD src0_sel:BYTE_3
	v_cvt_f32_i32_sdwa v18, sext(v21) dst_sel:DWORD dst_unused:UNUSED_PAD src0_sel:BYTE_2
	v_fmac_f32_e32 v3, v17, v22
	v_cvt_f32_i32_sdwa v17, sext(v19) dst_sel:DWORD dst_unused:UNUSED_PAD src0_sel:BYTE_0
	v_fmac_f32_e32 v13, v17, v18
	v_cvt_f32_i32_sdwa v17, sext(v19) dst_sel:DWORD dst_unused:UNUSED_PAD src0_sel:BYTE_1
	v_fmac_f32_e32 v26, v17, v18
	v_cvt_f32_i32_sdwa v17, sext(v19) dst_sel:DWORD dst_unused:UNUSED_PAD src0_sel:BYTE_2
	v_fmac_f32_e32 v12, v17, v18
	v_cvt_f32_i32_sdwa v17, sext(v19) dst_sel:DWORD dst_unused:UNUSED_PAD src0_sel:BYTE_3
	v_fmac_f32_e32 v3, v17, v18
	v_cvt_f32_i32_sdwa v17, sext(v20) dst_sel:DWORD dst_unused:UNUSED_PAD src0_sel:BYTE_0
	v_cvt_f32_i32_sdwa v18, sext(v21) dst_sel:DWORD dst_unused:UNUSED_PAD src0_sel:BYTE_3
	v_fmac_f32_e32 v13, v17, v18
	v_cvt_f32_i32_sdwa v17, sext(v20) dst_sel:DWORD dst_unused:UNUSED_PAD src0_sel:BYTE_1
	v_fmac_f32_e32 v26, v17, v18
	v_cvt_f32_i32_sdwa v17, sext(v20) dst_sel:DWORD dst_unused:UNUSED_PAD src0_sel:BYTE_2
	v_fmac_f32_e32 v12, v17, v18
	v_cvt_f32_i32_sdwa v17, sext(v20) dst_sel:DWORD dst_unused:UNUSED_PAD src0_sel:BYTE_3
	v_fmac_f32_e32 v3, v17, v18
	s_andn2_b64 exec, exec, s[8:9]
	s_cbranch_execnz .LBB88_35
; %bb.36:
	s_or_b64 exec, exec, s[8:9]
.LBB88_37:
	s_or_b64 exec, exec, s[0:1]
.LBB88_38:
	s_or_b64 exec, exec, s[2:3]
.LBB88_39:
	v_mov_b32_dpp v1, v13 row_shr:1 row_mask:0xf bank_mask:0xf
	v_mov_b32_dpp v6, v26 row_shr:1 row_mask:0xf bank_mask:0xf
	v_mov_b32_dpp v8, v12 row_shr:1 row_mask:0xf bank_mask:0xf
	v_mov_b32_dpp v10, v3 row_shr:1 row_mask:0xf bank_mask:0xf
	v_add_f32_e32 v1, v13, v1
	v_add_f32_e32 v6, v26, v6
	v_add_f32_e32 v8, v12, v8
	v_add_f32_e32 v3, v3, v10
	v_mov_b32_dpp v2, v1 row_shr:2 row_mask:0xf bank_mask:0xf
	v_mov_b32_dpp v7, v6 row_shr:2 row_mask:0xf bank_mask:0xf
	v_mov_b32_dpp v9, v8 row_shr:2 row_mask:0xf bank_mask:0xf
	v_mov_b32_dpp v10, v3 row_shr:2 row_mask:0xf bank_mask:0xf
	v_add_f32_e32 v1, v1, v2
	v_add_f32_e32 v6, v6, v7
	v_add_f32_e32 v8, v8, v9
	v_add_f32_e32 v3, v3, v10
	;; [unrolled: 8-line block ×4, first 2 shown]
	v_mov_b32_dpp v2, v1 row_bcast:15 row_mask:0xa bank_mask:0xf
	v_mov_b32_dpp v7, v6 row_bcast:15 row_mask:0xa bank_mask:0xf
	;; [unrolled: 1-line block ×4, first 2 shown]
	v_cmp_eq_u32_e32 vcc, 31, v0
	s_and_b64 exec, exec, vcc
	s_cbranch_execz .LBB88_10
; %bb.40:
	s_load_dwordx2 s[0:1], s[4:5], 0x58
	v_add_f32_e32 v0, v1, v2
	v_add_f32_e32 v1, v6, v7
	;; [unrolled: 1-line block ×4, first 2 shown]
	v_cmp_eq_f32_e64 s[2:3], s20, 0
	v_lshlrev_b64 v[4:5], 4, v[4:5]
	s_and_b64 vcc, exec, s[2:3]
	v_mul_f32_e32 v0, s16, v0
	v_mul_f32_e32 v1, s16, v1
	;; [unrolled: 1-line block ×4, first 2 shown]
	s_cbranch_vccz .LBB88_42
; %bb.41:
	s_waitcnt lgkmcnt(0)
	v_mov_b32_e32 v7, s1
	v_add_co_u32_e32 v6, vcc, s0, v4
	v_addc_co_u32_e32 v7, vcc, v7, v5, vcc
	global_store_dwordx4 v[6:7], v[0:3], off
	s_cbranch_execnz .LBB88_10
	s_branch .LBB88_43
.LBB88_42:
.LBB88_43:
	s_waitcnt lgkmcnt(0)
	v_mov_b32_e32 v6, s1
	v_add_co_u32_e32 v8, vcc, s0, v4
	v_addc_co_u32_e32 v9, vcc, v6, v5, vcc
	global_load_dwordx4 v[4:7], v[8:9], off
	s_waitcnt vmcnt(0)
	v_fmac_f32_e32 v0, s20, v4
	v_fmac_f32_e32 v1, s20, v5
	;; [unrolled: 1-line block ×4, first 2 shown]
	global_store_dwordx4 v[8:9], v[0:3], off
	s_endpgm
	.section	.rodata,"a",@progbits
	.p2align	6, 0x0
	.amdhsa_kernel _ZN9rocsparseL18bsrxmvn_4x4_kernelILj128ELj32EfllaafEEvT3_20rocsparse_direction_NS_24const_host_device_scalarIT1_EES1_PKS1_PKT2_SA_S7_PKT4_PKT5_S5_PT6_21rocsparse_index_base_b
		.amdhsa_group_segment_fixed_size 0
		.amdhsa_private_segment_fixed_size 0
		.amdhsa_kernarg_size 104
		.amdhsa_user_sgpr_count 6
		.amdhsa_user_sgpr_private_segment_buffer 1
		.amdhsa_user_sgpr_dispatch_ptr 0
		.amdhsa_user_sgpr_queue_ptr 0
		.amdhsa_user_sgpr_kernarg_segment_ptr 1
		.amdhsa_user_sgpr_dispatch_id 0
		.amdhsa_user_sgpr_flat_scratch_init 0
		.amdhsa_user_sgpr_private_segment_size 0
		.amdhsa_uses_dynamic_stack 0
		.amdhsa_system_sgpr_private_segment_wavefront_offset 0
		.amdhsa_system_sgpr_workgroup_id_x 1
		.amdhsa_system_sgpr_workgroup_id_y 0
		.amdhsa_system_sgpr_workgroup_id_z 0
		.amdhsa_system_sgpr_workgroup_info 0
		.amdhsa_system_vgpr_workitem_id 0
		.amdhsa_next_free_vgpr 48
		.amdhsa_next_free_sgpr 22
		.amdhsa_reserve_vcc 1
		.amdhsa_reserve_flat_scratch 0
		.amdhsa_float_round_mode_32 0
		.amdhsa_float_round_mode_16_64 0
		.amdhsa_float_denorm_mode_32 3
		.amdhsa_float_denorm_mode_16_64 3
		.amdhsa_dx10_clamp 1
		.amdhsa_ieee_mode 1
		.amdhsa_fp16_overflow 0
		.amdhsa_exception_fp_ieee_invalid_op 0
		.amdhsa_exception_fp_denorm_src 0
		.amdhsa_exception_fp_ieee_div_zero 0
		.amdhsa_exception_fp_ieee_overflow 0
		.amdhsa_exception_fp_ieee_underflow 0
		.amdhsa_exception_fp_ieee_inexact 0
		.amdhsa_exception_int_div_zero 0
	.end_amdhsa_kernel
	.section	.text._ZN9rocsparseL18bsrxmvn_4x4_kernelILj128ELj32EfllaafEEvT3_20rocsparse_direction_NS_24const_host_device_scalarIT1_EES1_PKS1_PKT2_SA_S7_PKT4_PKT5_S5_PT6_21rocsparse_index_base_b,"axG",@progbits,_ZN9rocsparseL18bsrxmvn_4x4_kernelILj128ELj32EfllaafEEvT3_20rocsparse_direction_NS_24const_host_device_scalarIT1_EES1_PKS1_PKT2_SA_S7_PKT4_PKT5_S5_PT6_21rocsparse_index_base_b,comdat
.Lfunc_end88:
	.size	_ZN9rocsparseL18bsrxmvn_4x4_kernelILj128ELj32EfllaafEEvT3_20rocsparse_direction_NS_24const_host_device_scalarIT1_EES1_PKS1_PKT2_SA_S7_PKT4_PKT5_S5_PT6_21rocsparse_index_base_b, .Lfunc_end88-_ZN9rocsparseL18bsrxmvn_4x4_kernelILj128ELj32EfllaafEEvT3_20rocsparse_direction_NS_24const_host_device_scalarIT1_EES1_PKS1_PKT2_SA_S7_PKT4_PKT5_S5_PT6_21rocsparse_index_base_b
                                        ; -- End function
	.set _ZN9rocsparseL18bsrxmvn_4x4_kernelILj128ELj32EfllaafEEvT3_20rocsparse_direction_NS_24const_host_device_scalarIT1_EES1_PKS1_PKT2_SA_S7_PKT4_PKT5_S5_PT6_21rocsparse_index_base_b.num_vgpr, 48
	.set _ZN9rocsparseL18bsrxmvn_4x4_kernelILj128ELj32EfllaafEEvT3_20rocsparse_direction_NS_24const_host_device_scalarIT1_EES1_PKS1_PKT2_SA_S7_PKT4_PKT5_S5_PT6_21rocsparse_index_base_b.num_agpr, 0
	.set _ZN9rocsparseL18bsrxmvn_4x4_kernelILj128ELj32EfllaafEEvT3_20rocsparse_direction_NS_24const_host_device_scalarIT1_EES1_PKS1_PKT2_SA_S7_PKT4_PKT5_S5_PT6_21rocsparse_index_base_b.numbered_sgpr, 22
	.set _ZN9rocsparseL18bsrxmvn_4x4_kernelILj128ELj32EfllaafEEvT3_20rocsparse_direction_NS_24const_host_device_scalarIT1_EES1_PKS1_PKT2_SA_S7_PKT4_PKT5_S5_PT6_21rocsparse_index_base_b.num_named_barrier, 0
	.set _ZN9rocsparseL18bsrxmvn_4x4_kernelILj128ELj32EfllaafEEvT3_20rocsparse_direction_NS_24const_host_device_scalarIT1_EES1_PKS1_PKT2_SA_S7_PKT4_PKT5_S5_PT6_21rocsparse_index_base_b.private_seg_size, 0
	.set _ZN9rocsparseL18bsrxmvn_4x4_kernelILj128ELj32EfllaafEEvT3_20rocsparse_direction_NS_24const_host_device_scalarIT1_EES1_PKS1_PKT2_SA_S7_PKT4_PKT5_S5_PT6_21rocsparse_index_base_b.uses_vcc, 1
	.set _ZN9rocsparseL18bsrxmvn_4x4_kernelILj128ELj32EfllaafEEvT3_20rocsparse_direction_NS_24const_host_device_scalarIT1_EES1_PKS1_PKT2_SA_S7_PKT4_PKT5_S5_PT6_21rocsparse_index_base_b.uses_flat_scratch, 0
	.set _ZN9rocsparseL18bsrxmvn_4x4_kernelILj128ELj32EfllaafEEvT3_20rocsparse_direction_NS_24const_host_device_scalarIT1_EES1_PKS1_PKT2_SA_S7_PKT4_PKT5_S5_PT6_21rocsparse_index_base_b.has_dyn_sized_stack, 0
	.set _ZN9rocsparseL18bsrxmvn_4x4_kernelILj128ELj32EfllaafEEvT3_20rocsparse_direction_NS_24const_host_device_scalarIT1_EES1_PKS1_PKT2_SA_S7_PKT4_PKT5_S5_PT6_21rocsparse_index_base_b.has_recursion, 0
	.set _ZN9rocsparseL18bsrxmvn_4x4_kernelILj128ELj32EfllaafEEvT3_20rocsparse_direction_NS_24const_host_device_scalarIT1_EES1_PKS1_PKT2_SA_S7_PKT4_PKT5_S5_PT6_21rocsparse_index_base_b.has_indirect_call, 0
	.section	.AMDGPU.csdata,"",@progbits
; Kernel info:
; codeLenInByte = 4544
; TotalNumSgprs: 26
; NumVgprs: 48
; ScratchSize: 0
; MemoryBound: 0
; FloatMode: 240
; IeeeMode: 1
; LDSByteSize: 0 bytes/workgroup (compile time only)
; SGPRBlocks: 3
; VGPRBlocks: 11
; NumSGPRsForWavesPerEU: 26
; NumVGPRsForWavesPerEU: 48
; Occupancy: 5
; WaveLimiterHint : 1
; COMPUTE_PGM_RSRC2:SCRATCH_EN: 0
; COMPUTE_PGM_RSRC2:USER_SGPR: 6
; COMPUTE_PGM_RSRC2:TRAP_HANDLER: 0
; COMPUTE_PGM_RSRC2:TGID_X_EN: 1
; COMPUTE_PGM_RSRC2:TGID_Y_EN: 0
; COMPUTE_PGM_RSRC2:TGID_Z_EN: 0
; COMPUTE_PGM_RSRC2:TIDIG_COMP_CNT: 0
	.section	.text._ZN9rocsparseL18bsrxmvn_4x4_kernelILj128ELj64EfllaafEEvT3_20rocsparse_direction_NS_24const_host_device_scalarIT1_EES1_PKS1_PKT2_SA_S7_PKT4_PKT5_S5_PT6_21rocsparse_index_base_b,"axG",@progbits,_ZN9rocsparseL18bsrxmvn_4x4_kernelILj128ELj64EfllaafEEvT3_20rocsparse_direction_NS_24const_host_device_scalarIT1_EES1_PKS1_PKT2_SA_S7_PKT4_PKT5_S5_PT6_21rocsparse_index_base_b,comdat
	.globl	_ZN9rocsparseL18bsrxmvn_4x4_kernelILj128ELj64EfllaafEEvT3_20rocsparse_direction_NS_24const_host_device_scalarIT1_EES1_PKS1_PKT2_SA_S7_PKT4_PKT5_S5_PT6_21rocsparse_index_base_b ; -- Begin function _ZN9rocsparseL18bsrxmvn_4x4_kernelILj128ELj64EfllaafEEvT3_20rocsparse_direction_NS_24const_host_device_scalarIT1_EES1_PKS1_PKT2_SA_S7_PKT4_PKT5_S5_PT6_21rocsparse_index_base_b
	.p2align	8
	.type	_ZN9rocsparseL18bsrxmvn_4x4_kernelILj128ELj64EfllaafEEvT3_20rocsparse_direction_NS_24const_host_device_scalarIT1_EES1_PKS1_PKT2_SA_S7_PKT4_PKT5_S5_PT6_21rocsparse_index_base_b,@function
_ZN9rocsparseL18bsrxmvn_4x4_kernelILj128ELj64EfllaafEEvT3_20rocsparse_direction_NS_24const_host_device_scalarIT1_EES1_PKS1_PKT2_SA_S7_PKT4_PKT5_S5_PT6_21rocsparse_index_base_b: ; @_ZN9rocsparseL18bsrxmvn_4x4_kernelILj128ELj64EfllaafEEvT3_20rocsparse_direction_NS_24const_host_device_scalarIT1_EES1_PKS1_PKT2_SA_S7_PKT4_PKT5_S5_PT6_21rocsparse_index_base_b
; %bb.0:
	s_load_dwordx2 s[0:1], s[4:5], 0x60
	s_load_dwordx4 s[16:19], s[4:5], 0x10
	s_load_dwordx2 s[20:21], s[4:5], 0x50
	s_waitcnt lgkmcnt(0)
	s_bitcmp1_b32 s1, 0
	s_cselect_b64 s[8:9], -1, 0
	s_xor_b64 s[2:3], s[8:9], -1
	s_and_b64 vcc, exec, s[8:9]
	s_cbranch_vccnz .LBB89_2
; %bb.1:
	s_load_dword s16, s[16:17], 0x0
.LBB89_2:
	s_andn2_b64 vcc, exec, s[2:3]
	s_cbranch_vccnz .LBB89_4
; %bb.3:
	s_load_dword s20, s[20:21], 0x0
.LBB89_4:
	s_waitcnt lgkmcnt(0)
	v_cmp_neq_f32_e64 s[2:3], s16, 0
	v_cmp_neq_f32_e64 s[8:9], s20, 1.0
	s_or_b64 s[2:3], s[2:3], s[8:9]
	s_andn2_b64 vcc, exec, s[2:3]
	s_cbranch_vccnz .LBB89_10
; %bb.5:
	s_load_dwordx2 s[8:9], s[4:5], 0x20
	v_lshrrev_b32_e32 v1, 6, v0
	v_lshl_or_b32 v6, s6, 1, v1
	v_mov_b32_e32 v7, 0
	s_mov_b64 s[2:3], 0
	s_waitcnt lgkmcnt(0)
	s_cmp_lg_u64 s[8:9], 0
	s_cbranch_scc0 .LBB89_11
; %bb.6:
	v_cmp_gt_i64_e32 vcc, s[18:19], v[6:7]
                                        ; implicit-def: $vgpr4_vgpr5
                                        ; implicit-def: $vgpr1_vgpr2
	s_and_saveexec_b64 s[6:7], vcc
	s_xor_b64 s[6:7], exec, s[6:7]
	s_cbranch_execz .LBB89_8
; %bb.7:
	v_lshlrev_b64 v[1:2], 3, v[6:7]
	v_mov_b32_e32 v3, s9
	v_add_co_u32_e32 v1, vcc, s8, v1
	v_addc_co_u32_e32 v2, vcc, v3, v2, vcc
	global_load_dwordx2 v[1:2], v[1:2], off
	s_mov_b32 s1, 0
	s_mov_b64 s[2:3], exec
	s_waitcnt vmcnt(0)
	v_subrev_co_u32_e32 v4, vcc, s0, v1
	v_subbrev_co_u32_e32 v5, vcc, 0, v2, vcc
	v_mov_b32_e32 v2, s1
	v_mov_b32_e32 v1, s0
.LBB89_8:
	s_or_b64 exec, exec, s[6:7]
.LBB89_9:
	s_and_saveexec_b64 s[0:1], s[2:3]
	s_cbranch_execnz .LBB89_15
.LBB89_10:
	s_endpgm
.LBB89_11:
                                        ; implicit-def: $vgpr4_vgpr5
                                        ; implicit-def: $vgpr1_vgpr2
	s_cbranch_execz .LBB89_9
; %bb.12:
	s_load_dwordx2 s[6:7], s[4:5], 0x0
	s_waitcnt lgkmcnt(0)
	v_cmp_gt_i64_e32 vcc, s[6:7], v[6:7]
	s_and_saveexec_b64 s[6:7], vcc
; %bb.13:
	s_mov_b32 s1, 0
	s_or_b64 s[2:3], s[2:3], exec
; %bb.14:
	s_or_b64 exec, exec, s[6:7]
	v_mov_b32_e32 v2, s1
	v_mov_b32_e32 v4, v6
	v_mov_b32_e32 v1, s0
	v_mov_b32_e32 v5, v7
	s_and_saveexec_b64 s[0:1], s[2:3]
	s_cbranch_execz .LBB89_10
.LBB89_15:
	s_load_dwordx8 s[8:15], s[4:5], 0x28
	v_lshlrev_b64 v[6:7], 3, v[4:5]
	v_and_b32_e32 v0, 63, v0
	s_waitcnt lgkmcnt(0)
	v_mov_b32_e32 v3, s9
	v_add_co_u32_e32 v8, vcc, s8, v6
	v_addc_co_u32_e32 v9, vcc, v3, v7, vcc
	v_add_co_u32_e32 v3, vcc, 8, v8
	global_load_dwordx2 v[14:15], v[8:9], off
	v_addc_co_u32_e32 v8, vcc, 0, v9, vcc
	v_mov_b32_e32 v9, s11
	v_add_co_u32_e32 v6, vcc, s10, v6
	s_cmp_eq_u64 s[10:11], 0
	v_addc_co_u32_e32 v7, vcc, v9, v7, vcc
	s_cselect_b64 vcc, -1, 0
	v_cndmask_b32_e32 v7, v7, v8, vcc
	v_cndmask_b32_e32 v6, v6, v3, vcc
	global_load_dwordx2 v[8:9], v[6:7], off
	s_load_dword s0, s[4:5], 0x8
	s_load_dwordx2 s[6:7], s[4:5], 0x48
	v_mov_b32_e32 v12, s15
	v_mov_b32_e32 v3, 0
	s_waitcnt lgkmcnt(0)
	s_cmp_eq_u32 s0, 1
	s_waitcnt vmcnt(1)
	v_sub_co_u32_e32 v6, vcc, v14, v1
	v_subb_co_u32_e32 v7, vcc, v15, v2, vcc
	v_add_co_u32_e32 v6, vcc, v6, v0
	v_addc_co_u32_e32 v7, vcc, 0, v7, vcc
	v_lshlrev_b64 v[10:11], 4, v[6:7]
	s_waitcnt vmcnt(0)
	v_sub_co_u32_e32 v8, vcc, v8, v1
	v_subb_co_u32_e32 v9, vcc, v9, v2, vcc
	v_cmp_lt_i64_e64 s[0:1], v[6:7], v[8:9]
	v_add_co_u32_e32 v10, vcc, s14, v10
	v_addc_co_u32_e32 v11, vcc, v12, v11, vcc
	s_cbranch_scc1 .LBB89_27
; %bb.16:
	v_mov_b32_e32 v12, 0
	v_mov_b32_e32 v26, 0
	;; [unrolled: 1-line block ×3, first 2 shown]
	s_and_saveexec_b64 s[8:9], s[0:1]
	s_cbranch_execz .LBB89_26
; %bb.17:
	v_or_b32_e32 v3, 64, v0
	v_sub_co_u32_e32 v3, vcc, v3, v1
	v_subb_co_u32_e32 v13, vcc, 0, v2, vcc
	v_add_co_u32_e32 v12, vcc, v3, v14
	v_addc_co_u32_e32 v13, vcc, v13, v15, vcc
	v_cmp_gt_i64_e32 vcc, v[12:13], v[8:9]
	v_not_b32_e32 v16, v14
	v_cndmask_b32_e32 v3, v9, v13, vcc
	v_cndmask_b32_e32 v12, v8, v12, vcc
	v_sub_co_u32_e32 v17, vcc, v1, v0
	v_subbrev_co_u32_e32 v18, vcc, 0, v2, vcc
	v_not_b32_e32 v13, v15
	v_add_co_u32_e32 v16, vcc, v17, v16
	v_addc_co_u32_e32 v13, vcc, v18, v13, vcc
	v_add_co_u32_e32 v20, vcc, v16, v12
	v_addc_co_u32_e32 v21, vcc, v13, v3, vcc
	v_and_b32_e32 v12, 0xc0, v20
	v_mov_b32_e32 v13, 0
	s_mov_b64 s[2:3], 0xc0
	v_cmp_ne_u64_e32 vcc, s[2:3], v[12:13]
	v_mov_b32_e32 v17, v7
	v_mov_b32_e32 v19, v11
	;; [unrolled: 1-line block ×7, first 2 shown]
	s_and_saveexec_b64 s[10:11], vcc
	s_cbranch_execz .LBB89_21
; %bb.18:
	v_lshlrev_b64 v[12:13], 3, v[6:7]
	v_lshrrev_b32_e32 v3, 6, v20
	v_add_u32_e32 v3, 1, v3
	v_mov_b32_e32 v17, s13
	v_add_co_u32_e32 v22, vcc, s12, v12
	v_and_b32_e32 v16, 3, v3
	v_addc_co_u32_e32 v23, vcc, v17, v13, vcc
	v_sub_co_u32_e32 v24, vcc, 0, v16
	v_mov_b32_e32 v19, v11
	v_mov_b32_e32 v17, v7
	;; [unrolled: 1-line block ×3, first 2 shown]
	s_mov_b64 s[14:15], 0
	v_subb_co_u32_e64 v25, s[2:3], 0, 0, vcc
	s_movk_i32 s17, 0x400
	v_mov_b32_e32 v27, s7
	v_mov_b32_e32 v18, v10
	;; [unrolled: 1-line block ×6, first 2 shown]
.LBB89_19:                              ; =>This Inner Loop Header: Depth=1
	global_load_dwordx2 v[32:33], v[22:23], off
	global_load_dwordx4 v[28:31], v[18:19], off
	s_waitcnt vmcnt(1)
	v_sub_co_u32_e32 v32, vcc, v32, v1
	v_subb_co_u32_e32 v33, vcc, v33, v2, vcc
	v_lshlrev_b64 v[32:33], 2, v[32:33]
	s_waitcnt vmcnt(0)
	v_cvt_f32_i32_sdwa v36, sext(v29) dst_sel:DWORD dst_unused:UNUSED_PAD src0_sel:BYTE_0
	v_add_co_u32_e32 v32, vcc, s6, v32
	v_addc_co_u32_e32 v33, vcc, v27, v33, vcc
	global_load_dword v32, v[32:33], off
	v_add_co_u32_e32 v18, vcc, s17, v18
	v_cvt_f32_i32_sdwa v33, sext(v28) dst_sel:DWORD dst_unused:UNUSED_PAD src0_sel:BYTE_0
	v_cvt_f32_i32_sdwa v39, sext(v30) dst_sel:DWORD dst_unused:UNUSED_PAD src0_sel:BYTE_0
	;; [unrolled: 1-line block ×3, first 2 shown]
	s_mov_b64 s[2:3], vcc
	v_add_co_u32_e32 v16, vcc, 64, v16
	v_cvt_f32_i32_sdwa v34, sext(v28) dst_sel:DWORD dst_unused:UNUSED_PAD src0_sel:BYTE_1
	v_cvt_f32_i32_sdwa v37, sext(v29) dst_sel:DWORD dst_unused:UNUSED_PAD src0_sel:BYTE_1
	;; [unrolled: 1-line block ×4, first 2 shown]
	v_addc_co_u32_e32 v17, vcc, 0, v17, vcc
	v_cvt_f32_i32_sdwa v35, sext(v28) dst_sel:DWORD dst_unused:UNUSED_PAD src0_sel:BYTE_2
	v_cvt_f32_i32_sdwa v38, sext(v29) dst_sel:DWORD dst_unused:UNUSED_PAD src0_sel:BYTE_2
	;; [unrolled: 1-line block ×4, first 2 shown]
	v_add_co_u32_e32 v24, vcc, 1, v24
	v_cvt_f32_i32_sdwa v28, sext(v28) dst_sel:DWORD dst_unused:UNUSED_PAD src0_sel:BYTE_3
	v_cvt_f32_i32_sdwa v29, sext(v29) dst_sel:DWORD dst_unused:UNUSED_PAD src0_sel:BYTE_3
	;; [unrolled: 1-line block ×4, first 2 shown]
	v_addc_co_u32_e32 v25, vcc, 0, v25, vcc
	v_addc_co_u32_e64 v19, s[2:3], 0, v19, s[2:3]
	v_cmp_eq_u64_e64 s[2:3], 0, v[24:25]
	v_add_co_u32_e32 v22, vcc, 0x200, v22
	v_addc_co_u32_e32 v23, vcc, 0, v23, vcc
	s_or_b64 s[14:15], s[2:3], s[14:15]
	s_waitcnt vmcnt(0)
	v_cvt_f32_i32_sdwa v45, sext(v32) dst_sel:DWORD dst_unused:UNUSED_PAD src0_sel:BYTE_0
	v_cvt_f32_i32_sdwa v46, sext(v32) dst_sel:DWORD dst_unused:UNUSED_PAD src0_sel:BYTE_1
	v_cvt_f32_i32_sdwa v47, sext(v32) dst_sel:DWORD dst_unused:UNUSED_PAD src0_sel:BYTE_2
	v_cvt_f32_i32_sdwa v32, sext(v32) dst_sel:DWORD dst_unused:UNUSED_PAD src0_sel:BYTE_3
	v_fmac_f32_e32 v13, v33, v45
	v_fmac_f32_e32 v26, v36, v45
	v_fmac_f32_e32 v12, v39, v45
	v_fmac_f32_e32 v3, v42, v45
	v_fmac_f32_e32 v13, v34, v46
	v_fmac_f32_e32 v26, v37, v46
	v_fmac_f32_e32 v12, v40, v46
	v_fmac_f32_e32 v3, v43, v46
	v_fmac_f32_e32 v13, v35, v47
	v_fmac_f32_e32 v26, v38, v47
	v_fmac_f32_e32 v12, v41, v47
	v_fmac_f32_e32 v3, v44, v47
	v_fmac_f32_e32 v13, v28, v32
	v_fmac_f32_e32 v26, v29, v32
	v_fmac_f32_e32 v12, v30, v32
	v_fmac_f32_e32 v3, v31, v32
	s_andn2_b64 exec, exec, s[14:15]
	s_cbranch_execnz .LBB89_19
; %bb.20:
	s_or_b64 exec, exec, s[14:15]
.LBB89_21:
	s_or_b64 exec, exec, s[10:11]
	s_mov_b64 s[2:3], 0xbf
	v_cmp_lt_u64_e32 vcc, s[2:3], v[20:21]
	s_and_saveexec_b64 s[2:3], vcc
	s_cbranch_execz .LBB89_25
; %bb.22:
	v_lshlrev_b64 v[20:21], 3, v[16:17]
	v_mov_b32_e32 v22, s13
	v_add_co_u32_e32 v20, vcc, s12, v20
	v_addc_co_u32_e32 v21, vcc, v22, v21, vcc
	v_add_co_u32_e32 v20, vcc, 0x400, v20
	v_addc_co_u32_e32 v21, vcc, 0, v21, vcc
	s_mov_b64 s[10:11], 0
	v_mov_b32_e32 v22, s7
	s_movk_i32 s14, 0x1000
.LBB89_23:                              ; =>This Inner Loop Header: Depth=1
	global_load_dwordx2 v[23:24], v[20:21], off offset:-1024
	global_load_dwordx4 v[27:30], v[18:19], off
	s_waitcnt vmcnt(1)
	v_sub_co_u32_e32 v23, vcc, v23, v1
	v_subb_co_u32_e32 v24, vcc, v24, v2, vcc
	v_lshlrev_b64 v[23:24], 2, v[23:24]
	s_waitcnt vmcnt(0)
	v_cvt_f32_i32_sdwa v25, sext(v27) dst_sel:DWORD dst_unused:UNUSED_PAD src0_sel:BYTE_0
	v_add_co_u32_e32 v23, vcc, s6, v23
	v_addc_co_u32_e32 v24, vcc, v22, v24, vcc
	global_load_dword v23, v[23:24], off
	s_waitcnt vmcnt(0)
	v_cvt_f32_i32_sdwa v24, sext(v23) dst_sel:DWORD dst_unused:UNUSED_PAD src0_sel:BYTE_0
	v_cvt_f32_i32_sdwa v31, sext(v23) dst_sel:DWORD dst_unused:UNUSED_PAD src0_sel:BYTE_1
	v_cvt_f32_i32_sdwa v32, sext(v23) dst_sel:DWORD dst_unused:UNUSED_PAD src0_sel:BYTE_2
	v_cvt_f32_i32_sdwa v23, sext(v23) dst_sel:DWORD dst_unused:UNUSED_PAD src0_sel:BYTE_3
	v_fmac_f32_e32 v13, v25, v24
	v_cvt_f32_i32_sdwa v25, sext(v27) dst_sel:DWORD dst_unused:UNUSED_PAD src0_sel:BYTE_1
	v_fmac_f32_e32 v13, v25, v31
	v_cvt_f32_i32_sdwa v25, sext(v27) dst_sel:DWORD dst_unused:UNUSED_PAD src0_sel:BYTE_2
	v_fmac_f32_e32 v13, v25, v32
	v_cvt_f32_i32_sdwa v25, sext(v27) dst_sel:DWORD dst_unused:UNUSED_PAD src0_sel:BYTE_3
	v_fmac_f32_e32 v13, v25, v23
	v_cvt_f32_i32_sdwa v25, sext(v28) dst_sel:DWORD dst_unused:UNUSED_PAD src0_sel:BYTE_0
	v_fmac_f32_e32 v26, v25, v24
	v_cvt_f32_i32_sdwa v25, sext(v28) dst_sel:DWORD dst_unused:UNUSED_PAD src0_sel:BYTE_1
	v_fmac_f32_e32 v26, v25, v31
	v_cvt_f32_i32_sdwa v25, sext(v28) dst_sel:DWORD dst_unused:UNUSED_PAD src0_sel:BYTE_2
	v_fmac_f32_e32 v26, v25, v32
	v_cvt_f32_i32_sdwa v25, sext(v28) dst_sel:DWORD dst_unused:UNUSED_PAD src0_sel:BYTE_3
	v_fmac_f32_e32 v26, v25, v23
	v_cvt_f32_i32_sdwa v25, sext(v29) dst_sel:DWORD dst_unused:UNUSED_PAD src0_sel:BYTE_0
	;; [unrolled: 8-line block ×3, first 2 shown]
	v_fmac_f32_e32 v3, v25, v24
	v_cvt_f32_i32_sdwa v24, sext(v30) dst_sel:DWORD dst_unused:UNUSED_PAD src0_sel:BYTE_1
	v_fmac_f32_e32 v3, v24, v31
	v_cvt_f32_i32_sdwa v24, sext(v30) dst_sel:DWORD dst_unused:UNUSED_PAD src0_sel:BYTE_2
	v_fmac_f32_e32 v3, v24, v32
	v_cvt_f32_i32_sdwa v24, sext(v30) dst_sel:DWORD dst_unused:UNUSED_PAD src0_sel:BYTE_3
	global_load_dwordx4 v[27:30], v[18:19], off offset:1024
	v_fmac_f32_e32 v3, v24, v23
	global_load_dwordx2 v[23:24], v[20:21], off offset:-512
	s_waitcnt vmcnt(1)
	v_cvt_f32_i32_sdwa v25, sext(v27) dst_sel:DWORD dst_unused:UNUSED_PAD src0_sel:BYTE_0
	s_waitcnt vmcnt(0)
	v_sub_co_u32_e32 v23, vcc, v23, v1
	v_subb_co_u32_e32 v24, vcc, v24, v2, vcc
	v_lshlrev_b64 v[23:24], 2, v[23:24]
	v_add_co_u32_e32 v23, vcc, s6, v23
	v_addc_co_u32_e32 v24, vcc, v22, v24, vcc
	global_load_dword v23, v[23:24], off
	s_waitcnt vmcnt(0)
	v_cvt_f32_i32_sdwa v24, sext(v23) dst_sel:DWORD dst_unused:UNUSED_PAD src0_sel:BYTE_0
	v_cvt_f32_i32_sdwa v31, sext(v23) dst_sel:DWORD dst_unused:UNUSED_PAD src0_sel:BYTE_1
	v_cvt_f32_i32_sdwa v32, sext(v23) dst_sel:DWORD dst_unused:UNUSED_PAD src0_sel:BYTE_2
	v_cvt_f32_i32_sdwa v23, sext(v23) dst_sel:DWORD dst_unused:UNUSED_PAD src0_sel:BYTE_3
	v_fmac_f32_e32 v13, v25, v24
	v_cvt_f32_i32_sdwa v25, sext(v27) dst_sel:DWORD dst_unused:UNUSED_PAD src0_sel:BYTE_1
	v_fmac_f32_e32 v13, v25, v31
	v_cvt_f32_i32_sdwa v25, sext(v27) dst_sel:DWORD dst_unused:UNUSED_PAD src0_sel:BYTE_2
	v_fmac_f32_e32 v13, v25, v32
	v_cvt_f32_i32_sdwa v25, sext(v27) dst_sel:DWORD dst_unused:UNUSED_PAD src0_sel:BYTE_3
	v_fmac_f32_e32 v13, v25, v23
	v_cvt_f32_i32_sdwa v25, sext(v28) dst_sel:DWORD dst_unused:UNUSED_PAD src0_sel:BYTE_0
	v_fmac_f32_e32 v26, v25, v24
	v_cvt_f32_i32_sdwa v25, sext(v28) dst_sel:DWORD dst_unused:UNUSED_PAD src0_sel:BYTE_1
	v_fmac_f32_e32 v26, v25, v31
	v_cvt_f32_i32_sdwa v25, sext(v28) dst_sel:DWORD dst_unused:UNUSED_PAD src0_sel:BYTE_2
	v_fmac_f32_e32 v26, v25, v32
	v_cvt_f32_i32_sdwa v25, sext(v28) dst_sel:DWORD dst_unused:UNUSED_PAD src0_sel:BYTE_3
	v_fmac_f32_e32 v26, v25, v23
	v_cvt_f32_i32_sdwa v25, sext(v29) dst_sel:DWORD dst_unused:UNUSED_PAD src0_sel:BYTE_0
	v_fmac_f32_e32 v12, v25, v24
	v_cvt_f32_i32_sdwa v25, sext(v29) dst_sel:DWORD dst_unused:UNUSED_PAD src0_sel:BYTE_1
	v_fmac_f32_e32 v12, v25, v31
	v_cvt_f32_i32_sdwa v25, sext(v29) dst_sel:DWORD dst_unused:UNUSED_PAD src0_sel:BYTE_2
	v_fmac_f32_e32 v12, v25, v32
	v_cvt_f32_i32_sdwa v25, sext(v29) dst_sel:DWORD dst_unused:UNUSED_PAD src0_sel:BYTE_3
	v_fmac_f32_e32 v12, v25, v23
	v_cvt_f32_i32_sdwa v25, sext(v30) dst_sel:DWORD dst_unused:UNUSED_PAD src0_sel:BYTE_0
	v_fmac_f32_e32 v3, v25, v24
	v_cvt_f32_i32_sdwa v24, sext(v30) dst_sel:DWORD dst_unused:UNUSED_PAD src0_sel:BYTE_1
	v_fmac_f32_e32 v3, v24, v31
	v_cvt_f32_i32_sdwa v24, sext(v30) dst_sel:DWORD dst_unused:UNUSED_PAD src0_sel:BYTE_2
	v_fmac_f32_e32 v3, v24, v32
	v_cvt_f32_i32_sdwa v24, sext(v30) dst_sel:DWORD dst_unused:UNUSED_PAD src0_sel:BYTE_3
	global_load_dwordx4 v[27:30], v[18:19], off offset:2048
	v_fmac_f32_e32 v3, v24, v23
	global_load_dwordx2 v[23:24], v[20:21], off
	s_waitcnt vmcnt(1)
	v_cvt_f32_i32_sdwa v25, sext(v27) dst_sel:DWORD dst_unused:UNUSED_PAD src0_sel:BYTE_0
	s_waitcnt vmcnt(0)
	v_sub_co_u32_e32 v23, vcc, v23, v1
	v_subb_co_u32_e32 v24, vcc, v24, v2, vcc
	v_lshlrev_b64 v[23:24], 2, v[23:24]
	v_add_co_u32_e32 v23, vcc, s6, v23
	v_addc_co_u32_e32 v24, vcc, v22, v24, vcc
	global_load_dword v23, v[23:24], off
	s_waitcnt vmcnt(0)
	v_cvt_f32_i32_sdwa v24, sext(v23) dst_sel:DWORD dst_unused:UNUSED_PAD src0_sel:BYTE_0
	v_cvt_f32_i32_sdwa v31, sext(v23) dst_sel:DWORD dst_unused:UNUSED_PAD src0_sel:BYTE_1
	v_cvt_f32_i32_sdwa v32, sext(v23) dst_sel:DWORD dst_unused:UNUSED_PAD src0_sel:BYTE_2
	v_cvt_f32_i32_sdwa v23, sext(v23) dst_sel:DWORD dst_unused:UNUSED_PAD src0_sel:BYTE_3
	v_fmac_f32_e32 v13, v25, v24
	v_cvt_f32_i32_sdwa v25, sext(v27) dst_sel:DWORD dst_unused:UNUSED_PAD src0_sel:BYTE_1
	v_fmac_f32_e32 v13, v25, v31
	v_cvt_f32_i32_sdwa v25, sext(v27) dst_sel:DWORD dst_unused:UNUSED_PAD src0_sel:BYTE_2
	v_fmac_f32_e32 v13, v25, v32
	v_cvt_f32_i32_sdwa v25, sext(v27) dst_sel:DWORD dst_unused:UNUSED_PAD src0_sel:BYTE_3
	v_fmac_f32_e32 v13, v25, v23
	v_cvt_f32_i32_sdwa v25, sext(v28) dst_sel:DWORD dst_unused:UNUSED_PAD src0_sel:BYTE_0
	v_fmac_f32_e32 v26, v25, v24
	v_cvt_f32_i32_sdwa v25, sext(v28) dst_sel:DWORD dst_unused:UNUSED_PAD src0_sel:BYTE_1
	v_fmac_f32_e32 v26, v25, v31
	v_cvt_f32_i32_sdwa v25, sext(v28) dst_sel:DWORD dst_unused:UNUSED_PAD src0_sel:BYTE_2
	v_fmac_f32_e32 v26, v25, v32
	v_cvt_f32_i32_sdwa v25, sext(v28) dst_sel:DWORD dst_unused:UNUSED_PAD src0_sel:BYTE_3
	v_fmac_f32_e32 v26, v25, v23
	v_cvt_f32_i32_sdwa v25, sext(v29) dst_sel:DWORD dst_unused:UNUSED_PAD src0_sel:BYTE_0
	;; [unrolled: 8-line block ×3, first 2 shown]
	v_fmac_f32_e32 v3, v25, v24
	v_cvt_f32_i32_sdwa v24, sext(v30) dst_sel:DWORD dst_unused:UNUSED_PAD src0_sel:BYTE_1
	v_fmac_f32_e32 v3, v24, v31
	v_cvt_f32_i32_sdwa v24, sext(v30) dst_sel:DWORD dst_unused:UNUSED_PAD src0_sel:BYTE_2
	v_fmac_f32_e32 v3, v24, v32
	v_cvt_f32_i32_sdwa v24, sext(v30) dst_sel:DWORD dst_unused:UNUSED_PAD src0_sel:BYTE_3
	global_load_dwordx4 v[27:30], v[18:19], off offset:3072
	v_fmac_f32_e32 v3, v24, v23
	global_load_dwordx2 v[23:24], v[20:21], off offset:512
	s_waitcnt vmcnt(1)
	v_cvt_f32_i32_sdwa v25, sext(v27) dst_sel:DWORD dst_unused:UNUSED_PAD src0_sel:BYTE_0
	s_waitcnt vmcnt(0)
	v_sub_co_u32_e32 v23, vcc, v23, v1
	v_subb_co_u32_e32 v24, vcc, v24, v2, vcc
	v_lshlrev_b64 v[23:24], 2, v[23:24]
	v_add_co_u32_e32 v23, vcc, s6, v23
	v_addc_co_u32_e32 v24, vcc, v22, v24, vcc
	global_load_dword v23, v[23:24], off
	v_add_co_u32_e32 v18, vcc, s14, v18
	v_addc_co_u32_e32 v19, vcc, 0, v19, vcc
	v_add_co_u32_e32 v16, vcc, 0x100, v16
	v_addc_co_u32_e32 v17, vcc, 0, v17, vcc
	;; [unrolled: 2-line block ×3, first 2 shown]
	v_cmp_ge_i64_e32 vcc, v[16:17], v[8:9]
	s_or_b64 s[10:11], vcc, s[10:11]
	s_waitcnt vmcnt(0)
	v_cvt_f32_i32_sdwa v24, sext(v23) dst_sel:DWORD dst_unused:UNUSED_PAD src0_sel:BYTE_0
	v_cvt_f32_i32_sdwa v31, sext(v23) dst_sel:DWORD dst_unused:UNUSED_PAD src0_sel:BYTE_1
	v_cvt_f32_i32_sdwa v32, sext(v23) dst_sel:DWORD dst_unused:UNUSED_PAD src0_sel:BYTE_2
	v_cvt_f32_i32_sdwa v23, sext(v23) dst_sel:DWORD dst_unused:UNUSED_PAD src0_sel:BYTE_3
	v_fmac_f32_e32 v13, v25, v24
	v_cvt_f32_i32_sdwa v25, sext(v27) dst_sel:DWORD dst_unused:UNUSED_PAD src0_sel:BYTE_1
	v_fmac_f32_e32 v13, v25, v31
	v_cvt_f32_i32_sdwa v25, sext(v27) dst_sel:DWORD dst_unused:UNUSED_PAD src0_sel:BYTE_2
	v_fmac_f32_e32 v13, v25, v32
	v_cvt_f32_i32_sdwa v25, sext(v27) dst_sel:DWORD dst_unused:UNUSED_PAD src0_sel:BYTE_3
	v_fmac_f32_e32 v13, v25, v23
	v_cvt_f32_i32_sdwa v25, sext(v28) dst_sel:DWORD dst_unused:UNUSED_PAD src0_sel:BYTE_0
	v_fmac_f32_e32 v26, v25, v24
	v_cvt_f32_i32_sdwa v25, sext(v28) dst_sel:DWORD dst_unused:UNUSED_PAD src0_sel:BYTE_1
	v_fmac_f32_e32 v26, v25, v31
	v_cvt_f32_i32_sdwa v25, sext(v28) dst_sel:DWORD dst_unused:UNUSED_PAD src0_sel:BYTE_2
	v_fmac_f32_e32 v26, v25, v32
	v_cvt_f32_i32_sdwa v25, sext(v28) dst_sel:DWORD dst_unused:UNUSED_PAD src0_sel:BYTE_3
	v_fmac_f32_e32 v26, v25, v23
	v_cvt_f32_i32_sdwa v25, sext(v29) dst_sel:DWORD dst_unused:UNUSED_PAD src0_sel:BYTE_0
	;; [unrolled: 8-line block ×3, first 2 shown]
	v_fmac_f32_e32 v3, v25, v24
	v_cvt_f32_i32_sdwa v24, sext(v30) dst_sel:DWORD dst_unused:UNUSED_PAD src0_sel:BYTE_1
	v_fmac_f32_e32 v3, v24, v31
	v_cvt_f32_i32_sdwa v24, sext(v30) dst_sel:DWORD dst_unused:UNUSED_PAD src0_sel:BYTE_2
	v_fmac_f32_e32 v3, v24, v32
	v_cvt_f32_i32_sdwa v24, sext(v30) dst_sel:DWORD dst_unused:UNUSED_PAD src0_sel:BYTE_3
	v_fmac_f32_e32 v3, v24, v23
	s_andn2_b64 exec, exec, s[10:11]
	s_cbranch_execnz .LBB89_23
; %bb.24:
	s_or_b64 exec, exec, s[10:11]
.LBB89_25:
	s_or_b64 exec, exec, s[2:3]
.LBB89_26:
	s_or_b64 exec, exec, s[8:9]
	s_cbranch_execz .LBB89_28
	s_branch .LBB89_39
.LBB89_27:
                                        ; implicit-def: $vgpr3
                                        ; implicit-def: $vgpr12
                                        ; implicit-def: $vgpr26
                                        ; implicit-def: $vgpr13
.LBB89_28:
	v_mov_b32_e32 v3, 0
	v_mov_b32_e32 v12, 0
	;; [unrolled: 1-line block ×4, first 2 shown]
	s_and_saveexec_b64 s[2:3], s[0:1]
	s_cbranch_execz .LBB89_38
; %bb.29:
	v_or_b32_e32 v3, 64, v0
	v_sub_co_u32_e32 v3, vcc, v3, v1
	v_subb_co_u32_e32 v13, vcc, 0, v2, vcc
	v_add_co_u32_e32 v12, vcc, v3, v14
	v_addc_co_u32_e32 v13, vcc, v13, v15, vcc
	v_cmp_gt_i64_e32 vcc, v[12:13], v[8:9]
	v_not_b32_e32 v14, v14
	v_cndmask_b32_e32 v3, v9, v13, vcc
	v_cndmask_b32_e32 v12, v8, v12, vcc
	v_not_b32_e32 v13, v15
	v_sub_co_u32_e32 v15, vcc, v1, v0
	v_subbrev_co_u32_e32 v16, vcc, 0, v2, vcc
	v_add_co_u32_e32 v14, vcc, v15, v14
	v_addc_co_u32_e32 v13, vcc, v16, v13, vcc
	v_add_co_u32_e32 v14, vcc, v14, v12
	v_addc_co_u32_e32 v15, vcc, v13, v3, vcc
	v_and_b32_e32 v12, 0xc0, v14
	v_mov_b32_e32 v13, 0
	s_mov_b64 s[0:1], 0xc0
	v_cmp_ne_u64_e32 vcc, s[0:1], v[12:13]
	v_mov_b32_e32 v26, v13
	v_mov_b32_e32 v12, v13
	;; [unrolled: 1-line block ×3, first 2 shown]
	s_and_saveexec_b64 s[8:9], vcc
	s_cbranch_execz .LBB89_33
; %bb.30:
	v_lshlrev_b64 v[12:13], 3, v[6:7]
	v_lshrrev_b32_e32 v3, 6, v14
	v_add_u32_e32 v3, 1, v3
	v_mov_b32_e32 v17, s13
	v_add_co_u32_e32 v16, vcc, s12, v12
	v_and_b32_e32 v18, 3, v3
	v_addc_co_u32_e32 v17, vcc, v17, v13, vcc
	v_sub_co_u32_e32 v18, vcc, 0, v18
	v_mov_b32_e32 v3, 0
	s_mov_b64 s[10:11], 0
	v_subb_co_u32_e64 v19, s[0:1], 0, 0, vcc
	s_movk_i32 s14, 0x400
	v_mov_b32_e32 v20, s7
	v_mov_b32_e32 v12, 0
	;; [unrolled: 1-line block ×4, first 2 shown]
.LBB89_31:                              ; =>This Inner Loop Header: Depth=1
	global_load_dwordx2 v[27:28], v[16:17], off
	global_load_dwordx4 v[21:24], v[10:11], off
	v_add_co_u32_e64 v6, s[0:1], 64, v6
	v_addc_co_u32_e64 v7, s[0:1], 0, v7, s[0:1]
	v_add_co_u32_e64 v18, s[0:1], 1, v18
	v_addc_co_u32_e64 v19, s[0:1], 0, v19, s[0:1]
	v_cmp_eq_u64_e64 s[0:1], 0, v[18:19]
	s_or_b64 s[10:11], s[0:1], s[10:11]
	s_waitcnt vmcnt(1)
	v_sub_co_u32_e32 v27, vcc, v27, v1
	v_subb_co_u32_e32 v28, vcc, v28, v2, vcc
	v_lshlrev_b64 v[27:28], 2, v[27:28]
	s_waitcnt vmcnt(0)
	v_cvt_f32_i32_sdwa v29, sext(v21) dst_sel:DWORD dst_unused:UNUSED_PAD src0_sel:BYTE_2
	v_add_co_u32_e32 v27, vcc, s6, v27
	v_addc_co_u32_e32 v28, vcc, v20, v28, vcc
	global_load_dword v25, v[27:28], off
	v_cvt_f32_i32_sdwa v27, sext(v21) dst_sel:DWORD dst_unused:UNUSED_PAD src0_sel:BYTE_0
	v_cvt_f32_i32_sdwa v28, sext(v21) dst_sel:DWORD dst_unused:UNUSED_PAD src0_sel:BYTE_1
	v_cvt_f32_i32_sdwa v21, sext(v21) dst_sel:DWORD dst_unused:UNUSED_PAD src0_sel:BYTE_3
	v_cvt_f32_i32_sdwa v30, sext(v22) dst_sel:DWORD dst_unused:UNUSED_PAD src0_sel:BYTE_0
	v_cvt_f32_i32_sdwa v31, sext(v22) dst_sel:DWORD dst_unused:UNUSED_PAD src0_sel:BYTE_1
	v_cvt_f32_i32_sdwa v32, sext(v22) dst_sel:DWORD dst_unused:UNUSED_PAD src0_sel:BYTE_2
	v_cvt_f32_i32_sdwa v22, sext(v22) dst_sel:DWORD dst_unused:UNUSED_PAD src0_sel:BYTE_3
	v_cvt_f32_i32_sdwa v33, sext(v23) dst_sel:DWORD dst_unused:UNUSED_PAD src0_sel:BYTE_0
	v_cvt_f32_i32_sdwa v34, sext(v23) dst_sel:DWORD dst_unused:UNUSED_PAD src0_sel:BYTE_1
	v_cvt_f32_i32_sdwa v35, sext(v23) dst_sel:DWORD dst_unused:UNUSED_PAD src0_sel:BYTE_2
	;; [unrolled: 4-line block ×3, first 2 shown]
	v_cvt_f32_i32_sdwa v24, sext(v24) dst_sel:DWORD dst_unused:UNUSED_PAD src0_sel:BYTE_3
	v_add_co_u32_e32 v10, vcc, s14, v10
	v_addc_co_u32_e32 v11, vcc, 0, v11, vcc
	v_add_co_u32_e32 v16, vcc, 0x200, v16
	v_addc_co_u32_e32 v17, vcc, 0, v17, vcc
	s_waitcnt vmcnt(0)
	v_cvt_f32_i32_sdwa v39, sext(v25) dst_sel:DWORD dst_unused:UNUSED_PAD src0_sel:BYTE_0
	v_cvt_f32_i32_sdwa v40, sext(v25) dst_sel:DWORD dst_unused:UNUSED_PAD src0_sel:BYTE_1
	v_cvt_f32_i32_sdwa v41, sext(v25) dst_sel:DWORD dst_unused:UNUSED_PAD src0_sel:BYTE_2
	v_cvt_f32_i32_sdwa v25, sext(v25) dst_sel:DWORD dst_unused:UNUSED_PAD src0_sel:BYTE_3
	v_fmac_f32_e32 v13, v27, v39
	v_fmac_f32_e32 v26, v28, v39
	;; [unrolled: 1-line block ×16, first 2 shown]
	s_andn2_b64 exec, exec, s[10:11]
	s_cbranch_execnz .LBB89_31
; %bb.32:
	s_or_b64 exec, exec, s[10:11]
.LBB89_33:
	s_or_b64 exec, exec, s[8:9]
	s_mov_b64 s[0:1], 0xbf
	v_cmp_lt_u64_e32 vcc, s[0:1], v[14:15]
	s_and_saveexec_b64 s[0:1], vcc
	s_cbranch_execz .LBB89_37
; %bb.34:
	v_lshlrev_b64 v[14:15], 3, v[6:7]
	v_mov_b32_e32 v16, s13
	v_add_co_u32_e32 v14, vcc, s12, v14
	v_addc_co_u32_e32 v15, vcc, v16, v15, vcc
	v_add_co_u32_e32 v14, vcc, 0x400, v14
	v_addc_co_u32_e32 v15, vcc, 0, v15, vcc
	s_mov_b64 s[8:9], 0
	v_mov_b32_e32 v16, s7
	s_movk_i32 s7, 0x1000
.LBB89_35:                              ; =>This Inner Loop Header: Depth=1
	global_load_dwordx2 v[17:18], v[14:15], off offset:-1024
	s_waitcnt vmcnt(0)
	v_sub_co_u32_e32 v17, vcc, v17, v1
	v_subb_co_u32_e32 v18, vcc, v18, v2, vcc
	v_lshlrev_b64 v[21:22], 2, v[17:18]
	global_load_dwordx4 v[17:20], v[10:11], off
	v_add_co_u32_e32 v21, vcc, s6, v21
	v_addc_co_u32_e32 v22, vcc, v16, v22, vcc
	global_load_dword v21, v[21:22], off
	s_waitcnt vmcnt(1)
	v_cvt_f32_i32_sdwa v23, sext(v17) dst_sel:DWORD dst_unused:UNUSED_PAD src0_sel:BYTE_0
	s_waitcnt vmcnt(0)
	v_cvt_f32_i32_sdwa v22, sext(v21) dst_sel:DWORD dst_unused:UNUSED_PAD src0_sel:BYTE_0
	v_fmac_f32_e32 v13, v23, v22
	v_cvt_f32_i32_sdwa v23, sext(v17) dst_sel:DWORD dst_unused:UNUSED_PAD src0_sel:BYTE_1
	v_fmac_f32_e32 v26, v23, v22
	v_cvt_f32_i32_sdwa v23, sext(v17) dst_sel:DWORD dst_unused:UNUSED_PAD src0_sel:BYTE_2
	v_cvt_f32_i32_sdwa v17, sext(v17) dst_sel:DWORD dst_unused:UNUSED_PAD src0_sel:BYTE_3
	v_fmac_f32_e32 v12, v23, v22
	v_fmac_f32_e32 v3, v17, v22
	v_cvt_f32_i32_sdwa v17, sext(v18) dst_sel:DWORD dst_unused:UNUSED_PAD src0_sel:BYTE_0
	v_cvt_f32_i32_sdwa v22, sext(v21) dst_sel:DWORD dst_unused:UNUSED_PAD src0_sel:BYTE_1
	v_fmac_f32_e32 v13, v17, v22
	v_cvt_f32_i32_sdwa v17, sext(v18) dst_sel:DWORD dst_unused:UNUSED_PAD src0_sel:BYTE_1
	v_fmac_f32_e32 v26, v17, v22
	v_cvt_f32_i32_sdwa v17, sext(v18) dst_sel:DWORD dst_unused:UNUSED_PAD src0_sel:BYTE_2
	v_fmac_f32_e32 v12, v17, v22
	v_cvt_f32_i32_sdwa v17, sext(v18) dst_sel:DWORD dst_unused:UNUSED_PAD src0_sel:BYTE_3
	v_cvt_f32_i32_sdwa v18, sext(v21) dst_sel:DWORD dst_unused:UNUSED_PAD src0_sel:BYTE_2
	v_fmac_f32_e32 v3, v17, v22
	v_cvt_f32_i32_sdwa v17, sext(v19) dst_sel:DWORD dst_unused:UNUSED_PAD src0_sel:BYTE_0
	v_fmac_f32_e32 v13, v17, v18
	v_cvt_f32_i32_sdwa v17, sext(v19) dst_sel:DWORD dst_unused:UNUSED_PAD src0_sel:BYTE_1
	v_fmac_f32_e32 v26, v17, v18
	v_cvt_f32_i32_sdwa v17, sext(v19) dst_sel:DWORD dst_unused:UNUSED_PAD src0_sel:BYTE_2
	v_fmac_f32_e32 v12, v17, v18
	v_cvt_f32_i32_sdwa v17, sext(v19) dst_sel:DWORD dst_unused:UNUSED_PAD src0_sel:BYTE_3
	v_fmac_f32_e32 v3, v17, v18
	v_cvt_f32_i32_sdwa v17, sext(v20) dst_sel:DWORD dst_unused:UNUSED_PAD src0_sel:BYTE_0
	v_cvt_f32_i32_sdwa v18, sext(v21) dst_sel:DWORD dst_unused:UNUSED_PAD src0_sel:BYTE_3
	v_fmac_f32_e32 v13, v17, v18
	v_cvt_f32_i32_sdwa v17, sext(v20) dst_sel:DWORD dst_unused:UNUSED_PAD src0_sel:BYTE_1
	v_fmac_f32_e32 v26, v17, v18
	v_cvt_f32_i32_sdwa v17, sext(v20) dst_sel:DWORD dst_unused:UNUSED_PAD src0_sel:BYTE_2
	v_fmac_f32_e32 v12, v17, v18
	v_cvt_f32_i32_sdwa v17, sext(v20) dst_sel:DWORD dst_unused:UNUSED_PAD src0_sel:BYTE_3
	v_fmac_f32_e32 v3, v17, v18
	global_load_dwordx2 v[17:18], v[14:15], off offset:-512
	s_waitcnt vmcnt(0)
	v_sub_co_u32_e32 v17, vcc, v17, v1
	v_subb_co_u32_e32 v18, vcc, v18, v2, vcc
	v_lshlrev_b64 v[21:22], 2, v[17:18]
	global_load_dwordx4 v[17:20], v[10:11], off offset:1024
	v_add_co_u32_e32 v21, vcc, s6, v21
	v_addc_co_u32_e32 v22, vcc, v16, v22, vcc
	global_load_dword v21, v[21:22], off
	s_waitcnt vmcnt(1)
	v_cvt_f32_i32_sdwa v23, sext(v17) dst_sel:DWORD dst_unused:UNUSED_PAD src0_sel:BYTE_0
	s_waitcnt vmcnt(0)
	v_cvt_f32_i32_sdwa v22, sext(v21) dst_sel:DWORD dst_unused:UNUSED_PAD src0_sel:BYTE_0
	v_fmac_f32_e32 v13, v23, v22
	v_cvt_f32_i32_sdwa v23, sext(v17) dst_sel:DWORD dst_unused:UNUSED_PAD src0_sel:BYTE_1
	v_fmac_f32_e32 v26, v23, v22
	v_cvt_f32_i32_sdwa v23, sext(v17) dst_sel:DWORD dst_unused:UNUSED_PAD src0_sel:BYTE_2
	v_cvt_f32_i32_sdwa v17, sext(v17) dst_sel:DWORD dst_unused:UNUSED_PAD src0_sel:BYTE_3
	v_fmac_f32_e32 v12, v23, v22
	v_fmac_f32_e32 v3, v17, v22
	v_cvt_f32_i32_sdwa v17, sext(v18) dst_sel:DWORD dst_unused:UNUSED_PAD src0_sel:BYTE_0
	v_cvt_f32_i32_sdwa v22, sext(v21) dst_sel:DWORD dst_unused:UNUSED_PAD src0_sel:BYTE_1
	v_fmac_f32_e32 v13, v17, v22
	v_cvt_f32_i32_sdwa v17, sext(v18) dst_sel:DWORD dst_unused:UNUSED_PAD src0_sel:BYTE_1
	v_fmac_f32_e32 v26, v17, v22
	v_cvt_f32_i32_sdwa v17, sext(v18) dst_sel:DWORD dst_unused:UNUSED_PAD src0_sel:BYTE_2
	v_fmac_f32_e32 v12, v17, v22
	v_cvt_f32_i32_sdwa v17, sext(v18) dst_sel:DWORD dst_unused:UNUSED_PAD src0_sel:BYTE_3
	v_cvt_f32_i32_sdwa v18, sext(v21) dst_sel:DWORD dst_unused:UNUSED_PAD src0_sel:BYTE_2
	v_fmac_f32_e32 v3, v17, v22
	v_cvt_f32_i32_sdwa v17, sext(v19) dst_sel:DWORD dst_unused:UNUSED_PAD src0_sel:BYTE_0
	v_fmac_f32_e32 v13, v17, v18
	v_cvt_f32_i32_sdwa v17, sext(v19) dst_sel:DWORD dst_unused:UNUSED_PAD src0_sel:BYTE_1
	v_fmac_f32_e32 v26, v17, v18
	v_cvt_f32_i32_sdwa v17, sext(v19) dst_sel:DWORD dst_unused:UNUSED_PAD src0_sel:BYTE_2
	v_fmac_f32_e32 v12, v17, v18
	v_cvt_f32_i32_sdwa v17, sext(v19) dst_sel:DWORD dst_unused:UNUSED_PAD src0_sel:BYTE_3
	v_fmac_f32_e32 v3, v17, v18
	v_cvt_f32_i32_sdwa v17, sext(v20) dst_sel:DWORD dst_unused:UNUSED_PAD src0_sel:BYTE_0
	v_cvt_f32_i32_sdwa v18, sext(v21) dst_sel:DWORD dst_unused:UNUSED_PAD src0_sel:BYTE_3
	v_fmac_f32_e32 v13, v17, v18
	v_cvt_f32_i32_sdwa v17, sext(v20) dst_sel:DWORD dst_unused:UNUSED_PAD src0_sel:BYTE_1
	v_fmac_f32_e32 v26, v17, v18
	v_cvt_f32_i32_sdwa v17, sext(v20) dst_sel:DWORD dst_unused:UNUSED_PAD src0_sel:BYTE_2
	v_fmac_f32_e32 v12, v17, v18
	v_cvt_f32_i32_sdwa v17, sext(v20) dst_sel:DWORD dst_unused:UNUSED_PAD src0_sel:BYTE_3
	v_fmac_f32_e32 v3, v17, v18
	global_load_dwordx2 v[17:18], v[14:15], off
	s_waitcnt vmcnt(0)
	v_sub_co_u32_e32 v17, vcc, v17, v1
	v_subb_co_u32_e32 v18, vcc, v18, v2, vcc
	v_lshlrev_b64 v[21:22], 2, v[17:18]
	global_load_dwordx4 v[17:20], v[10:11], off offset:2048
	v_add_co_u32_e32 v21, vcc, s6, v21
	v_addc_co_u32_e32 v22, vcc, v16, v22, vcc
	global_load_dword v21, v[21:22], off
	s_waitcnt vmcnt(1)
	v_cvt_f32_i32_sdwa v23, sext(v17) dst_sel:DWORD dst_unused:UNUSED_PAD src0_sel:BYTE_0
	s_waitcnt vmcnt(0)
	v_cvt_f32_i32_sdwa v22, sext(v21) dst_sel:DWORD dst_unused:UNUSED_PAD src0_sel:BYTE_0
	v_fmac_f32_e32 v13, v23, v22
	v_cvt_f32_i32_sdwa v23, sext(v17) dst_sel:DWORD dst_unused:UNUSED_PAD src0_sel:BYTE_1
	v_fmac_f32_e32 v26, v23, v22
	v_cvt_f32_i32_sdwa v23, sext(v17) dst_sel:DWORD dst_unused:UNUSED_PAD src0_sel:BYTE_2
	v_cvt_f32_i32_sdwa v17, sext(v17) dst_sel:DWORD dst_unused:UNUSED_PAD src0_sel:BYTE_3
	v_fmac_f32_e32 v12, v23, v22
	v_fmac_f32_e32 v3, v17, v22
	v_cvt_f32_i32_sdwa v17, sext(v18) dst_sel:DWORD dst_unused:UNUSED_PAD src0_sel:BYTE_0
	v_cvt_f32_i32_sdwa v22, sext(v21) dst_sel:DWORD dst_unused:UNUSED_PAD src0_sel:BYTE_1
	v_fmac_f32_e32 v13, v17, v22
	v_cvt_f32_i32_sdwa v17, sext(v18) dst_sel:DWORD dst_unused:UNUSED_PAD src0_sel:BYTE_1
	v_fmac_f32_e32 v26, v17, v22
	v_cvt_f32_i32_sdwa v17, sext(v18) dst_sel:DWORD dst_unused:UNUSED_PAD src0_sel:BYTE_2
	v_fmac_f32_e32 v12, v17, v22
	v_cvt_f32_i32_sdwa v17, sext(v18) dst_sel:DWORD dst_unused:UNUSED_PAD src0_sel:BYTE_3
	v_cvt_f32_i32_sdwa v18, sext(v21) dst_sel:DWORD dst_unused:UNUSED_PAD src0_sel:BYTE_2
	v_fmac_f32_e32 v3, v17, v22
	v_cvt_f32_i32_sdwa v17, sext(v19) dst_sel:DWORD dst_unused:UNUSED_PAD src0_sel:BYTE_0
	v_fmac_f32_e32 v13, v17, v18
	v_cvt_f32_i32_sdwa v17, sext(v19) dst_sel:DWORD dst_unused:UNUSED_PAD src0_sel:BYTE_1
	v_fmac_f32_e32 v26, v17, v18
	v_cvt_f32_i32_sdwa v17, sext(v19) dst_sel:DWORD dst_unused:UNUSED_PAD src0_sel:BYTE_2
	v_fmac_f32_e32 v12, v17, v18
	v_cvt_f32_i32_sdwa v17, sext(v19) dst_sel:DWORD dst_unused:UNUSED_PAD src0_sel:BYTE_3
	v_fmac_f32_e32 v3, v17, v18
	v_cvt_f32_i32_sdwa v17, sext(v20) dst_sel:DWORD dst_unused:UNUSED_PAD src0_sel:BYTE_0
	v_cvt_f32_i32_sdwa v18, sext(v21) dst_sel:DWORD dst_unused:UNUSED_PAD src0_sel:BYTE_3
	v_fmac_f32_e32 v13, v17, v18
	v_cvt_f32_i32_sdwa v17, sext(v20) dst_sel:DWORD dst_unused:UNUSED_PAD src0_sel:BYTE_1
	v_fmac_f32_e32 v26, v17, v18
	v_cvt_f32_i32_sdwa v17, sext(v20) dst_sel:DWORD dst_unused:UNUSED_PAD src0_sel:BYTE_2
	v_fmac_f32_e32 v12, v17, v18
	v_cvt_f32_i32_sdwa v17, sext(v20) dst_sel:DWORD dst_unused:UNUSED_PAD src0_sel:BYTE_3
	v_fmac_f32_e32 v3, v17, v18
	global_load_dwordx2 v[17:18], v[14:15], off offset:512
	s_waitcnt vmcnt(0)
	v_sub_co_u32_e32 v17, vcc, v17, v1
	v_subb_co_u32_e32 v18, vcc, v18, v2, vcc
	v_lshlrev_b64 v[21:22], 2, v[17:18]
	global_load_dwordx4 v[17:20], v[10:11], off offset:3072
	v_add_co_u32_e32 v21, vcc, s6, v21
	v_addc_co_u32_e32 v22, vcc, v16, v22, vcc
	global_load_dword v21, v[21:22], off
	v_add_co_u32_e32 v10, vcc, s7, v10
	v_addc_co_u32_e32 v11, vcc, 0, v11, vcc
	v_add_co_u32_e32 v6, vcc, 0x100, v6
	v_addc_co_u32_e32 v7, vcc, 0, v7, vcc
	;; [unrolled: 2-line block ×3, first 2 shown]
	v_cmp_ge_i64_e32 vcc, v[6:7], v[8:9]
	s_or_b64 s[8:9], vcc, s[8:9]
	s_waitcnt vmcnt(1)
	v_cvt_f32_i32_sdwa v23, sext(v17) dst_sel:DWORD dst_unused:UNUSED_PAD src0_sel:BYTE_0
	s_waitcnt vmcnt(0)
	v_cvt_f32_i32_sdwa v22, sext(v21) dst_sel:DWORD dst_unused:UNUSED_PAD src0_sel:BYTE_0
	v_fmac_f32_e32 v13, v23, v22
	v_cvt_f32_i32_sdwa v23, sext(v17) dst_sel:DWORD dst_unused:UNUSED_PAD src0_sel:BYTE_1
	v_fmac_f32_e32 v26, v23, v22
	v_cvt_f32_i32_sdwa v23, sext(v17) dst_sel:DWORD dst_unused:UNUSED_PAD src0_sel:BYTE_2
	v_cvt_f32_i32_sdwa v17, sext(v17) dst_sel:DWORD dst_unused:UNUSED_PAD src0_sel:BYTE_3
	v_fmac_f32_e32 v12, v23, v22
	v_fmac_f32_e32 v3, v17, v22
	v_cvt_f32_i32_sdwa v17, sext(v18) dst_sel:DWORD dst_unused:UNUSED_PAD src0_sel:BYTE_0
	v_cvt_f32_i32_sdwa v22, sext(v21) dst_sel:DWORD dst_unused:UNUSED_PAD src0_sel:BYTE_1
	v_fmac_f32_e32 v13, v17, v22
	v_cvt_f32_i32_sdwa v17, sext(v18) dst_sel:DWORD dst_unused:UNUSED_PAD src0_sel:BYTE_1
	v_fmac_f32_e32 v26, v17, v22
	v_cvt_f32_i32_sdwa v17, sext(v18) dst_sel:DWORD dst_unused:UNUSED_PAD src0_sel:BYTE_2
	v_fmac_f32_e32 v12, v17, v22
	v_cvt_f32_i32_sdwa v17, sext(v18) dst_sel:DWORD dst_unused:UNUSED_PAD src0_sel:BYTE_3
	v_cvt_f32_i32_sdwa v18, sext(v21) dst_sel:DWORD dst_unused:UNUSED_PAD src0_sel:BYTE_2
	v_fmac_f32_e32 v3, v17, v22
	v_cvt_f32_i32_sdwa v17, sext(v19) dst_sel:DWORD dst_unused:UNUSED_PAD src0_sel:BYTE_0
	v_fmac_f32_e32 v13, v17, v18
	v_cvt_f32_i32_sdwa v17, sext(v19) dst_sel:DWORD dst_unused:UNUSED_PAD src0_sel:BYTE_1
	v_fmac_f32_e32 v26, v17, v18
	v_cvt_f32_i32_sdwa v17, sext(v19) dst_sel:DWORD dst_unused:UNUSED_PAD src0_sel:BYTE_2
	v_fmac_f32_e32 v12, v17, v18
	v_cvt_f32_i32_sdwa v17, sext(v19) dst_sel:DWORD dst_unused:UNUSED_PAD src0_sel:BYTE_3
	v_fmac_f32_e32 v3, v17, v18
	v_cvt_f32_i32_sdwa v17, sext(v20) dst_sel:DWORD dst_unused:UNUSED_PAD src0_sel:BYTE_0
	v_cvt_f32_i32_sdwa v18, sext(v21) dst_sel:DWORD dst_unused:UNUSED_PAD src0_sel:BYTE_3
	v_fmac_f32_e32 v13, v17, v18
	v_cvt_f32_i32_sdwa v17, sext(v20) dst_sel:DWORD dst_unused:UNUSED_PAD src0_sel:BYTE_1
	v_fmac_f32_e32 v26, v17, v18
	v_cvt_f32_i32_sdwa v17, sext(v20) dst_sel:DWORD dst_unused:UNUSED_PAD src0_sel:BYTE_2
	v_fmac_f32_e32 v12, v17, v18
	v_cvt_f32_i32_sdwa v17, sext(v20) dst_sel:DWORD dst_unused:UNUSED_PAD src0_sel:BYTE_3
	v_fmac_f32_e32 v3, v17, v18
	s_andn2_b64 exec, exec, s[8:9]
	s_cbranch_execnz .LBB89_35
; %bb.36:
	s_or_b64 exec, exec, s[8:9]
.LBB89_37:
	s_or_b64 exec, exec, s[0:1]
.LBB89_38:
	s_or_b64 exec, exec, s[2:3]
.LBB89_39:
	v_mov_b32_dpp v1, v13 row_shr:1 row_mask:0xf bank_mask:0xf
	v_mov_b32_dpp v6, v26 row_shr:1 row_mask:0xf bank_mask:0xf
	v_mov_b32_dpp v8, v12 row_shr:1 row_mask:0xf bank_mask:0xf
	v_mov_b32_dpp v10, v3 row_shr:1 row_mask:0xf bank_mask:0xf
	v_add_f32_e32 v1, v13, v1
	v_add_f32_e32 v6, v26, v6
	v_add_f32_e32 v8, v12, v8
	v_add_f32_e32 v3, v3, v10
	v_mov_b32_dpp v2, v1 row_shr:2 row_mask:0xf bank_mask:0xf
	v_mov_b32_dpp v7, v6 row_shr:2 row_mask:0xf bank_mask:0xf
	v_mov_b32_dpp v9, v8 row_shr:2 row_mask:0xf bank_mask:0xf
	v_mov_b32_dpp v10, v3 row_shr:2 row_mask:0xf bank_mask:0xf
	v_add_f32_e32 v1, v1, v2
	v_add_f32_e32 v6, v6, v7
	v_add_f32_e32 v8, v8, v9
	v_add_f32_e32 v3, v3, v10
	;; [unrolled: 8-line block ×4, first 2 shown]
	v_mov_b32_dpp v2, v1 row_bcast:15 row_mask:0xa bank_mask:0xf
	v_mov_b32_dpp v7, v6 row_bcast:15 row_mask:0xa bank_mask:0xf
	;; [unrolled: 1-line block ×4, first 2 shown]
	v_add_f32_e32 v1, v1, v2
	v_add_f32_e32 v6, v6, v7
	;; [unrolled: 1-line block ×4, first 2 shown]
	v_mov_b32_dpp v2, v1 row_bcast:31 row_mask:0xc bank_mask:0xf
	v_mov_b32_dpp v7, v6 row_bcast:31 row_mask:0xc bank_mask:0xf
	;; [unrolled: 1-line block ×4, first 2 shown]
	v_cmp_eq_u32_e32 vcc, 63, v0
	s_and_b64 exec, exec, vcc
	s_cbranch_execz .LBB89_10
; %bb.40:
	s_load_dwordx2 s[0:1], s[4:5], 0x58
	v_add_f32_e32 v0, v1, v2
	v_add_f32_e32 v1, v6, v7
	;; [unrolled: 1-line block ×4, first 2 shown]
	v_cmp_eq_f32_e64 s[2:3], s20, 0
	v_lshlrev_b64 v[4:5], 4, v[4:5]
	s_and_b64 vcc, exec, s[2:3]
	v_mul_f32_e32 v0, s16, v0
	v_mul_f32_e32 v1, s16, v1
	;; [unrolled: 1-line block ×4, first 2 shown]
	s_cbranch_vccz .LBB89_42
; %bb.41:
	s_waitcnt lgkmcnt(0)
	v_mov_b32_e32 v7, s1
	v_add_co_u32_e32 v6, vcc, s0, v4
	v_addc_co_u32_e32 v7, vcc, v7, v5, vcc
	global_store_dwordx4 v[6:7], v[0:3], off
	s_cbranch_execnz .LBB89_10
	s_branch .LBB89_43
.LBB89_42:
.LBB89_43:
	s_waitcnt lgkmcnt(0)
	v_mov_b32_e32 v6, s1
	v_add_co_u32_e32 v8, vcc, s0, v4
	v_addc_co_u32_e32 v9, vcc, v6, v5, vcc
	global_load_dwordx4 v[4:7], v[8:9], off
	s_waitcnt vmcnt(0)
	v_fmac_f32_e32 v0, s20, v4
	v_fmac_f32_e32 v1, s20, v5
	;; [unrolled: 1-line block ×4, first 2 shown]
	global_store_dwordx4 v[8:9], v[0:3], off
	s_endpgm
	.section	.rodata,"a",@progbits
	.p2align	6, 0x0
	.amdhsa_kernel _ZN9rocsparseL18bsrxmvn_4x4_kernelILj128ELj64EfllaafEEvT3_20rocsparse_direction_NS_24const_host_device_scalarIT1_EES1_PKS1_PKT2_SA_S7_PKT4_PKT5_S5_PT6_21rocsparse_index_base_b
		.amdhsa_group_segment_fixed_size 0
		.amdhsa_private_segment_fixed_size 0
		.amdhsa_kernarg_size 104
		.amdhsa_user_sgpr_count 6
		.amdhsa_user_sgpr_private_segment_buffer 1
		.amdhsa_user_sgpr_dispatch_ptr 0
		.amdhsa_user_sgpr_queue_ptr 0
		.amdhsa_user_sgpr_kernarg_segment_ptr 1
		.amdhsa_user_sgpr_dispatch_id 0
		.amdhsa_user_sgpr_flat_scratch_init 0
		.amdhsa_user_sgpr_private_segment_size 0
		.amdhsa_uses_dynamic_stack 0
		.amdhsa_system_sgpr_private_segment_wavefront_offset 0
		.amdhsa_system_sgpr_workgroup_id_x 1
		.amdhsa_system_sgpr_workgroup_id_y 0
		.amdhsa_system_sgpr_workgroup_id_z 0
		.amdhsa_system_sgpr_workgroup_info 0
		.amdhsa_system_vgpr_workitem_id 0
		.amdhsa_next_free_vgpr 48
		.amdhsa_next_free_sgpr 22
		.amdhsa_reserve_vcc 1
		.amdhsa_reserve_flat_scratch 0
		.amdhsa_float_round_mode_32 0
		.amdhsa_float_round_mode_16_64 0
		.amdhsa_float_denorm_mode_32 3
		.amdhsa_float_denorm_mode_16_64 3
		.amdhsa_dx10_clamp 1
		.amdhsa_ieee_mode 1
		.amdhsa_fp16_overflow 0
		.amdhsa_exception_fp_ieee_invalid_op 0
		.amdhsa_exception_fp_denorm_src 0
		.amdhsa_exception_fp_ieee_div_zero 0
		.amdhsa_exception_fp_ieee_overflow 0
		.amdhsa_exception_fp_ieee_underflow 0
		.amdhsa_exception_fp_ieee_inexact 0
		.amdhsa_exception_int_div_zero 0
	.end_amdhsa_kernel
	.section	.text._ZN9rocsparseL18bsrxmvn_4x4_kernelILj128ELj64EfllaafEEvT3_20rocsparse_direction_NS_24const_host_device_scalarIT1_EES1_PKS1_PKT2_SA_S7_PKT4_PKT5_S5_PT6_21rocsparse_index_base_b,"axG",@progbits,_ZN9rocsparseL18bsrxmvn_4x4_kernelILj128ELj64EfllaafEEvT3_20rocsparse_direction_NS_24const_host_device_scalarIT1_EES1_PKS1_PKT2_SA_S7_PKT4_PKT5_S5_PT6_21rocsparse_index_base_b,comdat
.Lfunc_end89:
	.size	_ZN9rocsparseL18bsrxmvn_4x4_kernelILj128ELj64EfllaafEEvT3_20rocsparse_direction_NS_24const_host_device_scalarIT1_EES1_PKS1_PKT2_SA_S7_PKT4_PKT5_S5_PT6_21rocsparse_index_base_b, .Lfunc_end89-_ZN9rocsparseL18bsrxmvn_4x4_kernelILj128ELj64EfllaafEEvT3_20rocsparse_direction_NS_24const_host_device_scalarIT1_EES1_PKS1_PKT2_SA_S7_PKT4_PKT5_S5_PT6_21rocsparse_index_base_b
                                        ; -- End function
	.set _ZN9rocsparseL18bsrxmvn_4x4_kernelILj128ELj64EfllaafEEvT3_20rocsparse_direction_NS_24const_host_device_scalarIT1_EES1_PKS1_PKT2_SA_S7_PKT4_PKT5_S5_PT6_21rocsparse_index_base_b.num_vgpr, 48
	.set _ZN9rocsparseL18bsrxmvn_4x4_kernelILj128ELj64EfllaafEEvT3_20rocsparse_direction_NS_24const_host_device_scalarIT1_EES1_PKS1_PKT2_SA_S7_PKT4_PKT5_S5_PT6_21rocsparse_index_base_b.num_agpr, 0
	.set _ZN9rocsparseL18bsrxmvn_4x4_kernelILj128ELj64EfllaafEEvT3_20rocsparse_direction_NS_24const_host_device_scalarIT1_EES1_PKS1_PKT2_SA_S7_PKT4_PKT5_S5_PT6_21rocsparse_index_base_b.numbered_sgpr, 22
	.set _ZN9rocsparseL18bsrxmvn_4x4_kernelILj128ELj64EfllaafEEvT3_20rocsparse_direction_NS_24const_host_device_scalarIT1_EES1_PKS1_PKT2_SA_S7_PKT4_PKT5_S5_PT6_21rocsparse_index_base_b.num_named_barrier, 0
	.set _ZN9rocsparseL18bsrxmvn_4x4_kernelILj128ELj64EfllaafEEvT3_20rocsparse_direction_NS_24const_host_device_scalarIT1_EES1_PKS1_PKT2_SA_S7_PKT4_PKT5_S5_PT6_21rocsparse_index_base_b.private_seg_size, 0
	.set _ZN9rocsparseL18bsrxmvn_4x4_kernelILj128ELj64EfllaafEEvT3_20rocsparse_direction_NS_24const_host_device_scalarIT1_EES1_PKS1_PKT2_SA_S7_PKT4_PKT5_S5_PT6_21rocsparse_index_base_b.uses_vcc, 1
	.set _ZN9rocsparseL18bsrxmvn_4x4_kernelILj128ELj64EfllaafEEvT3_20rocsparse_direction_NS_24const_host_device_scalarIT1_EES1_PKS1_PKT2_SA_S7_PKT4_PKT5_S5_PT6_21rocsparse_index_base_b.uses_flat_scratch, 0
	.set _ZN9rocsparseL18bsrxmvn_4x4_kernelILj128ELj64EfllaafEEvT3_20rocsparse_direction_NS_24const_host_device_scalarIT1_EES1_PKS1_PKT2_SA_S7_PKT4_PKT5_S5_PT6_21rocsparse_index_base_b.has_dyn_sized_stack, 0
	.set _ZN9rocsparseL18bsrxmvn_4x4_kernelILj128ELj64EfllaafEEvT3_20rocsparse_direction_NS_24const_host_device_scalarIT1_EES1_PKS1_PKT2_SA_S7_PKT4_PKT5_S5_PT6_21rocsparse_index_base_b.has_recursion, 0
	.set _ZN9rocsparseL18bsrxmvn_4x4_kernelILj128ELj64EfllaafEEvT3_20rocsparse_direction_NS_24const_host_device_scalarIT1_EES1_PKS1_PKT2_SA_S7_PKT4_PKT5_S5_PT6_21rocsparse_index_base_b.has_indirect_call, 0
	.section	.AMDGPU.csdata,"",@progbits
; Kernel info:
; codeLenInByte = 4592
; TotalNumSgprs: 26
; NumVgprs: 48
; ScratchSize: 0
; MemoryBound: 0
; FloatMode: 240
; IeeeMode: 1
; LDSByteSize: 0 bytes/workgroup (compile time only)
; SGPRBlocks: 3
; VGPRBlocks: 11
; NumSGPRsForWavesPerEU: 26
; NumVGPRsForWavesPerEU: 48
; Occupancy: 5
; WaveLimiterHint : 1
; COMPUTE_PGM_RSRC2:SCRATCH_EN: 0
; COMPUTE_PGM_RSRC2:USER_SGPR: 6
; COMPUTE_PGM_RSRC2:TRAP_HANDLER: 0
; COMPUTE_PGM_RSRC2:TGID_X_EN: 1
; COMPUTE_PGM_RSRC2:TGID_Y_EN: 0
; COMPUTE_PGM_RSRC2:TGID_Z_EN: 0
; COMPUTE_PGM_RSRC2:TIDIG_COMP_CNT: 0
	.section	.text._ZN9rocsparseL18bsrxmvn_4x4_kernelILj128ELj4EfiiDF16_DF16_fEEvT3_20rocsparse_direction_NS_24const_host_device_scalarIT1_EES1_PKS1_PKT2_SA_S7_PKT4_PKT5_S5_PT6_21rocsparse_index_base_b,"axG",@progbits,_ZN9rocsparseL18bsrxmvn_4x4_kernelILj128ELj4EfiiDF16_DF16_fEEvT3_20rocsparse_direction_NS_24const_host_device_scalarIT1_EES1_PKS1_PKT2_SA_S7_PKT4_PKT5_S5_PT6_21rocsparse_index_base_b,comdat
	.globl	_ZN9rocsparseL18bsrxmvn_4x4_kernelILj128ELj4EfiiDF16_DF16_fEEvT3_20rocsparse_direction_NS_24const_host_device_scalarIT1_EES1_PKS1_PKT2_SA_S7_PKT4_PKT5_S5_PT6_21rocsparse_index_base_b ; -- Begin function _ZN9rocsparseL18bsrxmvn_4x4_kernelILj128ELj4EfiiDF16_DF16_fEEvT3_20rocsparse_direction_NS_24const_host_device_scalarIT1_EES1_PKS1_PKT2_SA_S7_PKT4_PKT5_S5_PT6_21rocsparse_index_base_b
	.p2align	8
	.type	_ZN9rocsparseL18bsrxmvn_4x4_kernelILj128ELj4EfiiDF16_DF16_fEEvT3_20rocsparse_direction_NS_24const_host_device_scalarIT1_EES1_PKS1_PKT2_SA_S7_PKT4_PKT5_S5_PT6_21rocsparse_index_base_b,@function
_ZN9rocsparseL18bsrxmvn_4x4_kernelILj128ELj4EfiiDF16_DF16_fEEvT3_20rocsparse_direction_NS_24const_host_device_scalarIT1_EES1_PKS1_PKT2_SA_S7_PKT4_PKT5_S5_PT6_21rocsparse_index_base_b: ; @_ZN9rocsparseL18bsrxmvn_4x4_kernelILj128ELj4EfiiDF16_DF16_fEEvT3_20rocsparse_direction_NS_24const_host_device_scalarIT1_EES1_PKS1_PKT2_SA_S7_PKT4_PKT5_S5_PT6_21rocsparse_index_base_b
; %bb.0:
	s_load_dwordx2 s[20:21], s[4:5], 0x58
	s_load_dwordx2 s[18:19], s[4:5], 0x8
	;; [unrolled: 1-line block ×3, first 2 shown]
	s_waitcnt lgkmcnt(0)
	s_bitcmp1_b32 s21, 0
	s_cselect_b64 s[2:3], -1, 0
	s_xor_b64 s[0:1], s[2:3], -1
	s_and_b64 vcc, exec, s[2:3]
	s_cbranch_vccnz .LBB90_2
; %bb.1:
	s_load_dword s18, s[18:19], 0x0
.LBB90_2:
	s_andn2_b64 vcc, exec, s[0:1]
	s_cbranch_vccnz .LBB90_4
; %bb.3:
	s_load_dword s16, s[16:17], 0x0
.LBB90_4:
	s_waitcnt lgkmcnt(0)
	v_cmp_neq_f32_e64 s[0:1], s18, 0
	v_cmp_neq_f32_e64 s[2:3], s16, 1.0
	s_or_b64 s[0:1], s[0:1], s[2:3]
	s_andn2_b64 vcc, exec, s[0:1]
	s_cbranch_vccnz .LBB90_10
; %bb.5:
	s_load_dwordx2 s[8:9], s[4:5], 0x18
	s_load_dwordx2 s[0:1], s[4:5], 0x0
	v_lshrrev_b32_e32 v1, 2, v0
	v_lshl_or_b32 v4, s6, 5, v1
	s_mov_b64 s[2:3], 0
	s_waitcnt lgkmcnt(0)
	s_cmp_lg_u64 s[8:9], 0
	s_cbranch_scc0 .LBB90_11
; %bb.6:
	s_load_dword s6, s[4:5], 0x10
                                        ; implicit-def: $vgpr1
	s_waitcnt lgkmcnt(0)
	v_cmp_gt_i32_e32 vcc, s6, v4
	s_and_saveexec_b64 s[6:7], vcc
	s_xor_b64 s[6:7], exec, s[6:7]
	s_cbranch_execz .LBB90_8
; %bb.7:
	v_ashrrev_i32_e32 v5, 31, v4
	v_lshlrev_b64 v[1:2], 2, v[4:5]
	v_mov_b32_e32 v3, s9
	v_add_co_u32_e32 v1, vcc, s8, v1
	v_addc_co_u32_e32 v2, vcc, v3, v2, vcc
	global_load_dword v1, v[1:2], off
	s_mov_b64 s[2:3], exec
	s_waitcnt vmcnt(0)
	v_subrev_u32_e32 v1, s20, v1
.LBB90_8:
	s_or_b64 exec, exec, s[6:7]
	s_branch .LBB90_12
.LBB90_9:
	v_cmp_gt_i32_e32 vcc, s0, v4
	s_andn2_b64 s[2:3], s[2:3], exec
	s_and_b64 s[6:7], vcc, exec
	s_or_b64 s[2:3], s[2:3], s[6:7]
	s_and_saveexec_b64 s[6:7], s[2:3]
	s_cbranch_execnz .LBB90_13
.LBB90_10:
	s_endpgm
.LBB90_11:
                                        ; implicit-def: $vgpr1
	s_cbranch_execnz .LBB90_9
.LBB90_12:
	v_mov_b32_e32 v4, v1
	s_and_saveexec_b64 s[6:7], s[2:3]
	s_cbranch_execz .LBB90_10
.LBB90_13:
	s_load_dwordx8 s[8:15], s[4:5], 0x20
	v_ashrrev_i32_e32 v5, 31, v4
	v_lshlrev_b64 v[1:2], 2, v[4:5]
	v_and_b32_e32 v9, 3, v0
	s_load_dwordx2 s[6:7], s[4:5], 0x40
	s_waitcnt lgkmcnt(0)
	v_mov_b32_e32 v3, s9
	v_add_co_u32_e32 v5, vcc, s8, v1
	v_addc_co_u32_e32 v6, vcc, v3, v2, vcc
	v_add_co_u32_e32 v3, vcc, 4, v5
	global_load_dword v15, v[5:6], off
	v_addc_co_u32_e32 v5, vcc, 0, v6, vcc
	v_mov_b32_e32 v6, s11
	v_add_co_u32_e32 v1, vcc, s10, v1
	s_cmp_eq_u64 s[10:11], 0
	v_addc_co_u32_e32 v2, vcc, v6, v2, vcc
	s_cselect_b64 vcc, -1, 0
	v_cndmask_b32_e32 v2, v2, v5, vcc
	v_cndmask_b32_e32 v1, v1, v3, vcc
	global_load_dword v1, v[1:2], off
	v_mov_b32_e32 v5, s15
	s_cmp_eq_u32 s1, 1
	s_waitcnt vmcnt(1)
	v_subrev_u32_e32 v0, s20, v15
	v_add_u32_e32 v0, v0, v9
	s_waitcnt vmcnt(0)
	v_subrev_u32_e32 v10, s20, v1
	v_ashrrev_i32_e32 v1, 31, v0
	v_lshlrev_b64 v[2:3], 5, v[0:1]
	v_cmp_lt_i32_e64 s[0:1], v0, v10
	v_add_co_u32_e32 v2, vcc, s14, v2
	v_addc_co_u32_e32 v3, vcc, v5, v3, vcc
	s_cbranch_scc1 .LBB90_25
; %bb.14:
	v_mov_b32_e32 v11, 0
	v_mov_b32_e32 v12, 0
	v_mov_b32_e32 v14, 0
	v_mov_b32_e32 v13, 0
	s_and_saveexec_b64 s[8:9], s[0:1]
	s_cbranch_execz .LBB90_24
; %bb.15:
	v_add_u32_e32 v1, v15, v9
	v_subrev_u32_e32 v1, s20, v1
	v_add_u32_e32 v1, 4, v1
	v_max_i32_e32 v1, v1, v10
	v_not_b32_e32 v5, v15
	v_add3_u32 v1, s20, v1, v5
	v_sub_u32_e32 v1, v1, v9
	v_and_b32_e32 v5, 12, v1
	v_mov_b32_e32 v8, v3
	v_cmp_ne_u32_e32 vcc, 12, v5
	v_mov_b32_e32 v13, 0
	v_mov_b32_e32 v14, 0
	;; [unrolled: 1-line block ×6, first 2 shown]
	s_and_saveexec_b64 s[10:11], vcc
	s_cbranch_execz .LBB90_19
; %bb.16:
	v_lshrrev_b32_e32 v5, 2, v1
	v_add_u32_e32 v5, 1, v5
	v_and_b32_e32 v5, 3, v5
	v_mov_b32_e32 v8, v3
	v_sub_u32_e32 v16, 0, v5
	v_mov_b32_e32 v11, 0
	s_mov_b64 s[14:15], 0
	v_mov_b32_e32 v17, s13
	v_mov_b32_e32 v18, s7
	;; [unrolled: 1-line block ×7, first 2 shown]
.LBB90_17:                              ; =>This Inner Loop Header: Depth=1
	v_ashrrev_i32_e32 v6, 31, v5
	v_lshlrev_b64 v[19:20], 2, v[5:6]
	v_add_co_u32_e64 v16, s[2:3], 1, v16
	v_add_co_u32_e32 v27, vcc, s12, v19
	v_addc_co_u32_e32 v28, vcc, v17, v20, vcc
	global_load_dword v6, v[27:28], off
	global_load_dwordx4 v[19:22], v[7:8], off
	global_load_dwordx4 v[23:26], v[7:8], off offset:16
	v_add_u32_e32 v5, 4, v5
	s_or_b64 s[14:15], s[2:3], s[14:15]
	s_waitcnt vmcnt(2)
	v_subrev_u32_e32 v6, s20, v6
	v_lshlrev_b32_e32 v27, 2, v6
	v_ashrrev_i32_e32 v28, 31, v27
	v_lshlrev_b64 v[27:28], 1, v[27:28]
	v_add_co_u32_e32 v27, vcc, s6, v27
	v_addc_co_u32_e32 v28, vcc, v18, v28, vcc
	global_load_dwordx2 v[27:28], v[27:28], off
	v_add_co_u32_e32 v7, vcc, 0x80, v7
	v_addc_co_u32_e32 v8, vcc, 0, v8, vcc
	s_waitcnt vmcnt(0)
	v_fma_mix_f32 v6, v19, v27, v13 op_sel_hi:[1,1,0]
	v_fma_mix_f32 v13, v21, v27, v14 op_sel_hi:[1,1,0]
	;; [unrolled: 1-line block ×4, first 2 shown]
	v_fma_mix_f32 v6, v19, v27, v6 op_sel:[1,1,0] op_sel_hi:[1,1,0]
	v_fma_mix_f32 v13, v21, v27, v13 op_sel:[1,1,0] op_sel_hi:[1,1,0]
	;; [unrolled: 1-line block ×4, first 2 shown]
	v_fma_mix_f32 v6, v20, v28, v6 op_sel_hi:[1,1,0]
	v_fma_mix_f32 v14, v22, v28, v13 op_sel_hi:[1,1,0]
	;; [unrolled: 1-line block ×4, first 2 shown]
	v_fma_mix_f32 v13, v20, v28, v6 op_sel:[1,1,0] op_sel_hi:[1,1,0]
	v_fma_mix_f32 v14, v22, v28, v14 op_sel:[1,1,0] op_sel_hi:[1,1,0]
	;; [unrolled: 1-line block ×4, first 2 shown]
	s_andn2_b64 exec, exec, s[14:15]
	s_cbranch_execnz .LBB90_17
; %bb.18:
	s_or_b64 exec, exec, s[14:15]
.LBB90_19:
	s_or_b64 exec, exec, s[10:11]
	v_cmp_lt_u32_e32 vcc, 11, v1
	s_and_saveexec_b64 s[2:3], vcc
	s_cbranch_execz .LBB90_23
; %bb.20:
	s_mov_b64 s[10:11], 0
	v_mov_b32_e32 v1, s13
	v_mov_b32_e32 v16, s7
.LBB90_21:                              ; =>This Inner Loop Header: Depth=1
	v_ashrrev_i32_e32 v6, 31, v5
	v_lshlrev_b64 v[21:22], 2, v[5:6]
	global_load_dwordx4 v[17:20], v[7:8], off
	v_add_co_u32_e32 v21, vcc, s12, v21
	v_addc_co_u32_e32 v22, vcc, v1, v22, vcc
	global_load_dword v6, v[21:22], off
	global_load_dword v23, v[21:22], off offset:16
	global_load_dword v24, v[21:22], off offset:32
	;; [unrolled: 1-line block ×3, first 2 shown]
	v_add_u32_e32 v5, 16, v5
	s_waitcnt vmcnt(3)
	v_subrev_u32_e32 v6, s20, v6
	s_waitcnt vmcnt(2)
	v_subrev_u32_e32 v22, s20, v23
	v_lshlrev_b32_e32 v21, 2, v6
	v_lshlrev_b32_e32 v23, 2, v22
	v_ashrrev_i32_e32 v22, 31, v21
	s_waitcnt vmcnt(1)
	v_subrev_u32_e32 v24, s20, v24
	v_lshlrev_b64 v[21:22], 1, v[21:22]
	s_waitcnt vmcnt(0)
	v_subrev_u32_e32 v26, s20, v25
	v_lshlrev_b32_e32 v25, 2, v24
	v_ashrrev_i32_e32 v24, 31, v23
	v_lshlrev_b64 v[23:24], 1, v[23:24]
	v_add_co_u32_e32 v29, vcc, s6, v21
	v_lshlrev_b32_e32 v27, 2, v26
	v_ashrrev_i32_e32 v26, 31, v25
	v_addc_co_u32_e32 v30, vcc, v16, v22, vcc
	v_lshlrev_b64 v[25:26], 1, v[25:26]
	v_add_co_u32_e32 v31, vcc, s6, v23
	v_ashrrev_i32_e32 v28, 31, v27
	v_addc_co_u32_e32 v32, vcc, v16, v24, vcc
	v_lshlrev_b64 v[27:28], 1, v[27:28]
	v_add_co_u32_e32 v25, vcc, s6, v25
	v_addc_co_u32_e32 v26, vcc, v16, v26, vcc
	v_add_co_u32_e32 v27, vcc, s6, v27
	v_addc_co_u32_e32 v28, vcc, v16, v28, vcc
	global_load_dwordx4 v[21:24], v[7:8], off offset:16
	global_load_dwordx2 v[33:34], v[29:30], off
	global_load_dwordx2 v[35:36], v[31:32], off
	;; [unrolled: 1-line block ×4, first 2 shown]
	s_waitcnt vmcnt(3)
	v_fma_mix_f32 v6, v17, v33, v13 op_sel_hi:[1,1,0]
	v_fma_mix_f32 v13, v19, v33, v14 op_sel_hi:[1,1,0]
	v_fma_mix_f32 v6, v17, v33, v6 op_sel:[1,1,0] op_sel_hi:[1,1,0]
	v_fma_mix_f32 v13, v19, v33, v13 op_sel:[1,1,0] op_sel_hi:[1,1,0]
	v_fma_mix_f32 v6, v18, v34, v6 op_sel_hi:[1,1,0]
	v_fma_mix_f32 v13, v20, v34, v13 op_sel_hi:[1,1,0]
	v_fma_mix_f32 v6, v18, v34, v6 op_sel:[1,1,0] op_sel_hi:[1,1,0]
	v_fma_mix_f32 v25, v20, v34, v13 op_sel:[1,1,0] op_sel_hi:[1,1,0]
	global_load_dwordx4 v[17:20], v[7:8], off offset:128
	v_fma_mix_f32 v12, v21, v33, v12 op_sel_hi:[1,1,0]
	v_fma_mix_f32 v11, v23, v33, v11 op_sel_hi:[1,1,0]
	v_fma_mix_f32 v12, v21, v33, v12 op_sel:[1,1,0] op_sel_hi:[1,1,0]
	v_fma_mix_f32 v11, v23, v33, v11 op_sel:[1,1,0] op_sel_hi:[1,1,0]
	v_fma_mix_f32 v12, v22, v34, v12 op_sel_hi:[1,1,0]
	v_fma_mix_f32 v11, v24, v34, v11 op_sel_hi:[1,1,0]
	v_fma_mix_f32 v21, v22, v34, v12 op_sel:[1,1,0] op_sel_hi:[1,1,0]
	v_fma_mix_f32 v22, v24, v34, v11 op_sel:[1,1,0] op_sel_hi:[1,1,0]
	global_load_dwordx4 v[11:14], v[7:8], off offset:144
	s_waitcnt vmcnt(1)
	v_fma_mix_f32 v6, v17, v35, v6 op_sel_hi:[1,1,0]
	v_fma_mix_f32 v23, v19, v35, v25 op_sel_hi:[1,1,0]
	v_fma_mix_f32 v6, v17, v35, v6 op_sel:[1,1,0] op_sel_hi:[1,1,0]
	v_fma_mix_f32 v17, v19, v35, v23 op_sel:[1,1,0] op_sel_hi:[1,1,0]
	v_fma_mix_f32 v6, v18, v36, v6 op_sel_hi:[1,1,0]
	v_fma_mix_f32 v17, v20, v36, v17 op_sel_hi:[1,1,0]
	v_fma_mix_f32 v6, v18, v36, v6 op_sel:[1,1,0] op_sel_hi:[1,1,0]
	v_fma_mix_f32 v25, v20, v36, v17 op_sel:[1,1,0] op_sel_hi:[1,1,0]
	global_load_dwordx4 v[17:20], v[7:8], off offset:256
	s_waitcnt vmcnt(1)
	v_fma_mix_f32 v21, v11, v35, v21 op_sel_hi:[1,1,0]
	v_fma_mix_f32 v22, v13, v35, v22 op_sel_hi:[1,1,0]
	v_fma_mix_f32 v11, v11, v35, v21 op_sel:[1,1,0] op_sel_hi:[1,1,0]
	v_fma_mix_f32 v13, v13, v35, v22 op_sel:[1,1,0] op_sel_hi:[1,1,0]
	v_fma_mix_f32 v11, v12, v36, v11 op_sel_hi:[1,1,0]
	v_fma_mix_f32 v13, v14, v36, v13 op_sel_hi:[1,1,0]
	v_fma_mix_f32 v26, v12, v36, v11 op_sel:[1,1,0] op_sel_hi:[1,1,0]
	v_fma_mix_f32 v27, v14, v36, v13 op_sel:[1,1,0] op_sel_hi:[1,1,0]
	global_load_dwordx4 v[11:14], v[7:8], off offset:272
	global_load_dwordx4 v[21:24], v[7:8], off offset:384
	s_waitcnt vmcnt(2)
	v_fma_mix_f32 v6, v17, v37, v6 op_sel_hi:[1,1,0]
	v_fma_mix_f32 v25, v19, v37, v25 op_sel_hi:[1,1,0]
	v_fma_mix_f32 v6, v17, v37, v6 op_sel:[1,1,0] op_sel_hi:[1,1,0]
	v_fma_mix_f32 v17, v19, v37, v25 op_sel:[1,1,0] op_sel_hi:[1,1,0]
	v_fma_mix_f32 v6, v18, v38, v6 op_sel_hi:[1,1,0]
	v_fma_mix_f32 v17, v20, v38, v17 op_sel_hi:[1,1,0]
	v_fma_mix_f32 v6, v18, v38, v6 op_sel:[1,1,0] op_sel_hi:[1,1,0]
	v_fma_mix_f32 v25, v20, v38, v17 op_sel:[1,1,0] op_sel_hi:[1,1,0]
	global_load_dwordx4 v[17:20], v[7:8], off offset:400
	s_waitcnt vmcnt(2)
	v_fma_mix_f32 v26, v11, v37, v26 op_sel_hi:[1,1,0]
	v_fma_mix_f32 v27, v13, v37, v27 op_sel_hi:[1,1,0]
	v_fma_mix_f32 v11, v11, v37, v26 op_sel:[1,1,0] op_sel_hi:[1,1,0]
	v_fma_mix_f32 v13, v13, v37, v27 op_sel:[1,1,0] op_sel_hi:[1,1,0]
	v_fma_mix_f32 v11, v12, v38, v11 op_sel_hi:[1,1,0]
	v_fma_mix_f32 v13, v14, v38, v13 op_sel_hi:[1,1,0]
	v_fma_mix_f32 v11, v12, v38, v11 op_sel:[1,1,0] op_sel_hi:[1,1,0]
	v_fma_mix_f32 v12, v14, v38, v13 op_sel:[1,1,0] op_sel_hi:[1,1,0]
	v_add_co_u32_e32 v7, vcc, 0x200, v7
	s_waitcnt vmcnt(1)
	v_fma_mix_f32 v6, v21, v39, v6 op_sel_hi:[1,1,0]
	v_fma_mix_f32 v13, v23, v39, v25 op_sel_hi:[1,1,0]
	v_addc_co_u32_e32 v8, vcc, 0, v8, vcc
	v_fma_mix_f32 v6, v21, v39, v6 op_sel:[1,1,0] op_sel_hi:[1,1,0]
	v_fma_mix_f32 v13, v23, v39, v13 op_sel:[1,1,0] op_sel_hi:[1,1,0]
	v_cmp_ge_i32_e32 vcc, v5, v10
	v_fma_mix_f32 v6, v22, v40, v6 op_sel_hi:[1,1,0]
	v_fma_mix_f32 v14, v24, v40, v13 op_sel_hi:[1,1,0]
	s_or_b64 s[10:11], vcc, s[10:11]
	v_fma_mix_f32 v13, v22, v40, v6 op_sel:[1,1,0] op_sel_hi:[1,1,0]
	v_fma_mix_f32 v14, v24, v40, v14 op_sel:[1,1,0] op_sel_hi:[1,1,0]
	s_waitcnt vmcnt(0)
	v_fma_mix_f32 v11, v17, v39, v11 op_sel_hi:[1,1,0]
	v_fma_mix_f32 v12, v19, v39, v12 op_sel_hi:[1,1,0]
	v_fma_mix_f32 v11, v17, v39, v11 op_sel:[1,1,0] op_sel_hi:[1,1,0]
	v_fma_mix_f32 v12, v19, v39, v12 op_sel:[1,1,0] op_sel_hi:[1,1,0]
	v_fma_mix_f32 v11, v18, v40, v11 op_sel_hi:[1,1,0]
	v_fma_mix_f32 v17, v20, v40, v12 op_sel_hi:[1,1,0]
	v_fma_mix_f32 v12, v18, v40, v11 op_sel:[1,1,0] op_sel_hi:[1,1,0]
	v_fma_mix_f32 v11, v20, v40, v17 op_sel:[1,1,0] op_sel_hi:[1,1,0]
	s_andn2_b64 exec, exec, s[10:11]
	s_cbranch_execnz .LBB90_21
; %bb.22:
	s_or_b64 exec, exec, s[10:11]
.LBB90_23:
	s_or_b64 exec, exec, s[2:3]
.LBB90_24:
	s_or_b64 exec, exec, s[8:9]
	s_cbranch_execz .LBB90_26
	s_branch .LBB90_37
.LBB90_25:
                                        ; implicit-def: $vgpr11
                                        ; implicit-def: $vgpr12
                                        ; implicit-def: $vgpr14
                                        ; implicit-def: $vgpr13
.LBB90_26:
	v_mov_b32_e32 v11, 0
	v_mov_b32_e32 v12, 0
	;; [unrolled: 1-line block ×4, first 2 shown]
	s_and_saveexec_b64 s[2:3], s[0:1]
	s_cbranch_execz .LBB90_36
; %bb.27:
	v_add_u32_e32 v1, v15, v9
	v_subrev_u32_e32 v1, s20, v1
	v_add_u32_e32 v1, 4, v1
	v_max_i32_e32 v1, v1, v10
	v_not_b32_e32 v5, v15
	v_add3_u32 v1, s20, v1, v5
	v_sub_u32_e32 v5, v1, v9
	v_and_b32_e32 v1, 12, v5
	v_cmp_ne_u32_e32 vcc, 12, v1
	v_mov_b32_e32 v13, 0
	v_mov_b32_e32 v14, 0
	;; [unrolled: 1-line block ×4, first 2 shown]
	s_and_saveexec_b64 s[8:9], vcc
	s_cbranch_execz .LBB90_31
; %bb.28:
	v_lshrrev_b32_e32 v1, 2, v5
	v_add_u32_e32 v1, 1, v1
	v_and_b32_e32 v1, 3, v1
	v_sub_u32_e32 v6, 0, v1
	v_mov_b32_e32 v11, 0
	s_mov_b64 s[10:11], 0
	v_mov_b32_e32 v7, s13
	v_mov_b32_e32 v8, s7
	;; [unrolled: 1-line block ×5, first 2 shown]
.LBB90_29:                              ; =>This Inner Loop Header: Depth=1
	v_ashrrev_i32_e32 v1, 31, v0
	v_lshlrev_b64 v[15:16], 2, v[0:1]
	v_add_co_u32_e64 v6, s[0:1], 1, v6
	v_add_co_u32_e32 v19, vcc, s12, v15
	v_addc_co_u32_e32 v20, vcc, v7, v16, vcc
	global_load_dword v1, v[19:20], off
	global_load_dwordx4 v[15:18], v[2:3], off
	v_add_u32_e32 v0, 4, v0
	s_or_b64 s[10:11], s[0:1], s[10:11]
	s_waitcnt vmcnt(1)
	v_subrev_u32_e32 v1, s20, v1
	v_lshlrev_b32_e32 v19, 2, v1
	v_ashrrev_i32_e32 v20, 31, v19
	v_lshlrev_b64 v[19:20], 1, v[19:20]
	v_add_co_u32_e32 v23, vcc, s6, v19
	v_addc_co_u32_e32 v24, vcc, v8, v20, vcc
	global_load_dwordx2 v[25:26], v[23:24], off
	global_load_dwordx4 v[19:22], v[2:3], off offset:16
	v_add_co_u32_e32 v2, vcc, 0x80, v2
	v_addc_co_u32_e32 v3, vcc, 0, v3, vcc
	s_waitcnt vmcnt(1)
	v_fma_mix_f32 v1, v15, v25, v13 op_sel_hi:[1,1,0]
	v_fma_mix_f32 v13, v15, v25, v14 op_sel:[1,0,0] op_sel_hi:[1,1,0]
	v_fma_mix_f32 v12, v16, v25, v12 op_sel_hi:[1,1,0]
	v_fma_mix_f32 v11, v16, v25, v11 op_sel:[1,0,0] op_sel_hi:[1,1,0]
	v_fma_mix_f32 v1, v17, v25, v1 op_sel:[0,1,0] op_sel_hi:[1,1,0]
	;; [unrolled: 1-line block ×5, first 2 shown]
	s_waitcnt vmcnt(0)
	v_fma_mix_f32 v1, v19, v26, v1 op_sel_hi:[1,1,0]
	v_fma_mix_f32 v14, v19, v26, v13 op_sel:[1,0,0] op_sel_hi:[1,1,0]
	v_fma_mix_f32 v12, v20, v26, v12 op_sel_hi:[1,1,0]
	v_fma_mix_f32 v11, v20, v26, v11 op_sel:[1,0,0] op_sel_hi:[1,1,0]
	v_fma_mix_f32 v13, v21, v26, v1 op_sel:[0,1,0] op_sel_hi:[1,1,0]
	;; [unrolled: 1-line block ×5, first 2 shown]
	s_andn2_b64 exec, exec, s[10:11]
	s_cbranch_execnz .LBB90_29
; %bb.30:
	s_or_b64 exec, exec, s[10:11]
.LBB90_31:
	s_or_b64 exec, exec, s[8:9]
	v_cmp_lt_u32_e32 vcc, 11, v5
	s_and_saveexec_b64 s[0:1], vcc
	s_cbranch_execz .LBB90_35
; %bb.32:
	s_mov_b64 s[8:9], 0
	v_mov_b32_e32 v5, s13
	v_mov_b32_e32 v6, s7
.LBB90_33:                              ; =>This Inner Loop Header: Depth=1
	v_ashrrev_i32_e32 v1, 31, v0
	v_lshlrev_b64 v[7:8], 2, v[0:1]
	global_load_dwordx4 v[15:18], v[2:3], off
	v_add_co_u32_e32 v7, vcc, s12, v7
	v_addc_co_u32_e32 v8, vcc, v5, v8, vcc
	global_load_dword v1, v[7:8], off
	global_load_dword v19, v[7:8], off offset:16
	global_load_dword v20, v[7:8], off offset:32
	;; [unrolled: 1-line block ×3, first 2 shown]
	v_add_u32_e32 v0, 16, v0
	s_waitcnt vmcnt(3)
	v_subrev_u32_e32 v1, s20, v1
	s_waitcnt vmcnt(2)
	v_subrev_u32_e32 v8, s20, v19
	v_lshlrev_b32_e32 v7, 2, v1
	v_lshlrev_b32_e32 v19, 2, v8
	v_ashrrev_i32_e32 v8, 31, v7
	s_waitcnt vmcnt(1)
	v_subrev_u32_e32 v20, s20, v20
	v_lshlrev_b64 v[7:8], 1, v[7:8]
	s_waitcnt vmcnt(0)
	v_subrev_u32_e32 v22, s20, v21
	v_lshlrev_b32_e32 v21, 2, v20
	v_ashrrev_i32_e32 v20, 31, v19
	v_lshlrev_b64 v[19:20], 1, v[19:20]
	v_add_co_u32_e32 v7, vcc, s6, v7
	v_lshlrev_b32_e32 v23, 2, v22
	v_ashrrev_i32_e32 v22, 31, v21
	v_addc_co_u32_e32 v8, vcc, v6, v8, vcc
	v_lshlrev_b64 v[21:22], 1, v[21:22]
	v_add_co_u32_e32 v25, vcc, s6, v19
	v_ashrrev_i32_e32 v24, 31, v23
	v_addc_co_u32_e32 v26, vcc, v6, v20, vcc
	v_lshlrev_b64 v[23:24], 1, v[23:24]
	v_add_co_u32_e32 v27, vcc, s6, v21
	v_addc_co_u32_e32 v28, vcc, v6, v22, vcc
	v_add_co_u32_e32 v23, vcc, s6, v23
	v_addc_co_u32_e32 v24, vcc, v6, v24, vcc
	global_load_dwordx4 v[19:22], v[2:3], off offset:16
	global_load_dwordx2 v[29:30], v[7:8], off
	global_load_dwordx2 v[31:32], v[25:26], off
	;; [unrolled: 1-line block ×4, first 2 shown]
	s_waitcnt vmcnt(3)
	v_fma_mix_f32 v11, v16, v29, v11 op_sel:[1,0,0] op_sel_hi:[1,1,0]
	v_fma_mix_f32 v1, v15, v29, v13 op_sel_hi:[1,1,0]
	v_fma_mix_f32 v7, v15, v29, v14 op_sel:[1,0,0] op_sel_hi:[1,1,0]
	v_fma_mix_f32 v8, v16, v29, v12 op_sel_hi:[1,1,0]
	v_fma_mix_f32 v15, v18, v29, v11 op_sel:[1,1,0] op_sel_hi:[1,1,0]
	global_load_dwordx4 v[11:14], v[2:3], off offset:128
	v_fma_mix_f32 v1, v17, v29, v1 op_sel:[0,1,0] op_sel_hi:[1,1,0]
	v_fma_mix_f32 v7, v17, v29, v7 op_sel:[1,1,0] op_sel_hi:[1,1,0]
	;; [unrolled: 1-line block ×4, first 2 shown]
	v_fma_mix_f32 v1, v19, v30, v1 op_sel_hi:[1,1,0]
	v_fma_mix_f32 v7, v19, v30, v7 op_sel:[1,0,0] op_sel_hi:[1,1,0]
	v_fma_mix_f32 v19, v22, v30, v15 op_sel:[1,1,0] op_sel_hi:[1,1,0]
	global_load_dwordx4 v[15:18], v[2:3], off offset:144
	v_fma_mix_f32 v8, v20, v30, v8 op_sel_hi:[1,1,0]
	v_fma_mix_f32 v1, v21, v30, v1 op_sel:[0,1,0] op_sel_hi:[1,1,0]
	v_fma_mix_f32 v7, v21, v30, v7 op_sel:[1,1,0] op_sel_hi:[1,1,0]
	;; [unrolled: 1-line block ×3, first 2 shown]
	s_waitcnt vmcnt(1)
	v_fma_mix_f32 v1, v11, v31, v1 op_sel_hi:[1,1,0]
	v_fma_mix_f32 v7, v11, v31, v7 op_sel:[1,0,0] op_sel_hi:[1,1,0]
	v_fma_mix_f32 v8, v12, v31, v8 op_sel_hi:[1,1,0]
	v_fma_mix_f32 v11, v12, v31, v19 op_sel:[1,0,0] op_sel_hi:[1,1,0]
	v_fma_mix_f32 v1, v13, v31, v1 op_sel:[0,1,0] op_sel_hi:[1,1,0]
	;; [unrolled: 1-line block ×5, first 2 shown]
	global_load_dwordx4 v[11:14], v[2:3], off offset:256
	s_waitcnt vmcnt(1)
	v_fma_mix_f32 v1, v15, v32, v1 op_sel_hi:[1,1,0]
	v_fma_mix_f32 v7, v15, v32, v7 op_sel:[1,0,0] op_sel_hi:[1,1,0]
	v_fma_mix_f32 v8, v16, v32, v8 op_sel_hi:[1,1,0]
	v_fma_mix_f32 v15, v16, v32, v19 op_sel:[1,0,0] op_sel_hi:[1,1,0]
	v_fma_mix_f32 v1, v17, v32, v1 op_sel:[0,1,0] op_sel_hi:[1,1,0]
	;; [unrolled: 1-line block ×5, first 2 shown]
	global_load_dwordx4 v[15:18], v[2:3], off offset:272
	global_load_dwordx4 v[19:22], v[2:3], off offset:384
	s_waitcnt vmcnt(2)
	v_fma_mix_f32 v1, v11, v33, v1 op_sel_hi:[1,1,0]
	v_fma_mix_f32 v7, v11, v33, v7 op_sel:[1,0,0] op_sel_hi:[1,1,0]
	v_fma_mix_f32 v11, v12, v33, v23 op_sel:[1,0,0] op_sel_hi:[1,1,0]
	global_load_dwordx4 v[23:26], v[2:3], off offset:400
	v_fma_mix_f32 v8, v12, v33, v8 op_sel_hi:[1,1,0]
	v_fma_mix_f32 v1, v13, v33, v1 op_sel:[0,1,0] op_sel_hi:[1,1,0]
	v_fma_mix_f32 v7, v13, v33, v7 op_sel:[1,1,0] op_sel_hi:[1,1,0]
	;; [unrolled: 1-line block ×4, first 2 shown]
	s_waitcnt vmcnt(2)
	v_fma_mix_f32 v1, v15, v34, v1 op_sel_hi:[1,1,0]
	v_fma_mix_f32 v7, v15, v34, v7 op_sel:[1,0,0] op_sel_hi:[1,1,0]
	v_fma_mix_f32 v8, v16, v34, v8 op_sel_hi:[1,1,0]
	v_fma_mix_f32 v11, v16, v34, v11 op_sel:[1,0,0] op_sel_hi:[1,1,0]
	v_fma_mix_f32 v1, v17, v34, v1 op_sel:[0,1,0] op_sel_hi:[1,1,0]
	;; [unrolled: 1-line block ×5, first 2 shown]
	v_add_co_u32_e32 v2, vcc, 0x200, v2
	s_waitcnt vmcnt(1)
	v_fma_mix_f32 v1, v19, v35, v1 op_sel_hi:[1,1,0]
	v_fma_mix_f32 v7, v19, v35, v7 op_sel:[1,0,0] op_sel_hi:[1,1,0]
	v_fma_mix_f32 v8, v20, v35, v8 op_sel_hi:[1,1,0]
	v_fma_mix_f32 v11, v20, v35, v11 op_sel:[1,0,0] op_sel_hi:[1,1,0]
	v_addc_co_u32_e32 v3, vcc, 0, v3, vcc
	v_fma_mix_f32 v1, v21, v35, v1 op_sel:[0,1,0] op_sel_hi:[1,1,0]
	v_fma_mix_f32 v7, v21, v35, v7 op_sel:[1,1,0] op_sel_hi:[1,1,0]
	v_fma_mix_f32 v8, v22, v35, v8 op_sel:[0,1,0] op_sel_hi:[1,1,0]
	v_fma_mix_f32 v11, v22, v35, v11 op_sel:[1,1,0] op_sel_hi:[1,1,0]
	v_cmp_ge_i32_e32 vcc, v0, v10
	s_or_b64 s[8:9], vcc, s[8:9]
	s_waitcnt vmcnt(0)
	v_fma_mix_f32 v1, v23, v36, v1 op_sel_hi:[1,1,0]
	v_fma_mix_f32 v7, v23, v36, v7 op_sel:[1,0,0] op_sel_hi:[1,1,0]
	v_fma_mix_f32 v8, v24, v36, v8 op_sel_hi:[1,1,0]
	v_fma_mix_f32 v11, v24, v36, v11 op_sel:[1,0,0] op_sel_hi:[1,1,0]
	v_fma_mix_f32 v13, v25, v36, v1 op_sel:[0,1,0] op_sel_hi:[1,1,0]
	;; [unrolled: 1-line block ×5, first 2 shown]
	s_andn2_b64 exec, exec, s[8:9]
	s_cbranch_execnz .LBB90_33
; %bb.34:
	s_or_b64 exec, exec, s[8:9]
.LBB90_35:
	s_or_b64 exec, exec, s[0:1]
.LBB90_36:
	s_or_b64 exec, exec, s[2:3]
.LBB90_37:
	v_mov_b32_dpp v0, v13 row_shr:1 row_mask:0xf bank_mask:0xf
	v_mov_b32_dpp v2, v14 row_shr:1 row_mask:0xf bank_mask:0xf
	v_mov_b32_dpp v5, v12 row_shr:1 row_mask:0xf bank_mask:0xf
	v_mov_b32_dpp v7, v11 row_shr:1 row_mask:0xf bank_mask:0xf
	v_add_f32_e32 v0, v13, v0
	v_add_f32_e32 v2, v14, v2
	;; [unrolled: 1-line block ×4, first 2 shown]
	v_mov_b32_dpp v1, v0 row_shr:2 row_mask:0xf bank_mask:0xf
	v_mov_b32_dpp v3, v2 row_shr:2 row_mask:0xf bank_mask:0xf
	;; [unrolled: 1-line block ×4, first 2 shown]
	v_cmp_eq_u32_e32 vcc, 3, v9
	s_and_b64 exec, exec, vcc
	s_cbranch_execz .LBB90_10
; %bb.38:
	s_load_dwordx2 s[0:1], s[4:5], 0x50
	v_add_f32_e32 v0, v0, v1
	v_add_f32_e32 v1, v2, v3
	;; [unrolled: 1-line block ×4, first 2 shown]
	v_cmp_eq_f32_e64 s[2:3], s16, 0
	s_and_b64 vcc, exec, s[2:3]
	v_mul_f32_e32 v0, s18, v0
	v_mul_f32_e32 v1, s18, v1
	;; [unrolled: 1-line block ×4, first 2 shown]
	v_lshlrev_b32_e32 v4, 2, v4
	s_cbranch_vccz .LBB90_40
; %bb.39:
	v_ashrrev_i32_e32 v5, 31, v4
	v_lshlrev_b64 v[5:6], 2, v[4:5]
	s_waitcnt lgkmcnt(0)
	v_mov_b32_e32 v7, s1
	v_add_co_u32_e32 v5, vcc, s0, v5
	v_addc_co_u32_e32 v6, vcc, v7, v6, vcc
	global_store_dwordx4 v[5:6], v[0:3], off
	s_cbranch_execnz .LBB90_10
	s_branch .LBB90_41
.LBB90_40:
.LBB90_41:
	v_ashrrev_i32_e32 v5, 31, v4
	v_lshlrev_b64 v[4:5], 2, v[4:5]
	s_waitcnt lgkmcnt(0)
	v_mov_b32_e32 v6, s1
	v_add_co_u32_e32 v8, vcc, s0, v4
	v_addc_co_u32_e32 v9, vcc, v6, v5, vcc
	global_load_dwordx4 v[4:7], v[8:9], off
	s_waitcnt vmcnt(0)
	v_fmac_f32_e32 v0, s16, v4
	v_fmac_f32_e32 v1, s16, v5
	;; [unrolled: 1-line block ×4, first 2 shown]
	global_store_dwordx4 v[8:9], v[0:3], off
	s_endpgm
	.section	.rodata,"a",@progbits
	.p2align	6, 0x0
	.amdhsa_kernel _ZN9rocsparseL18bsrxmvn_4x4_kernelILj128ELj4EfiiDF16_DF16_fEEvT3_20rocsparse_direction_NS_24const_host_device_scalarIT1_EES1_PKS1_PKT2_SA_S7_PKT4_PKT5_S5_PT6_21rocsparse_index_base_b
		.amdhsa_group_segment_fixed_size 0
		.amdhsa_private_segment_fixed_size 0
		.amdhsa_kernarg_size 96
		.amdhsa_user_sgpr_count 6
		.amdhsa_user_sgpr_private_segment_buffer 1
		.amdhsa_user_sgpr_dispatch_ptr 0
		.amdhsa_user_sgpr_queue_ptr 0
		.amdhsa_user_sgpr_kernarg_segment_ptr 1
		.amdhsa_user_sgpr_dispatch_id 0
		.amdhsa_user_sgpr_flat_scratch_init 0
		.amdhsa_user_sgpr_private_segment_size 0
		.amdhsa_uses_dynamic_stack 0
		.amdhsa_system_sgpr_private_segment_wavefront_offset 0
		.amdhsa_system_sgpr_workgroup_id_x 1
		.amdhsa_system_sgpr_workgroup_id_y 0
		.amdhsa_system_sgpr_workgroup_id_z 0
		.amdhsa_system_sgpr_workgroup_info 0
		.amdhsa_system_vgpr_workitem_id 0
		.amdhsa_next_free_vgpr 41
		.amdhsa_next_free_sgpr 22
		.amdhsa_reserve_vcc 1
		.amdhsa_reserve_flat_scratch 0
		.amdhsa_float_round_mode_32 0
		.amdhsa_float_round_mode_16_64 0
		.amdhsa_float_denorm_mode_32 3
		.amdhsa_float_denorm_mode_16_64 3
		.amdhsa_dx10_clamp 1
		.amdhsa_ieee_mode 1
		.amdhsa_fp16_overflow 0
		.amdhsa_exception_fp_ieee_invalid_op 0
		.amdhsa_exception_fp_denorm_src 0
		.amdhsa_exception_fp_ieee_div_zero 0
		.amdhsa_exception_fp_ieee_overflow 0
		.amdhsa_exception_fp_ieee_underflow 0
		.amdhsa_exception_fp_ieee_inexact 0
		.amdhsa_exception_int_div_zero 0
	.end_amdhsa_kernel
	.section	.text._ZN9rocsparseL18bsrxmvn_4x4_kernelILj128ELj4EfiiDF16_DF16_fEEvT3_20rocsparse_direction_NS_24const_host_device_scalarIT1_EES1_PKS1_PKT2_SA_S7_PKT4_PKT5_S5_PT6_21rocsparse_index_base_b,"axG",@progbits,_ZN9rocsparseL18bsrxmvn_4x4_kernelILj128ELj4EfiiDF16_DF16_fEEvT3_20rocsparse_direction_NS_24const_host_device_scalarIT1_EES1_PKS1_PKT2_SA_S7_PKT4_PKT5_S5_PT6_21rocsparse_index_base_b,comdat
.Lfunc_end90:
	.size	_ZN9rocsparseL18bsrxmvn_4x4_kernelILj128ELj4EfiiDF16_DF16_fEEvT3_20rocsparse_direction_NS_24const_host_device_scalarIT1_EES1_PKS1_PKT2_SA_S7_PKT4_PKT5_S5_PT6_21rocsparse_index_base_b, .Lfunc_end90-_ZN9rocsparseL18bsrxmvn_4x4_kernelILj128ELj4EfiiDF16_DF16_fEEvT3_20rocsparse_direction_NS_24const_host_device_scalarIT1_EES1_PKS1_PKT2_SA_S7_PKT4_PKT5_S5_PT6_21rocsparse_index_base_b
                                        ; -- End function
	.set _ZN9rocsparseL18bsrxmvn_4x4_kernelILj128ELj4EfiiDF16_DF16_fEEvT3_20rocsparse_direction_NS_24const_host_device_scalarIT1_EES1_PKS1_PKT2_SA_S7_PKT4_PKT5_S5_PT6_21rocsparse_index_base_b.num_vgpr, 41
	.set _ZN9rocsparseL18bsrxmvn_4x4_kernelILj128ELj4EfiiDF16_DF16_fEEvT3_20rocsparse_direction_NS_24const_host_device_scalarIT1_EES1_PKS1_PKT2_SA_S7_PKT4_PKT5_S5_PT6_21rocsparse_index_base_b.num_agpr, 0
	.set _ZN9rocsparseL18bsrxmvn_4x4_kernelILj128ELj4EfiiDF16_DF16_fEEvT3_20rocsparse_direction_NS_24const_host_device_scalarIT1_EES1_PKS1_PKT2_SA_S7_PKT4_PKT5_S5_PT6_21rocsparse_index_base_b.numbered_sgpr, 22
	.set _ZN9rocsparseL18bsrxmvn_4x4_kernelILj128ELj4EfiiDF16_DF16_fEEvT3_20rocsparse_direction_NS_24const_host_device_scalarIT1_EES1_PKS1_PKT2_SA_S7_PKT4_PKT5_S5_PT6_21rocsparse_index_base_b.num_named_barrier, 0
	.set _ZN9rocsparseL18bsrxmvn_4x4_kernelILj128ELj4EfiiDF16_DF16_fEEvT3_20rocsparse_direction_NS_24const_host_device_scalarIT1_EES1_PKS1_PKT2_SA_S7_PKT4_PKT5_S5_PT6_21rocsparse_index_base_b.private_seg_size, 0
	.set _ZN9rocsparseL18bsrxmvn_4x4_kernelILj128ELj4EfiiDF16_DF16_fEEvT3_20rocsparse_direction_NS_24const_host_device_scalarIT1_EES1_PKS1_PKT2_SA_S7_PKT4_PKT5_S5_PT6_21rocsparse_index_base_b.uses_vcc, 1
	.set _ZN9rocsparseL18bsrxmvn_4x4_kernelILj128ELj4EfiiDF16_DF16_fEEvT3_20rocsparse_direction_NS_24const_host_device_scalarIT1_EES1_PKS1_PKT2_SA_S7_PKT4_PKT5_S5_PT6_21rocsparse_index_base_b.uses_flat_scratch, 0
	.set _ZN9rocsparseL18bsrxmvn_4x4_kernelILj128ELj4EfiiDF16_DF16_fEEvT3_20rocsparse_direction_NS_24const_host_device_scalarIT1_EES1_PKS1_PKT2_SA_S7_PKT4_PKT5_S5_PT6_21rocsparse_index_base_b.has_dyn_sized_stack, 0
	.set _ZN9rocsparseL18bsrxmvn_4x4_kernelILj128ELj4EfiiDF16_DF16_fEEvT3_20rocsparse_direction_NS_24const_host_device_scalarIT1_EES1_PKS1_PKT2_SA_S7_PKT4_PKT5_S5_PT6_21rocsparse_index_base_b.has_recursion, 0
	.set _ZN9rocsparseL18bsrxmvn_4x4_kernelILj128ELj4EfiiDF16_DF16_fEEvT3_20rocsparse_direction_NS_24const_host_device_scalarIT1_EES1_PKS1_PKT2_SA_S7_PKT4_PKT5_S5_PT6_21rocsparse_index_base_b.has_indirect_call, 0
	.section	.AMDGPU.csdata,"",@progbits
; Kernel info:
; codeLenInByte = 3284
; TotalNumSgprs: 26
; NumVgprs: 41
; ScratchSize: 0
; MemoryBound: 0
; FloatMode: 240
; IeeeMode: 1
; LDSByteSize: 0 bytes/workgroup (compile time only)
; SGPRBlocks: 3
; VGPRBlocks: 10
; NumSGPRsForWavesPerEU: 26
; NumVGPRsForWavesPerEU: 41
; Occupancy: 5
; WaveLimiterHint : 1
; COMPUTE_PGM_RSRC2:SCRATCH_EN: 0
; COMPUTE_PGM_RSRC2:USER_SGPR: 6
; COMPUTE_PGM_RSRC2:TRAP_HANDLER: 0
; COMPUTE_PGM_RSRC2:TGID_X_EN: 1
; COMPUTE_PGM_RSRC2:TGID_Y_EN: 0
; COMPUTE_PGM_RSRC2:TGID_Z_EN: 0
; COMPUTE_PGM_RSRC2:TIDIG_COMP_CNT: 0
	.section	.text._ZN9rocsparseL18bsrxmvn_4x4_kernelILj128ELj8EfiiDF16_DF16_fEEvT3_20rocsparse_direction_NS_24const_host_device_scalarIT1_EES1_PKS1_PKT2_SA_S7_PKT4_PKT5_S5_PT6_21rocsparse_index_base_b,"axG",@progbits,_ZN9rocsparseL18bsrxmvn_4x4_kernelILj128ELj8EfiiDF16_DF16_fEEvT3_20rocsparse_direction_NS_24const_host_device_scalarIT1_EES1_PKS1_PKT2_SA_S7_PKT4_PKT5_S5_PT6_21rocsparse_index_base_b,comdat
	.globl	_ZN9rocsparseL18bsrxmvn_4x4_kernelILj128ELj8EfiiDF16_DF16_fEEvT3_20rocsparse_direction_NS_24const_host_device_scalarIT1_EES1_PKS1_PKT2_SA_S7_PKT4_PKT5_S5_PT6_21rocsparse_index_base_b ; -- Begin function _ZN9rocsparseL18bsrxmvn_4x4_kernelILj128ELj8EfiiDF16_DF16_fEEvT3_20rocsparse_direction_NS_24const_host_device_scalarIT1_EES1_PKS1_PKT2_SA_S7_PKT4_PKT5_S5_PT6_21rocsparse_index_base_b
	.p2align	8
	.type	_ZN9rocsparseL18bsrxmvn_4x4_kernelILj128ELj8EfiiDF16_DF16_fEEvT3_20rocsparse_direction_NS_24const_host_device_scalarIT1_EES1_PKS1_PKT2_SA_S7_PKT4_PKT5_S5_PT6_21rocsparse_index_base_b,@function
_ZN9rocsparseL18bsrxmvn_4x4_kernelILj128ELj8EfiiDF16_DF16_fEEvT3_20rocsparse_direction_NS_24const_host_device_scalarIT1_EES1_PKS1_PKT2_SA_S7_PKT4_PKT5_S5_PT6_21rocsparse_index_base_b: ; @_ZN9rocsparseL18bsrxmvn_4x4_kernelILj128ELj8EfiiDF16_DF16_fEEvT3_20rocsparse_direction_NS_24const_host_device_scalarIT1_EES1_PKS1_PKT2_SA_S7_PKT4_PKT5_S5_PT6_21rocsparse_index_base_b
; %bb.0:
	s_load_dwordx2 s[20:21], s[4:5], 0x58
	s_load_dwordx2 s[18:19], s[4:5], 0x8
	s_load_dwordx2 s[16:17], s[4:5], 0x48
	s_waitcnt lgkmcnt(0)
	s_bitcmp1_b32 s21, 0
	s_cselect_b64 s[2:3], -1, 0
	s_xor_b64 s[0:1], s[2:3], -1
	s_and_b64 vcc, exec, s[2:3]
	s_cbranch_vccnz .LBB91_2
; %bb.1:
	s_load_dword s18, s[18:19], 0x0
.LBB91_2:
	s_andn2_b64 vcc, exec, s[0:1]
	s_cbranch_vccnz .LBB91_4
; %bb.3:
	s_load_dword s16, s[16:17], 0x0
.LBB91_4:
	s_waitcnt lgkmcnt(0)
	v_cmp_neq_f32_e64 s[0:1], s18, 0
	v_cmp_neq_f32_e64 s[2:3], s16, 1.0
	s_or_b64 s[0:1], s[0:1], s[2:3]
	s_andn2_b64 vcc, exec, s[0:1]
	s_cbranch_vccnz .LBB91_10
; %bb.5:
	s_load_dwordx2 s[8:9], s[4:5], 0x18
	s_load_dwordx2 s[0:1], s[4:5], 0x0
	v_lshrrev_b32_e32 v1, 3, v0
	v_lshl_or_b32 v4, s6, 4, v1
	s_mov_b64 s[2:3], 0
	s_waitcnt lgkmcnt(0)
	s_cmp_lg_u64 s[8:9], 0
	s_cbranch_scc0 .LBB91_11
; %bb.6:
	s_load_dword s6, s[4:5], 0x10
                                        ; implicit-def: $vgpr1
	s_waitcnt lgkmcnt(0)
	v_cmp_gt_i32_e32 vcc, s6, v4
	s_and_saveexec_b64 s[6:7], vcc
	s_xor_b64 s[6:7], exec, s[6:7]
	s_cbranch_execz .LBB91_8
; %bb.7:
	v_ashrrev_i32_e32 v5, 31, v4
	v_lshlrev_b64 v[1:2], 2, v[4:5]
	v_mov_b32_e32 v3, s9
	v_add_co_u32_e32 v1, vcc, s8, v1
	v_addc_co_u32_e32 v2, vcc, v3, v2, vcc
	global_load_dword v1, v[1:2], off
	s_mov_b64 s[2:3], exec
	s_waitcnt vmcnt(0)
	v_subrev_u32_e32 v1, s20, v1
.LBB91_8:
	s_or_b64 exec, exec, s[6:7]
	s_branch .LBB91_12
.LBB91_9:
	v_cmp_gt_i32_e32 vcc, s0, v4
	s_andn2_b64 s[2:3], s[2:3], exec
	s_and_b64 s[6:7], vcc, exec
	s_or_b64 s[2:3], s[2:3], s[6:7]
	s_and_saveexec_b64 s[6:7], s[2:3]
	s_cbranch_execnz .LBB91_13
.LBB91_10:
	s_endpgm
.LBB91_11:
                                        ; implicit-def: $vgpr1
	s_cbranch_execnz .LBB91_9
.LBB91_12:
	v_mov_b32_e32 v4, v1
	s_and_saveexec_b64 s[6:7], s[2:3]
	s_cbranch_execz .LBB91_10
.LBB91_13:
	s_load_dwordx8 s[8:15], s[4:5], 0x20
	v_ashrrev_i32_e32 v5, 31, v4
	v_lshlrev_b64 v[1:2], 2, v[4:5]
	v_and_b32_e32 v9, 7, v0
	s_load_dwordx2 s[6:7], s[4:5], 0x40
	s_waitcnt lgkmcnt(0)
	v_mov_b32_e32 v3, s9
	v_add_co_u32_e32 v5, vcc, s8, v1
	v_addc_co_u32_e32 v6, vcc, v3, v2, vcc
	v_add_co_u32_e32 v3, vcc, 4, v5
	global_load_dword v15, v[5:6], off
	v_addc_co_u32_e32 v5, vcc, 0, v6, vcc
	v_mov_b32_e32 v6, s11
	v_add_co_u32_e32 v1, vcc, s10, v1
	s_cmp_eq_u64 s[10:11], 0
	v_addc_co_u32_e32 v2, vcc, v6, v2, vcc
	s_cselect_b64 vcc, -1, 0
	v_cndmask_b32_e32 v2, v2, v5, vcc
	v_cndmask_b32_e32 v1, v1, v3, vcc
	global_load_dword v1, v[1:2], off
	v_mov_b32_e32 v5, s15
	s_cmp_eq_u32 s1, 1
	s_waitcnt vmcnt(1)
	v_subrev_u32_e32 v0, s20, v15
	v_add_u32_e32 v0, v0, v9
	s_waitcnt vmcnt(0)
	v_subrev_u32_e32 v10, s20, v1
	v_ashrrev_i32_e32 v1, 31, v0
	v_lshlrev_b64 v[2:3], 5, v[0:1]
	v_cmp_lt_i32_e64 s[0:1], v0, v10
	v_add_co_u32_e32 v2, vcc, s14, v2
	v_addc_co_u32_e32 v3, vcc, v5, v3, vcc
	s_cbranch_scc1 .LBB91_25
; %bb.14:
	v_mov_b32_e32 v11, 0
	v_mov_b32_e32 v12, 0
	;; [unrolled: 1-line block ×4, first 2 shown]
	s_and_saveexec_b64 s[8:9], s[0:1]
	s_cbranch_execz .LBB91_24
; %bb.15:
	v_add_u32_e32 v1, v15, v9
	v_subrev_u32_e32 v1, s20, v1
	v_add_u32_e32 v1, 8, v1
	v_max_i32_e32 v1, v1, v10
	v_not_b32_e32 v5, v15
	v_add3_u32 v1, s20, v1, v5
	v_sub_u32_e32 v1, v1, v9
	v_and_b32_e32 v5, 24, v1
	v_mov_b32_e32 v8, v3
	v_cmp_ne_u32_e32 vcc, 24, v5
	v_mov_b32_e32 v13, 0
	v_mov_b32_e32 v14, 0
	v_mov_b32_e32 v12, 0
	v_mov_b32_e32 v11, 0
	v_mov_b32_e32 v5, v0
	v_mov_b32_e32 v7, v2
	s_and_saveexec_b64 s[10:11], vcc
	s_cbranch_execz .LBB91_19
; %bb.16:
	v_lshrrev_b32_e32 v5, 3, v1
	v_add_u32_e32 v5, 1, v5
	v_and_b32_e32 v5, 3, v5
	v_mov_b32_e32 v8, v3
	v_sub_u32_e32 v16, 0, v5
	v_mov_b32_e32 v11, 0
	s_mov_b64 s[14:15], 0
	v_mov_b32_e32 v17, s13
	v_mov_b32_e32 v18, s7
	;; [unrolled: 1-line block ×7, first 2 shown]
.LBB91_17:                              ; =>This Inner Loop Header: Depth=1
	v_ashrrev_i32_e32 v6, 31, v5
	v_lshlrev_b64 v[19:20], 2, v[5:6]
	v_add_co_u32_e64 v16, s[2:3], 1, v16
	v_add_co_u32_e32 v27, vcc, s12, v19
	v_addc_co_u32_e32 v28, vcc, v17, v20, vcc
	global_load_dword v6, v[27:28], off
	global_load_dwordx4 v[19:22], v[7:8], off
	global_load_dwordx4 v[23:26], v[7:8], off offset:16
	v_add_u32_e32 v5, 8, v5
	s_or_b64 s[14:15], s[2:3], s[14:15]
	s_waitcnt vmcnt(2)
	v_subrev_u32_e32 v6, s20, v6
	v_lshlrev_b32_e32 v27, 2, v6
	v_ashrrev_i32_e32 v28, 31, v27
	v_lshlrev_b64 v[27:28], 1, v[27:28]
	v_add_co_u32_e32 v27, vcc, s6, v27
	v_addc_co_u32_e32 v28, vcc, v18, v28, vcc
	global_load_dwordx2 v[27:28], v[27:28], off
	v_add_co_u32_e32 v7, vcc, 0x100, v7
	v_addc_co_u32_e32 v8, vcc, 0, v8, vcc
	s_waitcnt vmcnt(0)
	v_fma_mix_f32 v6, v19, v27, v13 op_sel_hi:[1,1,0]
	v_fma_mix_f32 v13, v21, v27, v14 op_sel_hi:[1,1,0]
	;; [unrolled: 1-line block ×4, first 2 shown]
	v_fma_mix_f32 v6, v19, v27, v6 op_sel:[1,1,0] op_sel_hi:[1,1,0]
	v_fma_mix_f32 v13, v21, v27, v13 op_sel:[1,1,0] op_sel_hi:[1,1,0]
	;; [unrolled: 1-line block ×4, first 2 shown]
	v_fma_mix_f32 v6, v20, v28, v6 op_sel_hi:[1,1,0]
	v_fma_mix_f32 v14, v22, v28, v13 op_sel_hi:[1,1,0]
	;; [unrolled: 1-line block ×4, first 2 shown]
	v_fma_mix_f32 v13, v20, v28, v6 op_sel:[1,1,0] op_sel_hi:[1,1,0]
	v_fma_mix_f32 v14, v22, v28, v14 op_sel:[1,1,0] op_sel_hi:[1,1,0]
	;; [unrolled: 1-line block ×4, first 2 shown]
	s_andn2_b64 exec, exec, s[14:15]
	s_cbranch_execnz .LBB91_17
; %bb.18:
	s_or_b64 exec, exec, s[14:15]
.LBB91_19:
	s_or_b64 exec, exec, s[10:11]
	v_cmp_lt_u32_e32 vcc, 23, v1
	s_and_saveexec_b64 s[2:3], vcc
	s_cbranch_execz .LBB91_23
; %bb.20:
	s_mov_b64 s[10:11], 0
	v_mov_b32_e32 v1, s13
	v_mov_b32_e32 v16, s7
.LBB91_21:                              ; =>This Inner Loop Header: Depth=1
	v_ashrrev_i32_e32 v6, 31, v5
	v_lshlrev_b64 v[21:22], 2, v[5:6]
	global_load_dwordx4 v[17:20], v[7:8], off
	v_add_co_u32_e32 v21, vcc, s12, v21
	v_addc_co_u32_e32 v22, vcc, v1, v22, vcc
	global_load_dword v6, v[21:22], off
	global_load_dword v23, v[21:22], off offset:32
	global_load_dword v24, v[21:22], off offset:64
	;; [unrolled: 1-line block ×3, first 2 shown]
	v_add_u32_e32 v5, 32, v5
	s_waitcnt vmcnt(3)
	v_subrev_u32_e32 v6, s20, v6
	s_waitcnt vmcnt(2)
	v_subrev_u32_e32 v22, s20, v23
	v_lshlrev_b32_e32 v21, 2, v6
	v_lshlrev_b32_e32 v23, 2, v22
	v_ashrrev_i32_e32 v22, 31, v21
	s_waitcnt vmcnt(1)
	v_subrev_u32_e32 v24, s20, v24
	v_lshlrev_b64 v[21:22], 1, v[21:22]
	s_waitcnt vmcnt(0)
	v_subrev_u32_e32 v26, s20, v25
	v_lshlrev_b32_e32 v25, 2, v24
	v_ashrrev_i32_e32 v24, 31, v23
	v_lshlrev_b64 v[23:24], 1, v[23:24]
	v_add_co_u32_e32 v29, vcc, s6, v21
	v_lshlrev_b32_e32 v27, 2, v26
	v_ashrrev_i32_e32 v26, 31, v25
	v_addc_co_u32_e32 v30, vcc, v16, v22, vcc
	v_lshlrev_b64 v[25:26], 1, v[25:26]
	v_add_co_u32_e32 v31, vcc, s6, v23
	v_ashrrev_i32_e32 v28, 31, v27
	v_addc_co_u32_e32 v32, vcc, v16, v24, vcc
	v_lshlrev_b64 v[27:28], 1, v[27:28]
	v_add_co_u32_e32 v25, vcc, s6, v25
	v_addc_co_u32_e32 v26, vcc, v16, v26, vcc
	v_add_co_u32_e32 v27, vcc, s6, v27
	v_addc_co_u32_e32 v28, vcc, v16, v28, vcc
	global_load_dwordx4 v[21:24], v[7:8], off offset:16
	global_load_dwordx2 v[33:34], v[29:30], off
	global_load_dwordx2 v[35:36], v[31:32], off
	;; [unrolled: 1-line block ×4, first 2 shown]
	s_waitcnt vmcnt(3)
	v_fma_mix_f32 v6, v17, v33, v13 op_sel_hi:[1,1,0]
	v_fma_mix_f32 v13, v19, v33, v14 op_sel_hi:[1,1,0]
	v_fma_mix_f32 v6, v17, v33, v6 op_sel:[1,1,0] op_sel_hi:[1,1,0]
	v_fma_mix_f32 v13, v19, v33, v13 op_sel:[1,1,0] op_sel_hi:[1,1,0]
	v_fma_mix_f32 v6, v18, v34, v6 op_sel_hi:[1,1,0]
	v_fma_mix_f32 v13, v20, v34, v13 op_sel_hi:[1,1,0]
	v_fma_mix_f32 v6, v18, v34, v6 op_sel:[1,1,0] op_sel_hi:[1,1,0]
	v_fma_mix_f32 v25, v20, v34, v13 op_sel:[1,1,0] op_sel_hi:[1,1,0]
	global_load_dwordx4 v[17:20], v[7:8], off offset:256
	v_fma_mix_f32 v12, v21, v33, v12 op_sel_hi:[1,1,0]
	v_fma_mix_f32 v11, v23, v33, v11 op_sel_hi:[1,1,0]
	v_fma_mix_f32 v12, v21, v33, v12 op_sel:[1,1,0] op_sel_hi:[1,1,0]
	v_fma_mix_f32 v11, v23, v33, v11 op_sel:[1,1,0] op_sel_hi:[1,1,0]
	v_fma_mix_f32 v12, v22, v34, v12 op_sel_hi:[1,1,0]
	v_fma_mix_f32 v11, v24, v34, v11 op_sel_hi:[1,1,0]
	v_fma_mix_f32 v21, v22, v34, v12 op_sel:[1,1,0] op_sel_hi:[1,1,0]
	v_fma_mix_f32 v22, v24, v34, v11 op_sel:[1,1,0] op_sel_hi:[1,1,0]
	global_load_dwordx4 v[11:14], v[7:8], off offset:272
	s_waitcnt vmcnt(1)
	v_fma_mix_f32 v6, v17, v35, v6 op_sel_hi:[1,1,0]
	v_fma_mix_f32 v23, v19, v35, v25 op_sel_hi:[1,1,0]
	v_fma_mix_f32 v6, v17, v35, v6 op_sel:[1,1,0] op_sel_hi:[1,1,0]
	v_fma_mix_f32 v17, v19, v35, v23 op_sel:[1,1,0] op_sel_hi:[1,1,0]
	v_fma_mix_f32 v6, v18, v36, v6 op_sel_hi:[1,1,0]
	v_fma_mix_f32 v17, v20, v36, v17 op_sel_hi:[1,1,0]
	v_fma_mix_f32 v6, v18, v36, v6 op_sel:[1,1,0] op_sel_hi:[1,1,0]
	v_fma_mix_f32 v25, v20, v36, v17 op_sel:[1,1,0] op_sel_hi:[1,1,0]
	global_load_dwordx4 v[17:20], v[7:8], off offset:512
	s_waitcnt vmcnt(1)
	v_fma_mix_f32 v21, v11, v35, v21 op_sel_hi:[1,1,0]
	v_fma_mix_f32 v22, v13, v35, v22 op_sel_hi:[1,1,0]
	v_fma_mix_f32 v11, v11, v35, v21 op_sel:[1,1,0] op_sel_hi:[1,1,0]
	v_fma_mix_f32 v13, v13, v35, v22 op_sel:[1,1,0] op_sel_hi:[1,1,0]
	v_fma_mix_f32 v11, v12, v36, v11 op_sel_hi:[1,1,0]
	v_fma_mix_f32 v13, v14, v36, v13 op_sel_hi:[1,1,0]
	v_fma_mix_f32 v26, v12, v36, v11 op_sel:[1,1,0] op_sel_hi:[1,1,0]
	v_fma_mix_f32 v27, v14, v36, v13 op_sel:[1,1,0] op_sel_hi:[1,1,0]
	global_load_dwordx4 v[11:14], v[7:8], off offset:528
	global_load_dwordx4 v[21:24], v[7:8], off offset:768
	s_waitcnt vmcnt(2)
	v_fma_mix_f32 v6, v17, v37, v6 op_sel_hi:[1,1,0]
	v_fma_mix_f32 v25, v19, v37, v25 op_sel_hi:[1,1,0]
	v_fma_mix_f32 v6, v17, v37, v6 op_sel:[1,1,0] op_sel_hi:[1,1,0]
	v_fma_mix_f32 v17, v19, v37, v25 op_sel:[1,1,0] op_sel_hi:[1,1,0]
	v_fma_mix_f32 v6, v18, v38, v6 op_sel_hi:[1,1,0]
	v_fma_mix_f32 v17, v20, v38, v17 op_sel_hi:[1,1,0]
	v_fma_mix_f32 v6, v18, v38, v6 op_sel:[1,1,0] op_sel_hi:[1,1,0]
	v_fma_mix_f32 v25, v20, v38, v17 op_sel:[1,1,0] op_sel_hi:[1,1,0]
	global_load_dwordx4 v[17:20], v[7:8], off offset:784
	s_waitcnt vmcnt(2)
	v_fma_mix_f32 v26, v11, v37, v26 op_sel_hi:[1,1,0]
	v_fma_mix_f32 v27, v13, v37, v27 op_sel_hi:[1,1,0]
	v_fma_mix_f32 v11, v11, v37, v26 op_sel:[1,1,0] op_sel_hi:[1,1,0]
	v_fma_mix_f32 v13, v13, v37, v27 op_sel:[1,1,0] op_sel_hi:[1,1,0]
	v_fma_mix_f32 v11, v12, v38, v11 op_sel_hi:[1,1,0]
	v_fma_mix_f32 v13, v14, v38, v13 op_sel_hi:[1,1,0]
	v_fma_mix_f32 v11, v12, v38, v11 op_sel:[1,1,0] op_sel_hi:[1,1,0]
	v_fma_mix_f32 v12, v14, v38, v13 op_sel:[1,1,0] op_sel_hi:[1,1,0]
	v_add_co_u32_e32 v7, vcc, 0x400, v7
	s_waitcnt vmcnt(1)
	v_fma_mix_f32 v6, v21, v39, v6 op_sel_hi:[1,1,0]
	v_fma_mix_f32 v13, v23, v39, v25 op_sel_hi:[1,1,0]
	v_addc_co_u32_e32 v8, vcc, 0, v8, vcc
	v_fma_mix_f32 v6, v21, v39, v6 op_sel:[1,1,0] op_sel_hi:[1,1,0]
	v_fma_mix_f32 v13, v23, v39, v13 op_sel:[1,1,0] op_sel_hi:[1,1,0]
	v_cmp_ge_i32_e32 vcc, v5, v10
	v_fma_mix_f32 v6, v22, v40, v6 op_sel_hi:[1,1,0]
	v_fma_mix_f32 v14, v24, v40, v13 op_sel_hi:[1,1,0]
	s_or_b64 s[10:11], vcc, s[10:11]
	v_fma_mix_f32 v13, v22, v40, v6 op_sel:[1,1,0] op_sel_hi:[1,1,0]
	v_fma_mix_f32 v14, v24, v40, v14 op_sel:[1,1,0] op_sel_hi:[1,1,0]
	s_waitcnt vmcnt(0)
	v_fma_mix_f32 v11, v17, v39, v11 op_sel_hi:[1,1,0]
	v_fma_mix_f32 v12, v19, v39, v12 op_sel_hi:[1,1,0]
	v_fma_mix_f32 v11, v17, v39, v11 op_sel:[1,1,0] op_sel_hi:[1,1,0]
	v_fma_mix_f32 v12, v19, v39, v12 op_sel:[1,1,0] op_sel_hi:[1,1,0]
	v_fma_mix_f32 v11, v18, v40, v11 op_sel_hi:[1,1,0]
	v_fma_mix_f32 v17, v20, v40, v12 op_sel_hi:[1,1,0]
	v_fma_mix_f32 v12, v18, v40, v11 op_sel:[1,1,0] op_sel_hi:[1,1,0]
	v_fma_mix_f32 v11, v20, v40, v17 op_sel:[1,1,0] op_sel_hi:[1,1,0]
	s_andn2_b64 exec, exec, s[10:11]
	s_cbranch_execnz .LBB91_21
; %bb.22:
	s_or_b64 exec, exec, s[10:11]
.LBB91_23:
	s_or_b64 exec, exec, s[2:3]
.LBB91_24:
	s_or_b64 exec, exec, s[8:9]
	s_cbranch_execz .LBB91_26
	s_branch .LBB91_37
.LBB91_25:
                                        ; implicit-def: $vgpr11
                                        ; implicit-def: $vgpr12
                                        ; implicit-def: $vgpr14
                                        ; implicit-def: $vgpr13
.LBB91_26:
	v_mov_b32_e32 v11, 0
	v_mov_b32_e32 v12, 0
	;; [unrolled: 1-line block ×4, first 2 shown]
	s_and_saveexec_b64 s[2:3], s[0:1]
	s_cbranch_execz .LBB91_36
; %bb.27:
	v_add_u32_e32 v1, v15, v9
	v_subrev_u32_e32 v1, s20, v1
	v_add_u32_e32 v1, 8, v1
	v_max_i32_e32 v1, v1, v10
	v_not_b32_e32 v5, v15
	v_add3_u32 v1, s20, v1, v5
	v_sub_u32_e32 v5, v1, v9
	v_and_b32_e32 v1, 24, v5
	v_cmp_ne_u32_e32 vcc, 24, v1
	v_mov_b32_e32 v13, 0
	v_mov_b32_e32 v14, 0
	;; [unrolled: 1-line block ×4, first 2 shown]
	s_and_saveexec_b64 s[8:9], vcc
	s_cbranch_execz .LBB91_31
; %bb.28:
	v_lshrrev_b32_e32 v1, 3, v5
	v_add_u32_e32 v1, 1, v1
	v_and_b32_e32 v1, 3, v1
	v_sub_u32_e32 v6, 0, v1
	v_mov_b32_e32 v11, 0
	s_mov_b64 s[10:11], 0
	v_mov_b32_e32 v7, s13
	v_mov_b32_e32 v8, s7
	v_mov_b32_e32 v12, 0
	v_mov_b32_e32 v14, 0
	v_mov_b32_e32 v13, 0
.LBB91_29:                              ; =>This Inner Loop Header: Depth=1
	v_ashrrev_i32_e32 v1, 31, v0
	v_lshlrev_b64 v[15:16], 2, v[0:1]
	v_add_co_u32_e64 v6, s[0:1], 1, v6
	v_add_co_u32_e32 v19, vcc, s12, v15
	v_addc_co_u32_e32 v20, vcc, v7, v16, vcc
	global_load_dword v1, v[19:20], off
	global_load_dwordx4 v[15:18], v[2:3], off
	v_add_u32_e32 v0, 8, v0
	s_or_b64 s[10:11], s[0:1], s[10:11]
	s_waitcnt vmcnt(1)
	v_subrev_u32_e32 v1, s20, v1
	v_lshlrev_b32_e32 v19, 2, v1
	v_ashrrev_i32_e32 v20, 31, v19
	v_lshlrev_b64 v[19:20], 1, v[19:20]
	v_add_co_u32_e32 v23, vcc, s6, v19
	v_addc_co_u32_e32 v24, vcc, v8, v20, vcc
	global_load_dwordx2 v[25:26], v[23:24], off
	global_load_dwordx4 v[19:22], v[2:3], off offset:16
	v_add_co_u32_e32 v2, vcc, 0x100, v2
	v_addc_co_u32_e32 v3, vcc, 0, v3, vcc
	s_waitcnt vmcnt(1)
	v_fma_mix_f32 v1, v15, v25, v13 op_sel_hi:[1,1,0]
	v_fma_mix_f32 v13, v15, v25, v14 op_sel:[1,0,0] op_sel_hi:[1,1,0]
	v_fma_mix_f32 v12, v16, v25, v12 op_sel_hi:[1,1,0]
	v_fma_mix_f32 v11, v16, v25, v11 op_sel:[1,0,0] op_sel_hi:[1,1,0]
	v_fma_mix_f32 v1, v17, v25, v1 op_sel:[0,1,0] op_sel_hi:[1,1,0]
	;; [unrolled: 1-line block ×5, first 2 shown]
	s_waitcnt vmcnt(0)
	v_fma_mix_f32 v1, v19, v26, v1 op_sel_hi:[1,1,0]
	v_fma_mix_f32 v14, v19, v26, v13 op_sel:[1,0,0] op_sel_hi:[1,1,0]
	v_fma_mix_f32 v12, v20, v26, v12 op_sel_hi:[1,1,0]
	v_fma_mix_f32 v11, v20, v26, v11 op_sel:[1,0,0] op_sel_hi:[1,1,0]
	v_fma_mix_f32 v13, v21, v26, v1 op_sel:[0,1,0] op_sel_hi:[1,1,0]
	v_fma_mix_f32 v14, v21, v26, v14 op_sel:[1,1,0] op_sel_hi:[1,1,0]
	v_fma_mix_f32 v12, v22, v26, v12 op_sel:[0,1,0] op_sel_hi:[1,1,0]
	v_fma_mix_f32 v11, v22, v26, v11 op_sel:[1,1,0] op_sel_hi:[1,1,0]
	s_andn2_b64 exec, exec, s[10:11]
	s_cbranch_execnz .LBB91_29
; %bb.30:
	s_or_b64 exec, exec, s[10:11]
.LBB91_31:
	s_or_b64 exec, exec, s[8:9]
	v_cmp_lt_u32_e32 vcc, 23, v5
	s_and_saveexec_b64 s[0:1], vcc
	s_cbranch_execz .LBB91_35
; %bb.32:
	s_mov_b64 s[8:9], 0
	v_mov_b32_e32 v5, s13
	v_mov_b32_e32 v6, s7
.LBB91_33:                              ; =>This Inner Loop Header: Depth=1
	v_ashrrev_i32_e32 v1, 31, v0
	v_lshlrev_b64 v[7:8], 2, v[0:1]
	global_load_dwordx4 v[15:18], v[2:3], off
	v_add_co_u32_e32 v7, vcc, s12, v7
	v_addc_co_u32_e32 v8, vcc, v5, v8, vcc
	global_load_dword v1, v[7:8], off
	global_load_dword v19, v[7:8], off offset:32
	global_load_dword v20, v[7:8], off offset:64
	;; [unrolled: 1-line block ×3, first 2 shown]
	v_add_u32_e32 v0, 32, v0
	s_waitcnt vmcnt(3)
	v_subrev_u32_e32 v1, s20, v1
	s_waitcnt vmcnt(2)
	v_subrev_u32_e32 v8, s20, v19
	v_lshlrev_b32_e32 v7, 2, v1
	v_lshlrev_b32_e32 v19, 2, v8
	v_ashrrev_i32_e32 v8, 31, v7
	s_waitcnt vmcnt(1)
	v_subrev_u32_e32 v20, s20, v20
	v_lshlrev_b64 v[7:8], 1, v[7:8]
	s_waitcnt vmcnt(0)
	v_subrev_u32_e32 v22, s20, v21
	v_lshlrev_b32_e32 v21, 2, v20
	v_ashrrev_i32_e32 v20, 31, v19
	v_lshlrev_b64 v[19:20], 1, v[19:20]
	v_add_co_u32_e32 v7, vcc, s6, v7
	v_lshlrev_b32_e32 v23, 2, v22
	v_ashrrev_i32_e32 v22, 31, v21
	v_addc_co_u32_e32 v8, vcc, v6, v8, vcc
	v_lshlrev_b64 v[21:22], 1, v[21:22]
	v_add_co_u32_e32 v25, vcc, s6, v19
	v_ashrrev_i32_e32 v24, 31, v23
	v_addc_co_u32_e32 v26, vcc, v6, v20, vcc
	v_lshlrev_b64 v[23:24], 1, v[23:24]
	v_add_co_u32_e32 v27, vcc, s6, v21
	v_addc_co_u32_e32 v28, vcc, v6, v22, vcc
	v_add_co_u32_e32 v23, vcc, s6, v23
	v_addc_co_u32_e32 v24, vcc, v6, v24, vcc
	global_load_dwordx4 v[19:22], v[2:3], off offset:16
	global_load_dwordx2 v[29:30], v[7:8], off
	global_load_dwordx2 v[31:32], v[25:26], off
	;; [unrolled: 1-line block ×4, first 2 shown]
	s_waitcnt vmcnt(3)
	v_fma_mix_f32 v11, v16, v29, v11 op_sel:[1,0,0] op_sel_hi:[1,1,0]
	v_fma_mix_f32 v1, v15, v29, v13 op_sel_hi:[1,1,0]
	v_fma_mix_f32 v7, v15, v29, v14 op_sel:[1,0,0] op_sel_hi:[1,1,0]
	v_fma_mix_f32 v8, v16, v29, v12 op_sel_hi:[1,1,0]
	v_fma_mix_f32 v15, v18, v29, v11 op_sel:[1,1,0] op_sel_hi:[1,1,0]
	global_load_dwordx4 v[11:14], v[2:3], off offset:256
	v_fma_mix_f32 v1, v17, v29, v1 op_sel:[0,1,0] op_sel_hi:[1,1,0]
	v_fma_mix_f32 v7, v17, v29, v7 op_sel:[1,1,0] op_sel_hi:[1,1,0]
	;; [unrolled: 1-line block ×4, first 2 shown]
	v_fma_mix_f32 v1, v19, v30, v1 op_sel_hi:[1,1,0]
	v_fma_mix_f32 v7, v19, v30, v7 op_sel:[1,0,0] op_sel_hi:[1,1,0]
	v_fma_mix_f32 v19, v22, v30, v15 op_sel:[1,1,0] op_sel_hi:[1,1,0]
	global_load_dwordx4 v[15:18], v[2:3], off offset:272
	v_fma_mix_f32 v8, v20, v30, v8 op_sel_hi:[1,1,0]
	v_fma_mix_f32 v1, v21, v30, v1 op_sel:[0,1,0] op_sel_hi:[1,1,0]
	v_fma_mix_f32 v7, v21, v30, v7 op_sel:[1,1,0] op_sel_hi:[1,1,0]
	;; [unrolled: 1-line block ×3, first 2 shown]
	s_waitcnt vmcnt(1)
	v_fma_mix_f32 v1, v11, v31, v1 op_sel_hi:[1,1,0]
	v_fma_mix_f32 v7, v11, v31, v7 op_sel:[1,0,0] op_sel_hi:[1,1,0]
	v_fma_mix_f32 v8, v12, v31, v8 op_sel_hi:[1,1,0]
	v_fma_mix_f32 v11, v12, v31, v19 op_sel:[1,0,0] op_sel_hi:[1,1,0]
	v_fma_mix_f32 v1, v13, v31, v1 op_sel:[0,1,0] op_sel_hi:[1,1,0]
	;; [unrolled: 1-line block ×5, first 2 shown]
	global_load_dwordx4 v[11:14], v[2:3], off offset:512
	s_waitcnt vmcnt(1)
	v_fma_mix_f32 v1, v15, v32, v1 op_sel_hi:[1,1,0]
	v_fma_mix_f32 v7, v15, v32, v7 op_sel:[1,0,0] op_sel_hi:[1,1,0]
	v_fma_mix_f32 v8, v16, v32, v8 op_sel_hi:[1,1,0]
	v_fma_mix_f32 v15, v16, v32, v19 op_sel:[1,0,0] op_sel_hi:[1,1,0]
	v_fma_mix_f32 v1, v17, v32, v1 op_sel:[0,1,0] op_sel_hi:[1,1,0]
	;; [unrolled: 1-line block ×5, first 2 shown]
	global_load_dwordx4 v[15:18], v[2:3], off offset:528
	global_load_dwordx4 v[19:22], v[2:3], off offset:768
	s_waitcnt vmcnt(2)
	v_fma_mix_f32 v1, v11, v33, v1 op_sel_hi:[1,1,0]
	v_fma_mix_f32 v7, v11, v33, v7 op_sel:[1,0,0] op_sel_hi:[1,1,0]
	v_fma_mix_f32 v11, v12, v33, v23 op_sel:[1,0,0] op_sel_hi:[1,1,0]
	global_load_dwordx4 v[23:26], v[2:3], off offset:784
	v_fma_mix_f32 v8, v12, v33, v8 op_sel_hi:[1,1,0]
	v_fma_mix_f32 v1, v13, v33, v1 op_sel:[0,1,0] op_sel_hi:[1,1,0]
	v_fma_mix_f32 v7, v13, v33, v7 op_sel:[1,1,0] op_sel_hi:[1,1,0]
	;; [unrolled: 1-line block ×4, first 2 shown]
	s_waitcnt vmcnt(2)
	v_fma_mix_f32 v1, v15, v34, v1 op_sel_hi:[1,1,0]
	v_fma_mix_f32 v7, v15, v34, v7 op_sel:[1,0,0] op_sel_hi:[1,1,0]
	v_fma_mix_f32 v8, v16, v34, v8 op_sel_hi:[1,1,0]
	v_fma_mix_f32 v11, v16, v34, v11 op_sel:[1,0,0] op_sel_hi:[1,1,0]
	v_fma_mix_f32 v1, v17, v34, v1 op_sel:[0,1,0] op_sel_hi:[1,1,0]
	;; [unrolled: 1-line block ×5, first 2 shown]
	v_add_co_u32_e32 v2, vcc, 0x400, v2
	s_waitcnt vmcnt(1)
	v_fma_mix_f32 v1, v19, v35, v1 op_sel_hi:[1,1,0]
	v_fma_mix_f32 v7, v19, v35, v7 op_sel:[1,0,0] op_sel_hi:[1,1,0]
	v_fma_mix_f32 v8, v20, v35, v8 op_sel_hi:[1,1,0]
	v_fma_mix_f32 v11, v20, v35, v11 op_sel:[1,0,0] op_sel_hi:[1,1,0]
	v_addc_co_u32_e32 v3, vcc, 0, v3, vcc
	v_fma_mix_f32 v1, v21, v35, v1 op_sel:[0,1,0] op_sel_hi:[1,1,0]
	v_fma_mix_f32 v7, v21, v35, v7 op_sel:[1,1,0] op_sel_hi:[1,1,0]
	;; [unrolled: 1-line block ×4, first 2 shown]
	v_cmp_ge_i32_e32 vcc, v0, v10
	s_or_b64 s[8:9], vcc, s[8:9]
	s_waitcnt vmcnt(0)
	v_fma_mix_f32 v1, v23, v36, v1 op_sel_hi:[1,1,0]
	v_fma_mix_f32 v7, v23, v36, v7 op_sel:[1,0,0] op_sel_hi:[1,1,0]
	v_fma_mix_f32 v8, v24, v36, v8 op_sel_hi:[1,1,0]
	v_fma_mix_f32 v11, v24, v36, v11 op_sel:[1,0,0] op_sel_hi:[1,1,0]
	v_fma_mix_f32 v13, v25, v36, v1 op_sel:[0,1,0] op_sel_hi:[1,1,0]
	;; [unrolled: 1-line block ×5, first 2 shown]
	s_andn2_b64 exec, exec, s[8:9]
	s_cbranch_execnz .LBB91_33
; %bb.34:
	s_or_b64 exec, exec, s[8:9]
.LBB91_35:
	s_or_b64 exec, exec, s[0:1]
.LBB91_36:
	s_or_b64 exec, exec, s[2:3]
.LBB91_37:
	v_mov_b32_dpp v0, v13 row_shr:1 row_mask:0xf bank_mask:0xf
	v_mov_b32_dpp v2, v14 row_shr:1 row_mask:0xf bank_mask:0xf
	v_mov_b32_dpp v5, v12 row_shr:1 row_mask:0xf bank_mask:0xf
	v_mov_b32_dpp v7, v11 row_shr:1 row_mask:0xf bank_mask:0xf
	v_add_f32_e32 v0, v13, v0
	v_add_f32_e32 v2, v14, v2
	;; [unrolled: 1-line block ×4, first 2 shown]
	v_mov_b32_dpp v1, v0 row_shr:2 row_mask:0xf bank_mask:0xf
	v_mov_b32_dpp v3, v2 row_shr:2 row_mask:0xf bank_mask:0xf
	v_mov_b32_dpp v6, v5 row_shr:2 row_mask:0xf bank_mask:0xf
	v_mov_b32_dpp v8, v7 row_shr:2 row_mask:0xf bank_mask:0xf
	v_add_f32_e32 v0, v0, v1
	v_add_f32_e32 v2, v2, v3
	;; [unrolled: 1-line block ×4, first 2 shown]
	v_mov_b32_dpp v1, v0 row_shr:4 row_mask:0xf bank_mask:0xe
	v_mov_b32_dpp v3, v2 row_shr:4 row_mask:0xf bank_mask:0xe
	;; [unrolled: 1-line block ×4, first 2 shown]
	v_cmp_eq_u32_e32 vcc, 7, v9
	s_and_b64 exec, exec, vcc
	s_cbranch_execz .LBB91_10
; %bb.38:
	s_load_dwordx2 s[0:1], s[4:5], 0x50
	v_add_f32_e32 v0, v0, v1
	v_add_f32_e32 v1, v2, v3
	;; [unrolled: 1-line block ×4, first 2 shown]
	v_cmp_eq_f32_e64 s[2:3], s16, 0
	s_and_b64 vcc, exec, s[2:3]
	v_mul_f32_e32 v0, s18, v0
	v_mul_f32_e32 v1, s18, v1
	;; [unrolled: 1-line block ×4, first 2 shown]
	v_lshlrev_b32_e32 v4, 2, v4
	s_cbranch_vccz .LBB91_40
; %bb.39:
	v_ashrrev_i32_e32 v5, 31, v4
	v_lshlrev_b64 v[5:6], 2, v[4:5]
	s_waitcnt lgkmcnt(0)
	v_mov_b32_e32 v7, s1
	v_add_co_u32_e32 v5, vcc, s0, v5
	v_addc_co_u32_e32 v6, vcc, v7, v6, vcc
	global_store_dwordx4 v[5:6], v[0:3], off
	s_cbranch_execnz .LBB91_10
	s_branch .LBB91_41
.LBB91_40:
.LBB91_41:
	v_ashrrev_i32_e32 v5, 31, v4
	v_lshlrev_b64 v[4:5], 2, v[4:5]
	s_waitcnt lgkmcnt(0)
	v_mov_b32_e32 v6, s1
	v_add_co_u32_e32 v8, vcc, s0, v4
	v_addc_co_u32_e32 v9, vcc, v6, v5, vcc
	global_load_dwordx4 v[4:7], v[8:9], off
	s_waitcnt vmcnt(0)
	v_fmac_f32_e32 v0, s16, v4
	v_fmac_f32_e32 v1, s16, v5
	;; [unrolled: 1-line block ×4, first 2 shown]
	global_store_dwordx4 v[8:9], v[0:3], off
	s_endpgm
	.section	.rodata,"a",@progbits
	.p2align	6, 0x0
	.amdhsa_kernel _ZN9rocsparseL18bsrxmvn_4x4_kernelILj128ELj8EfiiDF16_DF16_fEEvT3_20rocsparse_direction_NS_24const_host_device_scalarIT1_EES1_PKS1_PKT2_SA_S7_PKT4_PKT5_S5_PT6_21rocsparse_index_base_b
		.amdhsa_group_segment_fixed_size 0
		.amdhsa_private_segment_fixed_size 0
		.amdhsa_kernarg_size 96
		.amdhsa_user_sgpr_count 6
		.amdhsa_user_sgpr_private_segment_buffer 1
		.amdhsa_user_sgpr_dispatch_ptr 0
		.amdhsa_user_sgpr_queue_ptr 0
		.amdhsa_user_sgpr_kernarg_segment_ptr 1
		.amdhsa_user_sgpr_dispatch_id 0
		.amdhsa_user_sgpr_flat_scratch_init 0
		.amdhsa_user_sgpr_private_segment_size 0
		.amdhsa_uses_dynamic_stack 0
		.amdhsa_system_sgpr_private_segment_wavefront_offset 0
		.amdhsa_system_sgpr_workgroup_id_x 1
		.amdhsa_system_sgpr_workgroup_id_y 0
		.amdhsa_system_sgpr_workgroup_id_z 0
		.amdhsa_system_sgpr_workgroup_info 0
		.amdhsa_system_vgpr_workitem_id 0
		.amdhsa_next_free_vgpr 41
		.amdhsa_next_free_sgpr 22
		.amdhsa_reserve_vcc 1
		.amdhsa_reserve_flat_scratch 0
		.amdhsa_float_round_mode_32 0
		.amdhsa_float_round_mode_16_64 0
		.amdhsa_float_denorm_mode_32 3
		.amdhsa_float_denorm_mode_16_64 3
		.amdhsa_dx10_clamp 1
		.amdhsa_ieee_mode 1
		.amdhsa_fp16_overflow 0
		.amdhsa_exception_fp_ieee_invalid_op 0
		.amdhsa_exception_fp_denorm_src 0
		.amdhsa_exception_fp_ieee_div_zero 0
		.amdhsa_exception_fp_ieee_overflow 0
		.amdhsa_exception_fp_ieee_underflow 0
		.amdhsa_exception_fp_ieee_inexact 0
		.amdhsa_exception_int_div_zero 0
	.end_amdhsa_kernel
	.section	.text._ZN9rocsparseL18bsrxmvn_4x4_kernelILj128ELj8EfiiDF16_DF16_fEEvT3_20rocsparse_direction_NS_24const_host_device_scalarIT1_EES1_PKS1_PKT2_SA_S7_PKT4_PKT5_S5_PT6_21rocsparse_index_base_b,"axG",@progbits,_ZN9rocsparseL18bsrxmvn_4x4_kernelILj128ELj8EfiiDF16_DF16_fEEvT3_20rocsparse_direction_NS_24const_host_device_scalarIT1_EES1_PKS1_PKT2_SA_S7_PKT4_PKT5_S5_PT6_21rocsparse_index_base_b,comdat
.Lfunc_end91:
	.size	_ZN9rocsparseL18bsrxmvn_4x4_kernelILj128ELj8EfiiDF16_DF16_fEEvT3_20rocsparse_direction_NS_24const_host_device_scalarIT1_EES1_PKS1_PKT2_SA_S7_PKT4_PKT5_S5_PT6_21rocsparse_index_base_b, .Lfunc_end91-_ZN9rocsparseL18bsrxmvn_4x4_kernelILj128ELj8EfiiDF16_DF16_fEEvT3_20rocsparse_direction_NS_24const_host_device_scalarIT1_EES1_PKS1_PKT2_SA_S7_PKT4_PKT5_S5_PT6_21rocsparse_index_base_b
                                        ; -- End function
	.set _ZN9rocsparseL18bsrxmvn_4x4_kernelILj128ELj8EfiiDF16_DF16_fEEvT3_20rocsparse_direction_NS_24const_host_device_scalarIT1_EES1_PKS1_PKT2_SA_S7_PKT4_PKT5_S5_PT6_21rocsparse_index_base_b.num_vgpr, 41
	.set _ZN9rocsparseL18bsrxmvn_4x4_kernelILj128ELj8EfiiDF16_DF16_fEEvT3_20rocsparse_direction_NS_24const_host_device_scalarIT1_EES1_PKS1_PKT2_SA_S7_PKT4_PKT5_S5_PT6_21rocsparse_index_base_b.num_agpr, 0
	.set _ZN9rocsparseL18bsrxmvn_4x4_kernelILj128ELj8EfiiDF16_DF16_fEEvT3_20rocsparse_direction_NS_24const_host_device_scalarIT1_EES1_PKS1_PKT2_SA_S7_PKT4_PKT5_S5_PT6_21rocsparse_index_base_b.numbered_sgpr, 22
	.set _ZN9rocsparseL18bsrxmvn_4x4_kernelILj128ELj8EfiiDF16_DF16_fEEvT3_20rocsparse_direction_NS_24const_host_device_scalarIT1_EES1_PKS1_PKT2_SA_S7_PKT4_PKT5_S5_PT6_21rocsparse_index_base_b.num_named_barrier, 0
	.set _ZN9rocsparseL18bsrxmvn_4x4_kernelILj128ELj8EfiiDF16_DF16_fEEvT3_20rocsparse_direction_NS_24const_host_device_scalarIT1_EES1_PKS1_PKT2_SA_S7_PKT4_PKT5_S5_PT6_21rocsparse_index_base_b.private_seg_size, 0
	.set _ZN9rocsparseL18bsrxmvn_4x4_kernelILj128ELj8EfiiDF16_DF16_fEEvT3_20rocsparse_direction_NS_24const_host_device_scalarIT1_EES1_PKS1_PKT2_SA_S7_PKT4_PKT5_S5_PT6_21rocsparse_index_base_b.uses_vcc, 1
	.set _ZN9rocsparseL18bsrxmvn_4x4_kernelILj128ELj8EfiiDF16_DF16_fEEvT3_20rocsparse_direction_NS_24const_host_device_scalarIT1_EES1_PKS1_PKT2_SA_S7_PKT4_PKT5_S5_PT6_21rocsparse_index_base_b.uses_flat_scratch, 0
	.set _ZN9rocsparseL18bsrxmvn_4x4_kernelILj128ELj8EfiiDF16_DF16_fEEvT3_20rocsparse_direction_NS_24const_host_device_scalarIT1_EES1_PKS1_PKT2_SA_S7_PKT4_PKT5_S5_PT6_21rocsparse_index_base_b.has_dyn_sized_stack, 0
	.set _ZN9rocsparseL18bsrxmvn_4x4_kernelILj128ELj8EfiiDF16_DF16_fEEvT3_20rocsparse_direction_NS_24const_host_device_scalarIT1_EES1_PKS1_PKT2_SA_S7_PKT4_PKT5_S5_PT6_21rocsparse_index_base_b.has_recursion, 0
	.set _ZN9rocsparseL18bsrxmvn_4x4_kernelILj128ELj8EfiiDF16_DF16_fEEvT3_20rocsparse_direction_NS_24const_host_device_scalarIT1_EES1_PKS1_PKT2_SA_S7_PKT4_PKT5_S5_PT6_21rocsparse_index_base_b.has_indirect_call, 0
	.section	.AMDGPU.csdata,"",@progbits
; Kernel info:
; codeLenInByte = 3332
; TotalNumSgprs: 26
; NumVgprs: 41
; ScratchSize: 0
; MemoryBound: 0
; FloatMode: 240
; IeeeMode: 1
; LDSByteSize: 0 bytes/workgroup (compile time only)
; SGPRBlocks: 3
; VGPRBlocks: 10
; NumSGPRsForWavesPerEU: 26
; NumVGPRsForWavesPerEU: 41
; Occupancy: 5
; WaveLimiterHint : 1
; COMPUTE_PGM_RSRC2:SCRATCH_EN: 0
; COMPUTE_PGM_RSRC2:USER_SGPR: 6
; COMPUTE_PGM_RSRC2:TRAP_HANDLER: 0
; COMPUTE_PGM_RSRC2:TGID_X_EN: 1
; COMPUTE_PGM_RSRC2:TGID_Y_EN: 0
; COMPUTE_PGM_RSRC2:TGID_Z_EN: 0
; COMPUTE_PGM_RSRC2:TIDIG_COMP_CNT: 0
	.section	.text._ZN9rocsparseL18bsrxmvn_4x4_kernelILj128ELj16EfiiDF16_DF16_fEEvT3_20rocsparse_direction_NS_24const_host_device_scalarIT1_EES1_PKS1_PKT2_SA_S7_PKT4_PKT5_S5_PT6_21rocsparse_index_base_b,"axG",@progbits,_ZN9rocsparseL18bsrxmvn_4x4_kernelILj128ELj16EfiiDF16_DF16_fEEvT3_20rocsparse_direction_NS_24const_host_device_scalarIT1_EES1_PKS1_PKT2_SA_S7_PKT4_PKT5_S5_PT6_21rocsparse_index_base_b,comdat
	.globl	_ZN9rocsparseL18bsrxmvn_4x4_kernelILj128ELj16EfiiDF16_DF16_fEEvT3_20rocsparse_direction_NS_24const_host_device_scalarIT1_EES1_PKS1_PKT2_SA_S7_PKT4_PKT5_S5_PT6_21rocsparse_index_base_b ; -- Begin function _ZN9rocsparseL18bsrxmvn_4x4_kernelILj128ELj16EfiiDF16_DF16_fEEvT3_20rocsparse_direction_NS_24const_host_device_scalarIT1_EES1_PKS1_PKT2_SA_S7_PKT4_PKT5_S5_PT6_21rocsparse_index_base_b
	.p2align	8
	.type	_ZN9rocsparseL18bsrxmvn_4x4_kernelILj128ELj16EfiiDF16_DF16_fEEvT3_20rocsparse_direction_NS_24const_host_device_scalarIT1_EES1_PKS1_PKT2_SA_S7_PKT4_PKT5_S5_PT6_21rocsparse_index_base_b,@function
_ZN9rocsparseL18bsrxmvn_4x4_kernelILj128ELj16EfiiDF16_DF16_fEEvT3_20rocsparse_direction_NS_24const_host_device_scalarIT1_EES1_PKS1_PKT2_SA_S7_PKT4_PKT5_S5_PT6_21rocsparse_index_base_b: ; @_ZN9rocsparseL18bsrxmvn_4x4_kernelILj128ELj16EfiiDF16_DF16_fEEvT3_20rocsparse_direction_NS_24const_host_device_scalarIT1_EES1_PKS1_PKT2_SA_S7_PKT4_PKT5_S5_PT6_21rocsparse_index_base_b
; %bb.0:
	s_load_dwordx2 s[20:21], s[4:5], 0x58
	s_load_dwordx2 s[18:19], s[4:5], 0x8
	;; [unrolled: 1-line block ×3, first 2 shown]
	s_waitcnt lgkmcnt(0)
	s_bitcmp1_b32 s21, 0
	s_cselect_b64 s[2:3], -1, 0
	s_xor_b64 s[0:1], s[2:3], -1
	s_and_b64 vcc, exec, s[2:3]
	s_cbranch_vccnz .LBB92_2
; %bb.1:
	s_load_dword s18, s[18:19], 0x0
.LBB92_2:
	s_andn2_b64 vcc, exec, s[0:1]
	s_cbranch_vccnz .LBB92_4
; %bb.3:
	s_load_dword s16, s[16:17], 0x0
.LBB92_4:
	s_waitcnt lgkmcnt(0)
	v_cmp_neq_f32_e64 s[0:1], s18, 0
	v_cmp_neq_f32_e64 s[2:3], s16, 1.0
	s_or_b64 s[0:1], s[0:1], s[2:3]
	s_andn2_b64 vcc, exec, s[0:1]
	s_cbranch_vccnz .LBB92_10
; %bb.5:
	s_load_dwordx2 s[8:9], s[4:5], 0x18
	s_load_dwordx2 s[0:1], s[4:5], 0x0
	v_lshrrev_b32_e32 v1, 4, v0
	v_lshl_or_b32 v4, s6, 3, v1
	s_mov_b64 s[2:3], 0
	s_waitcnt lgkmcnt(0)
	s_cmp_lg_u64 s[8:9], 0
	s_cbranch_scc0 .LBB92_11
; %bb.6:
	s_load_dword s6, s[4:5], 0x10
                                        ; implicit-def: $vgpr1
	s_waitcnt lgkmcnt(0)
	v_cmp_gt_i32_e32 vcc, s6, v4
	s_and_saveexec_b64 s[6:7], vcc
	s_xor_b64 s[6:7], exec, s[6:7]
	s_cbranch_execz .LBB92_8
; %bb.7:
	v_ashrrev_i32_e32 v5, 31, v4
	v_lshlrev_b64 v[1:2], 2, v[4:5]
	v_mov_b32_e32 v3, s9
	v_add_co_u32_e32 v1, vcc, s8, v1
	v_addc_co_u32_e32 v2, vcc, v3, v2, vcc
	global_load_dword v1, v[1:2], off
	s_mov_b64 s[2:3], exec
	s_waitcnt vmcnt(0)
	v_subrev_u32_e32 v1, s20, v1
.LBB92_8:
	s_or_b64 exec, exec, s[6:7]
	s_branch .LBB92_12
.LBB92_9:
	v_cmp_gt_i32_e32 vcc, s0, v4
	s_andn2_b64 s[2:3], s[2:3], exec
	s_and_b64 s[6:7], vcc, exec
	s_or_b64 s[2:3], s[2:3], s[6:7]
	s_and_saveexec_b64 s[6:7], s[2:3]
	s_cbranch_execnz .LBB92_13
.LBB92_10:
	s_endpgm
.LBB92_11:
                                        ; implicit-def: $vgpr1
	s_cbranch_execnz .LBB92_9
.LBB92_12:
	v_mov_b32_e32 v4, v1
	s_and_saveexec_b64 s[6:7], s[2:3]
	s_cbranch_execz .LBB92_10
.LBB92_13:
	s_load_dwordx8 s[8:15], s[4:5], 0x20
	v_ashrrev_i32_e32 v5, 31, v4
	v_lshlrev_b64 v[1:2], 2, v[4:5]
	v_and_b32_e32 v9, 15, v0
	s_load_dwordx2 s[6:7], s[4:5], 0x40
	s_waitcnt lgkmcnt(0)
	v_mov_b32_e32 v3, s9
	v_add_co_u32_e32 v5, vcc, s8, v1
	v_addc_co_u32_e32 v6, vcc, v3, v2, vcc
	v_add_co_u32_e32 v3, vcc, 4, v5
	global_load_dword v15, v[5:6], off
	v_addc_co_u32_e32 v5, vcc, 0, v6, vcc
	v_mov_b32_e32 v6, s11
	v_add_co_u32_e32 v1, vcc, s10, v1
	s_cmp_eq_u64 s[10:11], 0
	v_addc_co_u32_e32 v2, vcc, v6, v2, vcc
	s_cselect_b64 vcc, -1, 0
	v_cndmask_b32_e32 v2, v2, v5, vcc
	v_cndmask_b32_e32 v1, v1, v3, vcc
	global_load_dword v1, v[1:2], off
	v_mov_b32_e32 v5, s15
	s_cmp_eq_u32 s1, 1
	s_waitcnt vmcnt(1)
	v_subrev_u32_e32 v0, s20, v15
	v_add_u32_e32 v0, v0, v9
	s_waitcnt vmcnt(0)
	v_subrev_u32_e32 v10, s20, v1
	v_ashrrev_i32_e32 v1, 31, v0
	v_lshlrev_b64 v[2:3], 5, v[0:1]
	v_cmp_lt_i32_e64 s[0:1], v0, v10
	v_add_co_u32_e32 v2, vcc, s14, v2
	v_addc_co_u32_e32 v3, vcc, v5, v3, vcc
	s_cbranch_scc1 .LBB92_25
; %bb.14:
	v_mov_b32_e32 v11, 0
	v_mov_b32_e32 v12, 0
	;; [unrolled: 1-line block ×4, first 2 shown]
	s_and_saveexec_b64 s[8:9], s[0:1]
	s_cbranch_execz .LBB92_24
; %bb.15:
	v_add_u32_e32 v1, v15, v9
	v_subrev_u32_e32 v1, s20, v1
	v_add_u32_e32 v1, 16, v1
	v_max_i32_e32 v1, v1, v10
	v_not_b32_e32 v5, v15
	v_add3_u32 v1, s20, v1, v5
	v_sub_u32_e32 v1, v1, v9
	v_and_b32_e32 v5, 48, v1
	v_mov_b32_e32 v8, v3
	v_cmp_ne_u32_e32 vcc, 48, v5
	v_mov_b32_e32 v14, 0
	v_mov_b32_e32 v13, 0
	;; [unrolled: 1-line block ×6, first 2 shown]
	s_and_saveexec_b64 s[10:11], vcc
	s_cbranch_execz .LBB92_19
; %bb.16:
	v_lshrrev_b32_e32 v5, 4, v1
	v_add_u32_e32 v5, 1, v5
	v_and_b32_e32 v5, 3, v5
	v_mov_b32_e32 v8, v3
	v_sub_u32_e32 v16, 0, v5
	v_mov_b32_e32 v11, 0
	s_mov_b64 s[14:15], 0
	v_mov_b32_e32 v17, s13
	v_mov_b32_e32 v18, s7
	;; [unrolled: 1-line block ×7, first 2 shown]
.LBB92_17:                              ; =>This Inner Loop Header: Depth=1
	v_ashrrev_i32_e32 v6, 31, v5
	v_lshlrev_b64 v[19:20], 2, v[5:6]
	v_add_co_u32_e64 v16, s[2:3], 1, v16
	v_add_co_u32_e32 v27, vcc, s12, v19
	v_addc_co_u32_e32 v28, vcc, v17, v20, vcc
	global_load_dword v6, v[27:28], off
	global_load_dwordx4 v[19:22], v[7:8], off
	global_load_dwordx4 v[23:26], v[7:8], off offset:16
	v_add_u32_e32 v5, 16, v5
	s_or_b64 s[14:15], s[2:3], s[14:15]
	s_waitcnt vmcnt(2)
	v_subrev_u32_e32 v6, s20, v6
	v_lshlrev_b32_e32 v27, 2, v6
	v_ashrrev_i32_e32 v28, 31, v27
	v_lshlrev_b64 v[27:28], 1, v[27:28]
	v_add_co_u32_e32 v27, vcc, s6, v27
	v_addc_co_u32_e32 v28, vcc, v18, v28, vcc
	global_load_dwordx2 v[27:28], v[27:28], off
	v_add_co_u32_e32 v7, vcc, 0x200, v7
	v_addc_co_u32_e32 v8, vcc, 0, v8, vcc
	s_waitcnt vmcnt(0)
	v_fma_mix_f32 v6, v19, v27, v14 op_sel_hi:[1,1,0]
	v_fma_mix_f32 v13, v21, v27, v13 op_sel_hi:[1,1,0]
	;; [unrolled: 1-line block ×4, first 2 shown]
	v_fma_mix_f32 v6, v19, v27, v6 op_sel:[1,1,0] op_sel_hi:[1,1,0]
	v_fma_mix_f32 v13, v21, v27, v13 op_sel:[1,1,0] op_sel_hi:[1,1,0]
	;; [unrolled: 1-line block ×4, first 2 shown]
	v_fma_mix_f32 v6, v20, v28, v6 op_sel_hi:[1,1,0]
	v_fma_mix_f32 v13, v22, v28, v13 op_sel_hi:[1,1,0]
	;; [unrolled: 1-line block ×4, first 2 shown]
	v_fma_mix_f32 v14, v20, v28, v6 op_sel:[1,1,0] op_sel_hi:[1,1,0]
	v_fma_mix_f32 v13, v22, v28, v13 op_sel:[1,1,0] op_sel_hi:[1,1,0]
	;; [unrolled: 1-line block ×4, first 2 shown]
	s_andn2_b64 exec, exec, s[14:15]
	s_cbranch_execnz .LBB92_17
; %bb.18:
	s_or_b64 exec, exec, s[14:15]
.LBB92_19:
	s_or_b64 exec, exec, s[10:11]
	v_cmp_lt_u32_e32 vcc, 47, v1
	s_and_saveexec_b64 s[2:3], vcc
	s_cbranch_execz .LBB92_23
; %bb.20:
	s_mov_b64 s[10:11], 0
	v_mov_b32_e32 v1, s13
	v_mov_b32_e32 v16, s7
.LBB92_21:                              ; =>This Inner Loop Header: Depth=1
	v_ashrrev_i32_e32 v6, 31, v5
	v_lshlrev_b64 v[21:22], 2, v[5:6]
	global_load_dwordx4 v[17:20], v[7:8], off
	v_add_co_u32_e32 v21, vcc, s12, v21
	v_addc_co_u32_e32 v22, vcc, v1, v22, vcc
	global_load_dword v6, v[21:22], off
	global_load_dword v23, v[21:22], off offset:64
	global_load_dword v24, v[21:22], off offset:128
	;; [unrolled: 1-line block ×3, first 2 shown]
	v_add_u32_e32 v5, 64, v5
	s_waitcnt vmcnt(3)
	v_subrev_u32_e32 v6, s20, v6
	s_waitcnt vmcnt(2)
	v_subrev_u32_e32 v22, s20, v23
	v_lshlrev_b32_e32 v21, 2, v6
	v_lshlrev_b32_e32 v23, 2, v22
	v_ashrrev_i32_e32 v22, 31, v21
	s_waitcnt vmcnt(1)
	v_subrev_u32_e32 v24, s20, v24
	v_lshlrev_b64 v[21:22], 1, v[21:22]
	s_waitcnt vmcnt(0)
	v_subrev_u32_e32 v26, s20, v25
	v_lshlrev_b32_e32 v25, 2, v24
	v_ashrrev_i32_e32 v24, 31, v23
	v_lshlrev_b64 v[23:24], 1, v[23:24]
	v_add_co_u32_e32 v29, vcc, s6, v21
	v_lshlrev_b32_e32 v27, 2, v26
	v_ashrrev_i32_e32 v26, 31, v25
	v_addc_co_u32_e32 v30, vcc, v16, v22, vcc
	v_lshlrev_b64 v[25:26], 1, v[25:26]
	v_add_co_u32_e32 v31, vcc, s6, v23
	v_ashrrev_i32_e32 v28, 31, v27
	v_addc_co_u32_e32 v32, vcc, v16, v24, vcc
	v_lshlrev_b64 v[27:28], 1, v[27:28]
	v_add_co_u32_e32 v25, vcc, s6, v25
	v_addc_co_u32_e32 v26, vcc, v16, v26, vcc
	v_add_co_u32_e32 v27, vcc, s6, v27
	v_addc_co_u32_e32 v28, vcc, v16, v28, vcc
	global_load_dwordx4 v[21:24], v[7:8], off offset:16
	global_load_dwordx2 v[33:34], v[29:30], off
	global_load_dwordx2 v[35:36], v[31:32], off
	;; [unrolled: 1-line block ×4, first 2 shown]
	s_waitcnt vmcnt(3)
	v_fma_mix_f32 v6, v17, v33, v14 op_sel_hi:[1,1,0]
	v_fma_mix_f32 v13, v19, v33, v13 op_sel_hi:[1,1,0]
	v_fma_mix_f32 v6, v17, v33, v6 op_sel:[1,1,0] op_sel_hi:[1,1,0]
	v_fma_mix_f32 v13, v19, v33, v13 op_sel:[1,1,0] op_sel_hi:[1,1,0]
	v_fma_mix_f32 v6, v18, v34, v6 op_sel_hi:[1,1,0]
	v_fma_mix_f32 v13, v20, v34, v13 op_sel_hi:[1,1,0]
	v_fma_mix_f32 v6, v18, v34, v6 op_sel:[1,1,0] op_sel_hi:[1,1,0]
	v_fma_mix_f32 v25, v20, v34, v13 op_sel:[1,1,0] op_sel_hi:[1,1,0]
	global_load_dwordx4 v[17:20], v[7:8], off offset:512
	v_fma_mix_f32 v12, v21, v33, v12 op_sel_hi:[1,1,0]
	v_fma_mix_f32 v11, v23, v33, v11 op_sel_hi:[1,1,0]
	v_fma_mix_f32 v12, v21, v33, v12 op_sel:[1,1,0] op_sel_hi:[1,1,0]
	v_fma_mix_f32 v11, v23, v33, v11 op_sel:[1,1,0] op_sel_hi:[1,1,0]
	v_fma_mix_f32 v12, v22, v34, v12 op_sel_hi:[1,1,0]
	v_fma_mix_f32 v11, v24, v34, v11 op_sel_hi:[1,1,0]
	v_fma_mix_f32 v21, v22, v34, v12 op_sel:[1,1,0] op_sel_hi:[1,1,0]
	v_fma_mix_f32 v22, v24, v34, v11 op_sel:[1,1,0] op_sel_hi:[1,1,0]
	global_load_dwordx4 v[11:14], v[7:8], off offset:528
	s_waitcnt vmcnt(1)
	v_fma_mix_f32 v6, v17, v35, v6 op_sel_hi:[1,1,0]
	v_fma_mix_f32 v23, v19, v35, v25 op_sel_hi:[1,1,0]
	v_fma_mix_f32 v6, v17, v35, v6 op_sel:[1,1,0] op_sel_hi:[1,1,0]
	v_fma_mix_f32 v17, v19, v35, v23 op_sel:[1,1,0] op_sel_hi:[1,1,0]
	v_fma_mix_f32 v6, v18, v36, v6 op_sel_hi:[1,1,0]
	v_fma_mix_f32 v17, v20, v36, v17 op_sel_hi:[1,1,0]
	v_fma_mix_f32 v6, v18, v36, v6 op_sel:[1,1,0] op_sel_hi:[1,1,0]
	v_fma_mix_f32 v25, v20, v36, v17 op_sel:[1,1,0] op_sel_hi:[1,1,0]
	global_load_dwordx4 v[17:20], v[7:8], off offset:1024
	s_waitcnt vmcnt(1)
	v_fma_mix_f32 v21, v11, v35, v21 op_sel_hi:[1,1,0]
	v_fma_mix_f32 v22, v13, v35, v22 op_sel_hi:[1,1,0]
	v_fma_mix_f32 v11, v11, v35, v21 op_sel:[1,1,0] op_sel_hi:[1,1,0]
	v_fma_mix_f32 v13, v13, v35, v22 op_sel:[1,1,0] op_sel_hi:[1,1,0]
	v_fma_mix_f32 v11, v12, v36, v11 op_sel_hi:[1,1,0]
	v_fma_mix_f32 v13, v14, v36, v13 op_sel_hi:[1,1,0]
	v_fma_mix_f32 v26, v12, v36, v11 op_sel:[1,1,0] op_sel_hi:[1,1,0]
	v_fma_mix_f32 v27, v14, v36, v13 op_sel:[1,1,0] op_sel_hi:[1,1,0]
	global_load_dwordx4 v[11:14], v[7:8], off offset:1040
	global_load_dwordx4 v[21:24], v[7:8], off offset:1536
	s_waitcnt vmcnt(2)
	v_fma_mix_f32 v6, v17, v37, v6 op_sel_hi:[1,1,0]
	v_fma_mix_f32 v25, v19, v37, v25 op_sel_hi:[1,1,0]
	v_fma_mix_f32 v6, v17, v37, v6 op_sel:[1,1,0] op_sel_hi:[1,1,0]
	v_fma_mix_f32 v17, v19, v37, v25 op_sel:[1,1,0] op_sel_hi:[1,1,0]
	v_fma_mix_f32 v6, v18, v38, v6 op_sel_hi:[1,1,0]
	v_fma_mix_f32 v17, v20, v38, v17 op_sel_hi:[1,1,0]
	v_fma_mix_f32 v6, v18, v38, v6 op_sel:[1,1,0] op_sel_hi:[1,1,0]
	v_fma_mix_f32 v25, v20, v38, v17 op_sel:[1,1,0] op_sel_hi:[1,1,0]
	global_load_dwordx4 v[17:20], v[7:8], off offset:1552
	s_waitcnt vmcnt(2)
	v_fma_mix_f32 v26, v11, v37, v26 op_sel_hi:[1,1,0]
	v_fma_mix_f32 v27, v13, v37, v27 op_sel_hi:[1,1,0]
	v_fma_mix_f32 v11, v11, v37, v26 op_sel:[1,1,0] op_sel_hi:[1,1,0]
	v_fma_mix_f32 v13, v13, v37, v27 op_sel:[1,1,0] op_sel_hi:[1,1,0]
	v_fma_mix_f32 v11, v12, v38, v11 op_sel_hi:[1,1,0]
	v_fma_mix_f32 v13, v14, v38, v13 op_sel_hi:[1,1,0]
	v_fma_mix_f32 v11, v12, v38, v11 op_sel:[1,1,0] op_sel_hi:[1,1,0]
	v_fma_mix_f32 v12, v14, v38, v13 op_sel:[1,1,0] op_sel_hi:[1,1,0]
	v_add_co_u32_e32 v7, vcc, 0x800, v7
	s_waitcnt vmcnt(1)
	v_fma_mix_f32 v6, v21, v39, v6 op_sel_hi:[1,1,0]
	v_fma_mix_f32 v13, v23, v39, v25 op_sel_hi:[1,1,0]
	v_addc_co_u32_e32 v8, vcc, 0, v8, vcc
	v_fma_mix_f32 v6, v21, v39, v6 op_sel:[1,1,0] op_sel_hi:[1,1,0]
	v_fma_mix_f32 v13, v23, v39, v13 op_sel:[1,1,0] op_sel_hi:[1,1,0]
	v_cmp_ge_i32_e32 vcc, v5, v10
	v_fma_mix_f32 v6, v22, v40, v6 op_sel_hi:[1,1,0]
	v_fma_mix_f32 v13, v24, v40, v13 op_sel_hi:[1,1,0]
	s_or_b64 s[10:11], vcc, s[10:11]
	v_fma_mix_f32 v14, v22, v40, v6 op_sel:[1,1,0] op_sel_hi:[1,1,0]
	v_fma_mix_f32 v13, v24, v40, v13 op_sel:[1,1,0] op_sel_hi:[1,1,0]
	s_waitcnt vmcnt(0)
	v_fma_mix_f32 v11, v17, v39, v11 op_sel_hi:[1,1,0]
	v_fma_mix_f32 v12, v19, v39, v12 op_sel_hi:[1,1,0]
	v_fma_mix_f32 v11, v17, v39, v11 op_sel:[1,1,0] op_sel_hi:[1,1,0]
	v_fma_mix_f32 v12, v19, v39, v12 op_sel:[1,1,0] op_sel_hi:[1,1,0]
	v_fma_mix_f32 v11, v18, v40, v11 op_sel_hi:[1,1,0]
	v_fma_mix_f32 v17, v20, v40, v12 op_sel_hi:[1,1,0]
	v_fma_mix_f32 v12, v18, v40, v11 op_sel:[1,1,0] op_sel_hi:[1,1,0]
	v_fma_mix_f32 v11, v20, v40, v17 op_sel:[1,1,0] op_sel_hi:[1,1,0]
	s_andn2_b64 exec, exec, s[10:11]
	s_cbranch_execnz .LBB92_21
; %bb.22:
	s_or_b64 exec, exec, s[10:11]
.LBB92_23:
	s_or_b64 exec, exec, s[2:3]
.LBB92_24:
	s_or_b64 exec, exec, s[8:9]
	s_cbranch_execz .LBB92_26
	s_branch .LBB92_37
.LBB92_25:
                                        ; implicit-def: $vgpr11
                                        ; implicit-def: $vgpr12
                                        ; implicit-def: $vgpr13
                                        ; implicit-def: $vgpr14
.LBB92_26:
	v_mov_b32_e32 v11, 0
	v_mov_b32_e32 v12, 0
	;; [unrolled: 1-line block ×4, first 2 shown]
	s_and_saveexec_b64 s[2:3], s[0:1]
	s_cbranch_execz .LBB92_36
; %bb.27:
	v_add_u32_e32 v1, v15, v9
	v_subrev_u32_e32 v1, s20, v1
	v_add_u32_e32 v1, 16, v1
	v_max_i32_e32 v1, v1, v10
	v_not_b32_e32 v5, v15
	v_add3_u32 v1, s20, v1, v5
	v_sub_u32_e32 v5, v1, v9
	v_and_b32_e32 v1, 48, v5
	v_cmp_ne_u32_e32 vcc, 48, v1
	v_mov_b32_e32 v14, 0
	v_mov_b32_e32 v13, 0
	;; [unrolled: 1-line block ×4, first 2 shown]
	s_and_saveexec_b64 s[8:9], vcc
	s_cbranch_execz .LBB92_31
; %bb.28:
	v_lshrrev_b32_e32 v1, 4, v5
	v_add_u32_e32 v1, 1, v1
	v_and_b32_e32 v1, 3, v1
	v_sub_u32_e32 v6, 0, v1
	v_mov_b32_e32 v11, 0
	s_mov_b64 s[10:11], 0
	v_mov_b32_e32 v7, s13
	v_mov_b32_e32 v8, s7
	;; [unrolled: 1-line block ×5, first 2 shown]
.LBB92_29:                              ; =>This Inner Loop Header: Depth=1
	v_ashrrev_i32_e32 v1, 31, v0
	v_lshlrev_b64 v[15:16], 2, v[0:1]
	v_add_co_u32_e64 v6, s[0:1], 1, v6
	v_add_co_u32_e32 v19, vcc, s12, v15
	v_addc_co_u32_e32 v20, vcc, v7, v16, vcc
	global_load_dword v1, v[19:20], off
	global_load_dwordx4 v[15:18], v[2:3], off
	v_add_u32_e32 v0, 16, v0
	s_or_b64 s[10:11], s[0:1], s[10:11]
	s_waitcnt vmcnt(1)
	v_subrev_u32_e32 v1, s20, v1
	v_lshlrev_b32_e32 v19, 2, v1
	v_ashrrev_i32_e32 v20, 31, v19
	v_lshlrev_b64 v[19:20], 1, v[19:20]
	v_add_co_u32_e32 v23, vcc, s6, v19
	v_addc_co_u32_e32 v24, vcc, v8, v20, vcc
	global_load_dwordx2 v[25:26], v[23:24], off
	global_load_dwordx4 v[19:22], v[2:3], off offset:16
	v_add_co_u32_e32 v2, vcc, 0x200, v2
	v_addc_co_u32_e32 v3, vcc, 0, v3, vcc
	s_waitcnt vmcnt(1)
	v_fma_mix_f32 v1, v15, v25, v14 op_sel_hi:[1,1,0]
	v_fma_mix_f32 v13, v15, v25, v13 op_sel:[1,0,0] op_sel_hi:[1,1,0]
	v_fma_mix_f32 v12, v16, v25, v12 op_sel_hi:[1,1,0]
	v_fma_mix_f32 v11, v16, v25, v11 op_sel:[1,0,0] op_sel_hi:[1,1,0]
	v_fma_mix_f32 v1, v17, v25, v1 op_sel:[0,1,0] op_sel_hi:[1,1,0]
	;; [unrolled: 1-line block ×5, first 2 shown]
	s_waitcnt vmcnt(0)
	v_fma_mix_f32 v1, v19, v26, v1 op_sel_hi:[1,1,0]
	v_fma_mix_f32 v13, v19, v26, v13 op_sel:[1,0,0] op_sel_hi:[1,1,0]
	v_fma_mix_f32 v12, v20, v26, v12 op_sel_hi:[1,1,0]
	v_fma_mix_f32 v11, v20, v26, v11 op_sel:[1,0,0] op_sel_hi:[1,1,0]
	v_fma_mix_f32 v14, v21, v26, v1 op_sel:[0,1,0] op_sel_hi:[1,1,0]
	;; [unrolled: 1-line block ×5, first 2 shown]
	s_andn2_b64 exec, exec, s[10:11]
	s_cbranch_execnz .LBB92_29
; %bb.30:
	s_or_b64 exec, exec, s[10:11]
.LBB92_31:
	s_or_b64 exec, exec, s[8:9]
	v_cmp_lt_u32_e32 vcc, 47, v5
	s_and_saveexec_b64 s[0:1], vcc
	s_cbranch_execz .LBB92_35
; %bb.32:
	s_mov_b64 s[8:9], 0
	v_mov_b32_e32 v5, s13
	v_mov_b32_e32 v6, s7
.LBB92_33:                              ; =>This Inner Loop Header: Depth=1
	v_ashrrev_i32_e32 v1, 31, v0
	v_lshlrev_b64 v[7:8], 2, v[0:1]
	global_load_dwordx4 v[15:18], v[2:3], off
	v_add_co_u32_e32 v7, vcc, s12, v7
	v_addc_co_u32_e32 v8, vcc, v5, v8, vcc
	global_load_dword v1, v[7:8], off
	global_load_dword v19, v[7:8], off offset:64
	global_load_dword v20, v[7:8], off offset:128
	;; [unrolled: 1-line block ×3, first 2 shown]
	v_add_u32_e32 v0, 64, v0
	s_waitcnt vmcnt(3)
	v_subrev_u32_e32 v1, s20, v1
	s_waitcnt vmcnt(2)
	v_subrev_u32_e32 v8, s20, v19
	v_lshlrev_b32_e32 v7, 2, v1
	v_lshlrev_b32_e32 v19, 2, v8
	v_ashrrev_i32_e32 v8, 31, v7
	s_waitcnt vmcnt(1)
	v_subrev_u32_e32 v20, s20, v20
	v_lshlrev_b64 v[7:8], 1, v[7:8]
	s_waitcnt vmcnt(0)
	v_subrev_u32_e32 v22, s20, v21
	v_lshlrev_b32_e32 v21, 2, v20
	v_ashrrev_i32_e32 v20, 31, v19
	v_lshlrev_b64 v[19:20], 1, v[19:20]
	v_add_co_u32_e32 v7, vcc, s6, v7
	v_lshlrev_b32_e32 v23, 2, v22
	v_ashrrev_i32_e32 v22, 31, v21
	v_addc_co_u32_e32 v8, vcc, v6, v8, vcc
	v_lshlrev_b64 v[21:22], 1, v[21:22]
	v_add_co_u32_e32 v25, vcc, s6, v19
	v_ashrrev_i32_e32 v24, 31, v23
	v_addc_co_u32_e32 v26, vcc, v6, v20, vcc
	v_lshlrev_b64 v[23:24], 1, v[23:24]
	v_add_co_u32_e32 v27, vcc, s6, v21
	v_addc_co_u32_e32 v28, vcc, v6, v22, vcc
	v_add_co_u32_e32 v23, vcc, s6, v23
	v_addc_co_u32_e32 v24, vcc, v6, v24, vcc
	global_load_dwordx4 v[19:22], v[2:3], off offset:16
	global_load_dwordx2 v[29:30], v[7:8], off
	global_load_dwordx2 v[31:32], v[25:26], off
	;; [unrolled: 1-line block ×4, first 2 shown]
	s_waitcnt vmcnt(3)
	v_fma_mix_f32 v11, v16, v29, v11 op_sel:[1,0,0] op_sel_hi:[1,1,0]
	v_fma_mix_f32 v1, v15, v29, v14 op_sel_hi:[1,1,0]
	v_fma_mix_f32 v7, v15, v29, v13 op_sel:[1,0,0] op_sel_hi:[1,1,0]
	v_fma_mix_f32 v8, v16, v29, v12 op_sel_hi:[1,1,0]
	v_fma_mix_f32 v15, v18, v29, v11 op_sel:[1,1,0] op_sel_hi:[1,1,0]
	global_load_dwordx4 v[11:14], v[2:3], off offset:512
	v_fma_mix_f32 v1, v17, v29, v1 op_sel:[0,1,0] op_sel_hi:[1,1,0]
	v_fma_mix_f32 v7, v17, v29, v7 op_sel:[1,1,0] op_sel_hi:[1,1,0]
	v_fma_mix_f32 v15, v20, v30, v15 op_sel:[1,0,0] op_sel_hi:[1,1,0]
	v_fma_mix_f32 v8, v18, v29, v8 op_sel:[0,1,0] op_sel_hi:[1,1,0]
	v_fma_mix_f32 v1, v19, v30, v1 op_sel_hi:[1,1,0]
	v_fma_mix_f32 v7, v19, v30, v7 op_sel:[1,0,0] op_sel_hi:[1,1,0]
	v_fma_mix_f32 v19, v22, v30, v15 op_sel:[1,1,0] op_sel_hi:[1,1,0]
	global_load_dwordx4 v[15:18], v[2:3], off offset:528
	v_fma_mix_f32 v8, v20, v30, v8 op_sel_hi:[1,1,0]
	v_fma_mix_f32 v1, v21, v30, v1 op_sel:[0,1,0] op_sel_hi:[1,1,0]
	v_fma_mix_f32 v7, v21, v30, v7 op_sel:[1,1,0] op_sel_hi:[1,1,0]
	v_fma_mix_f32 v8, v22, v30, v8 op_sel:[0,1,0] op_sel_hi:[1,1,0]
	s_waitcnt vmcnt(1)
	v_fma_mix_f32 v1, v11, v31, v1 op_sel_hi:[1,1,0]
	v_fma_mix_f32 v7, v11, v31, v7 op_sel:[1,0,0] op_sel_hi:[1,1,0]
	v_fma_mix_f32 v8, v12, v31, v8 op_sel_hi:[1,1,0]
	v_fma_mix_f32 v11, v12, v31, v19 op_sel:[1,0,0] op_sel_hi:[1,1,0]
	v_fma_mix_f32 v1, v13, v31, v1 op_sel:[0,1,0] op_sel_hi:[1,1,0]
	;; [unrolled: 1-line block ×5, first 2 shown]
	global_load_dwordx4 v[11:14], v[2:3], off offset:1024
	s_waitcnt vmcnt(1)
	v_fma_mix_f32 v1, v15, v32, v1 op_sel_hi:[1,1,0]
	v_fma_mix_f32 v7, v15, v32, v7 op_sel:[1,0,0] op_sel_hi:[1,1,0]
	v_fma_mix_f32 v8, v16, v32, v8 op_sel_hi:[1,1,0]
	v_fma_mix_f32 v15, v16, v32, v19 op_sel:[1,0,0] op_sel_hi:[1,1,0]
	v_fma_mix_f32 v1, v17, v32, v1 op_sel:[0,1,0] op_sel_hi:[1,1,0]
	v_fma_mix_f32 v7, v17, v32, v7 op_sel:[1,1,0] op_sel_hi:[1,1,0]
	v_fma_mix_f32 v8, v18, v32, v8 op_sel:[0,1,0] op_sel_hi:[1,1,0]
	v_fma_mix_f32 v23, v18, v32, v15 op_sel:[1,1,0] op_sel_hi:[1,1,0]
	global_load_dwordx4 v[15:18], v[2:3], off offset:1040
	global_load_dwordx4 v[19:22], v[2:3], off offset:1536
	s_waitcnt vmcnt(2)
	v_fma_mix_f32 v1, v11, v33, v1 op_sel_hi:[1,1,0]
	v_fma_mix_f32 v7, v11, v33, v7 op_sel:[1,0,0] op_sel_hi:[1,1,0]
	v_fma_mix_f32 v11, v12, v33, v23 op_sel:[1,0,0] op_sel_hi:[1,1,0]
	global_load_dwordx4 v[23:26], v[2:3], off offset:1552
	v_fma_mix_f32 v8, v12, v33, v8 op_sel_hi:[1,1,0]
	v_fma_mix_f32 v1, v13, v33, v1 op_sel:[0,1,0] op_sel_hi:[1,1,0]
	v_fma_mix_f32 v7, v13, v33, v7 op_sel:[1,1,0] op_sel_hi:[1,1,0]
	v_fma_mix_f32 v8, v14, v33, v8 op_sel:[0,1,0] op_sel_hi:[1,1,0]
	v_fma_mix_f32 v11, v14, v33, v11 op_sel:[1,1,0] op_sel_hi:[1,1,0]
	s_waitcnt vmcnt(2)
	v_fma_mix_f32 v1, v15, v34, v1 op_sel_hi:[1,1,0]
	v_fma_mix_f32 v7, v15, v34, v7 op_sel:[1,0,0] op_sel_hi:[1,1,0]
	v_fma_mix_f32 v8, v16, v34, v8 op_sel_hi:[1,1,0]
	v_fma_mix_f32 v11, v16, v34, v11 op_sel:[1,0,0] op_sel_hi:[1,1,0]
	v_fma_mix_f32 v1, v17, v34, v1 op_sel:[0,1,0] op_sel_hi:[1,1,0]
	;; [unrolled: 1-line block ×5, first 2 shown]
	v_add_co_u32_e32 v2, vcc, 0x800, v2
	s_waitcnt vmcnt(1)
	v_fma_mix_f32 v1, v19, v35, v1 op_sel_hi:[1,1,0]
	v_fma_mix_f32 v7, v19, v35, v7 op_sel:[1,0,0] op_sel_hi:[1,1,0]
	v_fma_mix_f32 v8, v20, v35, v8 op_sel_hi:[1,1,0]
	v_fma_mix_f32 v11, v20, v35, v11 op_sel:[1,0,0] op_sel_hi:[1,1,0]
	v_addc_co_u32_e32 v3, vcc, 0, v3, vcc
	v_fma_mix_f32 v1, v21, v35, v1 op_sel:[0,1,0] op_sel_hi:[1,1,0]
	v_fma_mix_f32 v7, v21, v35, v7 op_sel:[1,1,0] op_sel_hi:[1,1,0]
	;; [unrolled: 1-line block ×4, first 2 shown]
	v_cmp_ge_i32_e32 vcc, v0, v10
	s_or_b64 s[8:9], vcc, s[8:9]
	s_waitcnt vmcnt(0)
	v_fma_mix_f32 v1, v23, v36, v1 op_sel_hi:[1,1,0]
	v_fma_mix_f32 v7, v23, v36, v7 op_sel:[1,0,0] op_sel_hi:[1,1,0]
	v_fma_mix_f32 v8, v24, v36, v8 op_sel_hi:[1,1,0]
	v_fma_mix_f32 v11, v24, v36, v11 op_sel:[1,0,0] op_sel_hi:[1,1,0]
	v_fma_mix_f32 v14, v25, v36, v1 op_sel:[0,1,0] op_sel_hi:[1,1,0]
	;; [unrolled: 1-line block ×5, first 2 shown]
	s_andn2_b64 exec, exec, s[8:9]
	s_cbranch_execnz .LBB92_33
; %bb.34:
	s_or_b64 exec, exec, s[8:9]
.LBB92_35:
	s_or_b64 exec, exec, s[0:1]
.LBB92_36:
	s_or_b64 exec, exec, s[2:3]
.LBB92_37:
	v_mov_b32_dpp v0, v14 row_shr:1 row_mask:0xf bank_mask:0xf
	v_mov_b32_dpp v2, v13 row_shr:1 row_mask:0xf bank_mask:0xf
	v_mov_b32_dpp v5, v12 row_shr:1 row_mask:0xf bank_mask:0xf
	v_mov_b32_dpp v7, v11 row_shr:1 row_mask:0xf bank_mask:0xf
	v_add_f32_e32 v0, v14, v0
	v_add_f32_e32 v2, v13, v2
	v_add_f32_e32 v5, v12, v5
	v_add_f32_e32 v7, v11, v7
	v_mov_b32_dpp v1, v0 row_shr:2 row_mask:0xf bank_mask:0xf
	v_mov_b32_dpp v3, v2 row_shr:2 row_mask:0xf bank_mask:0xf
	v_mov_b32_dpp v6, v5 row_shr:2 row_mask:0xf bank_mask:0xf
	v_mov_b32_dpp v8, v7 row_shr:2 row_mask:0xf bank_mask:0xf
	v_add_f32_e32 v0, v0, v1
	v_add_f32_e32 v2, v2, v3
	v_add_f32_e32 v5, v5, v6
	v_add_f32_e32 v7, v7, v8
	;; [unrolled: 8-line block ×3, first 2 shown]
	v_mov_b32_dpp v1, v0 row_shr:8 row_mask:0xf bank_mask:0xc
	v_mov_b32_dpp v3, v2 row_shr:8 row_mask:0xf bank_mask:0xc
	;; [unrolled: 1-line block ×4, first 2 shown]
	v_cmp_eq_u32_e32 vcc, 15, v9
	s_and_b64 exec, exec, vcc
	s_cbranch_execz .LBB92_10
; %bb.38:
	s_load_dwordx2 s[0:1], s[4:5], 0x50
	v_add_f32_e32 v0, v0, v1
	v_add_f32_e32 v1, v2, v3
	;; [unrolled: 1-line block ×4, first 2 shown]
	v_cmp_eq_f32_e64 s[2:3], s16, 0
	s_and_b64 vcc, exec, s[2:3]
	v_mul_f32_e32 v0, s18, v0
	v_mul_f32_e32 v1, s18, v1
	;; [unrolled: 1-line block ×4, first 2 shown]
	v_lshlrev_b32_e32 v4, 2, v4
	s_cbranch_vccz .LBB92_40
; %bb.39:
	v_ashrrev_i32_e32 v5, 31, v4
	v_lshlrev_b64 v[5:6], 2, v[4:5]
	s_waitcnt lgkmcnt(0)
	v_mov_b32_e32 v7, s1
	v_add_co_u32_e32 v5, vcc, s0, v5
	v_addc_co_u32_e32 v6, vcc, v7, v6, vcc
	global_store_dwordx4 v[5:6], v[0:3], off
	s_cbranch_execnz .LBB92_10
	s_branch .LBB92_41
.LBB92_40:
.LBB92_41:
	v_ashrrev_i32_e32 v5, 31, v4
	v_lshlrev_b64 v[4:5], 2, v[4:5]
	s_waitcnt lgkmcnt(0)
	v_mov_b32_e32 v6, s1
	v_add_co_u32_e32 v8, vcc, s0, v4
	v_addc_co_u32_e32 v9, vcc, v6, v5, vcc
	global_load_dwordx4 v[4:7], v[8:9], off
	s_waitcnt vmcnt(0)
	v_fmac_f32_e32 v0, s16, v4
	v_fmac_f32_e32 v1, s16, v5
	;; [unrolled: 1-line block ×4, first 2 shown]
	global_store_dwordx4 v[8:9], v[0:3], off
	s_endpgm
	.section	.rodata,"a",@progbits
	.p2align	6, 0x0
	.amdhsa_kernel _ZN9rocsparseL18bsrxmvn_4x4_kernelILj128ELj16EfiiDF16_DF16_fEEvT3_20rocsparse_direction_NS_24const_host_device_scalarIT1_EES1_PKS1_PKT2_SA_S7_PKT4_PKT5_S5_PT6_21rocsparse_index_base_b
		.amdhsa_group_segment_fixed_size 0
		.amdhsa_private_segment_fixed_size 0
		.amdhsa_kernarg_size 96
		.amdhsa_user_sgpr_count 6
		.amdhsa_user_sgpr_private_segment_buffer 1
		.amdhsa_user_sgpr_dispatch_ptr 0
		.amdhsa_user_sgpr_queue_ptr 0
		.amdhsa_user_sgpr_kernarg_segment_ptr 1
		.amdhsa_user_sgpr_dispatch_id 0
		.amdhsa_user_sgpr_flat_scratch_init 0
		.amdhsa_user_sgpr_private_segment_size 0
		.amdhsa_uses_dynamic_stack 0
		.amdhsa_system_sgpr_private_segment_wavefront_offset 0
		.amdhsa_system_sgpr_workgroup_id_x 1
		.amdhsa_system_sgpr_workgroup_id_y 0
		.amdhsa_system_sgpr_workgroup_id_z 0
		.amdhsa_system_sgpr_workgroup_info 0
		.amdhsa_system_vgpr_workitem_id 0
		.amdhsa_next_free_vgpr 41
		.amdhsa_next_free_sgpr 22
		.amdhsa_reserve_vcc 1
		.amdhsa_reserve_flat_scratch 0
		.amdhsa_float_round_mode_32 0
		.amdhsa_float_round_mode_16_64 0
		.amdhsa_float_denorm_mode_32 3
		.amdhsa_float_denorm_mode_16_64 3
		.amdhsa_dx10_clamp 1
		.amdhsa_ieee_mode 1
		.amdhsa_fp16_overflow 0
		.amdhsa_exception_fp_ieee_invalid_op 0
		.amdhsa_exception_fp_denorm_src 0
		.amdhsa_exception_fp_ieee_div_zero 0
		.amdhsa_exception_fp_ieee_overflow 0
		.amdhsa_exception_fp_ieee_underflow 0
		.amdhsa_exception_fp_ieee_inexact 0
		.amdhsa_exception_int_div_zero 0
	.end_amdhsa_kernel
	.section	.text._ZN9rocsparseL18bsrxmvn_4x4_kernelILj128ELj16EfiiDF16_DF16_fEEvT3_20rocsparse_direction_NS_24const_host_device_scalarIT1_EES1_PKS1_PKT2_SA_S7_PKT4_PKT5_S5_PT6_21rocsparse_index_base_b,"axG",@progbits,_ZN9rocsparseL18bsrxmvn_4x4_kernelILj128ELj16EfiiDF16_DF16_fEEvT3_20rocsparse_direction_NS_24const_host_device_scalarIT1_EES1_PKS1_PKT2_SA_S7_PKT4_PKT5_S5_PT6_21rocsparse_index_base_b,comdat
.Lfunc_end92:
	.size	_ZN9rocsparseL18bsrxmvn_4x4_kernelILj128ELj16EfiiDF16_DF16_fEEvT3_20rocsparse_direction_NS_24const_host_device_scalarIT1_EES1_PKS1_PKT2_SA_S7_PKT4_PKT5_S5_PT6_21rocsparse_index_base_b, .Lfunc_end92-_ZN9rocsparseL18bsrxmvn_4x4_kernelILj128ELj16EfiiDF16_DF16_fEEvT3_20rocsparse_direction_NS_24const_host_device_scalarIT1_EES1_PKS1_PKT2_SA_S7_PKT4_PKT5_S5_PT6_21rocsparse_index_base_b
                                        ; -- End function
	.set _ZN9rocsparseL18bsrxmvn_4x4_kernelILj128ELj16EfiiDF16_DF16_fEEvT3_20rocsparse_direction_NS_24const_host_device_scalarIT1_EES1_PKS1_PKT2_SA_S7_PKT4_PKT5_S5_PT6_21rocsparse_index_base_b.num_vgpr, 41
	.set _ZN9rocsparseL18bsrxmvn_4x4_kernelILj128ELj16EfiiDF16_DF16_fEEvT3_20rocsparse_direction_NS_24const_host_device_scalarIT1_EES1_PKS1_PKT2_SA_S7_PKT4_PKT5_S5_PT6_21rocsparse_index_base_b.num_agpr, 0
	.set _ZN9rocsparseL18bsrxmvn_4x4_kernelILj128ELj16EfiiDF16_DF16_fEEvT3_20rocsparse_direction_NS_24const_host_device_scalarIT1_EES1_PKS1_PKT2_SA_S7_PKT4_PKT5_S5_PT6_21rocsparse_index_base_b.numbered_sgpr, 22
	.set _ZN9rocsparseL18bsrxmvn_4x4_kernelILj128ELj16EfiiDF16_DF16_fEEvT3_20rocsparse_direction_NS_24const_host_device_scalarIT1_EES1_PKS1_PKT2_SA_S7_PKT4_PKT5_S5_PT6_21rocsparse_index_base_b.num_named_barrier, 0
	.set _ZN9rocsparseL18bsrxmvn_4x4_kernelILj128ELj16EfiiDF16_DF16_fEEvT3_20rocsparse_direction_NS_24const_host_device_scalarIT1_EES1_PKS1_PKT2_SA_S7_PKT4_PKT5_S5_PT6_21rocsparse_index_base_b.private_seg_size, 0
	.set _ZN9rocsparseL18bsrxmvn_4x4_kernelILj128ELj16EfiiDF16_DF16_fEEvT3_20rocsparse_direction_NS_24const_host_device_scalarIT1_EES1_PKS1_PKT2_SA_S7_PKT4_PKT5_S5_PT6_21rocsparse_index_base_b.uses_vcc, 1
	.set _ZN9rocsparseL18bsrxmvn_4x4_kernelILj128ELj16EfiiDF16_DF16_fEEvT3_20rocsparse_direction_NS_24const_host_device_scalarIT1_EES1_PKS1_PKT2_SA_S7_PKT4_PKT5_S5_PT6_21rocsparse_index_base_b.uses_flat_scratch, 0
	.set _ZN9rocsparseL18bsrxmvn_4x4_kernelILj128ELj16EfiiDF16_DF16_fEEvT3_20rocsparse_direction_NS_24const_host_device_scalarIT1_EES1_PKS1_PKT2_SA_S7_PKT4_PKT5_S5_PT6_21rocsparse_index_base_b.has_dyn_sized_stack, 0
	.set _ZN9rocsparseL18bsrxmvn_4x4_kernelILj128ELj16EfiiDF16_DF16_fEEvT3_20rocsparse_direction_NS_24const_host_device_scalarIT1_EES1_PKS1_PKT2_SA_S7_PKT4_PKT5_S5_PT6_21rocsparse_index_base_b.has_recursion, 0
	.set _ZN9rocsparseL18bsrxmvn_4x4_kernelILj128ELj16EfiiDF16_DF16_fEEvT3_20rocsparse_direction_NS_24const_host_device_scalarIT1_EES1_PKS1_PKT2_SA_S7_PKT4_PKT5_S5_PT6_21rocsparse_index_base_b.has_indirect_call, 0
	.section	.AMDGPU.csdata,"",@progbits
; Kernel info:
; codeLenInByte = 3380
; TotalNumSgprs: 26
; NumVgprs: 41
; ScratchSize: 0
; MemoryBound: 0
; FloatMode: 240
; IeeeMode: 1
; LDSByteSize: 0 bytes/workgroup (compile time only)
; SGPRBlocks: 3
; VGPRBlocks: 10
; NumSGPRsForWavesPerEU: 26
; NumVGPRsForWavesPerEU: 41
; Occupancy: 5
; WaveLimiterHint : 1
; COMPUTE_PGM_RSRC2:SCRATCH_EN: 0
; COMPUTE_PGM_RSRC2:USER_SGPR: 6
; COMPUTE_PGM_RSRC2:TRAP_HANDLER: 0
; COMPUTE_PGM_RSRC2:TGID_X_EN: 1
; COMPUTE_PGM_RSRC2:TGID_Y_EN: 0
; COMPUTE_PGM_RSRC2:TGID_Z_EN: 0
; COMPUTE_PGM_RSRC2:TIDIG_COMP_CNT: 0
	.section	.text._ZN9rocsparseL18bsrxmvn_4x4_kernelILj128ELj32EfiiDF16_DF16_fEEvT3_20rocsparse_direction_NS_24const_host_device_scalarIT1_EES1_PKS1_PKT2_SA_S7_PKT4_PKT5_S5_PT6_21rocsparse_index_base_b,"axG",@progbits,_ZN9rocsparseL18bsrxmvn_4x4_kernelILj128ELj32EfiiDF16_DF16_fEEvT3_20rocsparse_direction_NS_24const_host_device_scalarIT1_EES1_PKS1_PKT2_SA_S7_PKT4_PKT5_S5_PT6_21rocsparse_index_base_b,comdat
	.globl	_ZN9rocsparseL18bsrxmvn_4x4_kernelILj128ELj32EfiiDF16_DF16_fEEvT3_20rocsparse_direction_NS_24const_host_device_scalarIT1_EES1_PKS1_PKT2_SA_S7_PKT4_PKT5_S5_PT6_21rocsparse_index_base_b ; -- Begin function _ZN9rocsparseL18bsrxmvn_4x4_kernelILj128ELj32EfiiDF16_DF16_fEEvT3_20rocsparse_direction_NS_24const_host_device_scalarIT1_EES1_PKS1_PKT2_SA_S7_PKT4_PKT5_S5_PT6_21rocsparse_index_base_b
	.p2align	8
	.type	_ZN9rocsparseL18bsrxmvn_4x4_kernelILj128ELj32EfiiDF16_DF16_fEEvT3_20rocsparse_direction_NS_24const_host_device_scalarIT1_EES1_PKS1_PKT2_SA_S7_PKT4_PKT5_S5_PT6_21rocsparse_index_base_b,@function
_ZN9rocsparseL18bsrxmvn_4x4_kernelILj128ELj32EfiiDF16_DF16_fEEvT3_20rocsparse_direction_NS_24const_host_device_scalarIT1_EES1_PKS1_PKT2_SA_S7_PKT4_PKT5_S5_PT6_21rocsparse_index_base_b: ; @_ZN9rocsparseL18bsrxmvn_4x4_kernelILj128ELj32EfiiDF16_DF16_fEEvT3_20rocsparse_direction_NS_24const_host_device_scalarIT1_EES1_PKS1_PKT2_SA_S7_PKT4_PKT5_S5_PT6_21rocsparse_index_base_b
; %bb.0:
	s_load_dwordx2 s[20:21], s[4:5], 0x58
	s_load_dwordx2 s[18:19], s[4:5], 0x8
	;; [unrolled: 1-line block ×3, first 2 shown]
	s_waitcnt lgkmcnt(0)
	s_bitcmp1_b32 s21, 0
	s_cselect_b64 s[2:3], -1, 0
	s_xor_b64 s[0:1], s[2:3], -1
	s_and_b64 vcc, exec, s[2:3]
	s_cbranch_vccnz .LBB93_2
; %bb.1:
	s_load_dword s18, s[18:19], 0x0
.LBB93_2:
	s_andn2_b64 vcc, exec, s[0:1]
	s_cbranch_vccnz .LBB93_4
; %bb.3:
	s_load_dword s16, s[16:17], 0x0
.LBB93_4:
	s_waitcnt lgkmcnt(0)
	v_cmp_neq_f32_e64 s[0:1], s18, 0
	v_cmp_neq_f32_e64 s[2:3], s16, 1.0
	s_or_b64 s[0:1], s[0:1], s[2:3]
	s_andn2_b64 vcc, exec, s[0:1]
	s_cbranch_vccnz .LBB93_10
; %bb.5:
	s_load_dwordx2 s[8:9], s[4:5], 0x18
	s_load_dwordx2 s[0:1], s[4:5], 0x0
	v_lshrrev_b32_e32 v1, 5, v0
	v_lshl_or_b32 v4, s6, 2, v1
	s_mov_b64 s[2:3], 0
	s_waitcnt lgkmcnt(0)
	s_cmp_lg_u64 s[8:9], 0
	s_cbranch_scc0 .LBB93_11
; %bb.6:
	s_load_dword s6, s[4:5], 0x10
                                        ; implicit-def: $vgpr1
	s_waitcnt lgkmcnt(0)
	v_cmp_gt_i32_e32 vcc, s6, v4
	s_and_saveexec_b64 s[6:7], vcc
	s_xor_b64 s[6:7], exec, s[6:7]
	s_cbranch_execz .LBB93_8
; %bb.7:
	v_ashrrev_i32_e32 v5, 31, v4
	v_lshlrev_b64 v[1:2], 2, v[4:5]
	v_mov_b32_e32 v3, s9
	v_add_co_u32_e32 v1, vcc, s8, v1
	v_addc_co_u32_e32 v2, vcc, v3, v2, vcc
	global_load_dword v1, v[1:2], off
	s_mov_b64 s[2:3], exec
	s_waitcnt vmcnt(0)
	v_subrev_u32_e32 v1, s20, v1
.LBB93_8:
	s_or_b64 exec, exec, s[6:7]
	s_branch .LBB93_12
.LBB93_9:
	v_cmp_gt_i32_e32 vcc, s0, v4
	s_andn2_b64 s[2:3], s[2:3], exec
	s_and_b64 s[6:7], vcc, exec
	s_or_b64 s[2:3], s[2:3], s[6:7]
	s_and_saveexec_b64 s[6:7], s[2:3]
	s_cbranch_execnz .LBB93_13
.LBB93_10:
	s_endpgm
.LBB93_11:
                                        ; implicit-def: $vgpr1
	s_cbranch_execnz .LBB93_9
.LBB93_12:
	v_mov_b32_e32 v4, v1
	s_and_saveexec_b64 s[6:7], s[2:3]
	s_cbranch_execz .LBB93_10
.LBB93_13:
	s_load_dwordx8 s[8:15], s[4:5], 0x20
	v_ashrrev_i32_e32 v5, 31, v4
	v_lshlrev_b64 v[1:2], 2, v[4:5]
	v_and_b32_e32 v9, 31, v0
	s_load_dwordx2 s[6:7], s[4:5], 0x40
	s_waitcnt lgkmcnt(0)
	v_mov_b32_e32 v3, s9
	v_add_co_u32_e32 v5, vcc, s8, v1
	v_addc_co_u32_e32 v6, vcc, v3, v2, vcc
	v_add_co_u32_e32 v3, vcc, 4, v5
	global_load_dword v15, v[5:6], off
	v_addc_co_u32_e32 v5, vcc, 0, v6, vcc
	v_mov_b32_e32 v6, s11
	v_add_co_u32_e32 v1, vcc, s10, v1
	s_cmp_eq_u64 s[10:11], 0
	v_addc_co_u32_e32 v2, vcc, v6, v2, vcc
	s_cselect_b64 vcc, -1, 0
	v_cndmask_b32_e32 v2, v2, v5, vcc
	v_cndmask_b32_e32 v1, v1, v3, vcc
	global_load_dword v1, v[1:2], off
	v_mov_b32_e32 v5, s15
	s_cmp_eq_u32 s1, 1
	s_waitcnt vmcnt(1)
	v_subrev_u32_e32 v0, s20, v15
	v_add_u32_e32 v0, v0, v9
	s_waitcnt vmcnt(0)
	v_subrev_u32_e32 v10, s20, v1
	v_ashrrev_i32_e32 v1, 31, v0
	v_lshlrev_b64 v[2:3], 5, v[0:1]
	v_cmp_lt_i32_e64 s[0:1], v0, v10
	v_add_co_u32_e32 v2, vcc, s14, v2
	v_addc_co_u32_e32 v3, vcc, v5, v3, vcc
	s_cbranch_scc1 .LBB93_25
; %bb.14:
	v_mov_b32_e32 v11, 0
	v_mov_b32_e32 v12, 0
	;; [unrolled: 1-line block ×4, first 2 shown]
	s_and_saveexec_b64 s[8:9], s[0:1]
	s_cbranch_execz .LBB93_24
; %bb.15:
	v_add_u32_e32 v1, v15, v9
	v_subrev_u32_e32 v1, s20, v1
	v_add_u32_e32 v1, 32, v1
	v_max_i32_e32 v1, v1, v10
	v_not_b32_e32 v5, v15
	v_add3_u32 v1, s20, v1, v5
	v_sub_u32_e32 v1, v1, v9
	s_movk_i32 s2, 0x60
	v_and_b32_e32 v5, 0x60, v1
	v_mov_b32_e32 v8, v3
	v_cmp_ne_u32_e32 vcc, s2, v5
	v_mov_b32_e32 v14, 0
	v_mov_b32_e32 v13, 0
	;; [unrolled: 1-line block ×6, first 2 shown]
	s_and_saveexec_b64 s[10:11], vcc
	s_cbranch_execz .LBB93_19
; %bb.16:
	v_lshrrev_b32_e32 v5, 5, v1
	v_add_u32_e32 v5, 1, v5
	v_and_b32_e32 v5, 3, v5
	v_mov_b32_e32 v8, v3
	v_sub_u32_e32 v16, 0, v5
	v_mov_b32_e32 v11, 0
	s_mov_b64 s[14:15], 0
	v_mov_b32_e32 v17, s13
	v_mov_b32_e32 v18, s7
	;; [unrolled: 1-line block ×7, first 2 shown]
.LBB93_17:                              ; =>This Inner Loop Header: Depth=1
	v_ashrrev_i32_e32 v6, 31, v5
	v_lshlrev_b64 v[19:20], 2, v[5:6]
	v_add_co_u32_e64 v16, s[2:3], 1, v16
	v_add_co_u32_e32 v27, vcc, s12, v19
	v_addc_co_u32_e32 v28, vcc, v17, v20, vcc
	global_load_dword v6, v[27:28], off
	global_load_dwordx4 v[19:22], v[7:8], off
	global_load_dwordx4 v[23:26], v[7:8], off offset:16
	v_add_u32_e32 v5, 32, v5
	s_or_b64 s[14:15], s[2:3], s[14:15]
	s_waitcnt vmcnt(2)
	v_subrev_u32_e32 v6, s20, v6
	v_lshlrev_b32_e32 v27, 2, v6
	v_ashrrev_i32_e32 v28, 31, v27
	v_lshlrev_b64 v[27:28], 1, v[27:28]
	v_add_co_u32_e32 v27, vcc, s6, v27
	v_addc_co_u32_e32 v28, vcc, v18, v28, vcc
	global_load_dwordx2 v[27:28], v[27:28], off
	v_add_co_u32_e32 v7, vcc, 0x400, v7
	v_addc_co_u32_e32 v8, vcc, 0, v8, vcc
	s_waitcnt vmcnt(0)
	v_fma_mix_f32 v6, v19, v27, v14 op_sel_hi:[1,1,0]
	v_fma_mix_f32 v13, v21, v27, v13 op_sel_hi:[1,1,0]
	;; [unrolled: 1-line block ×4, first 2 shown]
	v_fma_mix_f32 v6, v19, v27, v6 op_sel:[1,1,0] op_sel_hi:[1,1,0]
	v_fma_mix_f32 v13, v21, v27, v13 op_sel:[1,1,0] op_sel_hi:[1,1,0]
	;; [unrolled: 1-line block ×4, first 2 shown]
	v_fma_mix_f32 v6, v20, v28, v6 op_sel_hi:[1,1,0]
	v_fma_mix_f32 v13, v22, v28, v13 op_sel_hi:[1,1,0]
	;; [unrolled: 1-line block ×4, first 2 shown]
	v_fma_mix_f32 v14, v20, v28, v6 op_sel:[1,1,0] op_sel_hi:[1,1,0]
	v_fma_mix_f32 v13, v22, v28, v13 op_sel:[1,1,0] op_sel_hi:[1,1,0]
	;; [unrolled: 1-line block ×4, first 2 shown]
	s_andn2_b64 exec, exec, s[14:15]
	s_cbranch_execnz .LBB93_17
; %bb.18:
	s_or_b64 exec, exec, s[14:15]
.LBB93_19:
	s_or_b64 exec, exec, s[10:11]
	s_movk_i32 s2, 0x5f
	v_cmp_lt_u32_e32 vcc, s2, v1
	s_and_saveexec_b64 s[2:3], vcc
	s_cbranch_execz .LBB93_23
; %bb.20:
	s_mov_b64 s[10:11], 0
	v_mov_b32_e32 v1, s13
	v_mov_b32_e32 v16, s7
.LBB93_21:                              ; =>This Inner Loop Header: Depth=1
	v_ashrrev_i32_e32 v6, 31, v5
	v_lshlrev_b64 v[21:22], 2, v[5:6]
	global_load_dwordx4 v[17:20], v[7:8], off
	v_add_co_u32_e32 v21, vcc, s12, v21
	v_addc_co_u32_e32 v22, vcc, v1, v22, vcc
	global_load_dword v6, v[21:22], off
	global_load_dword v23, v[21:22], off offset:128
	global_load_dword v24, v[21:22], off offset:256
	;; [unrolled: 1-line block ×3, first 2 shown]
	v_add_u32_e32 v5, 0x80, v5
	s_waitcnt vmcnt(3)
	v_subrev_u32_e32 v6, s20, v6
	s_waitcnt vmcnt(2)
	v_subrev_u32_e32 v22, s20, v23
	v_lshlrev_b32_e32 v21, 2, v6
	v_lshlrev_b32_e32 v23, 2, v22
	v_ashrrev_i32_e32 v22, 31, v21
	s_waitcnt vmcnt(1)
	v_subrev_u32_e32 v24, s20, v24
	v_lshlrev_b64 v[21:22], 1, v[21:22]
	s_waitcnt vmcnt(0)
	v_subrev_u32_e32 v26, s20, v25
	v_lshlrev_b32_e32 v25, 2, v24
	v_ashrrev_i32_e32 v24, 31, v23
	v_lshlrev_b64 v[23:24], 1, v[23:24]
	v_add_co_u32_e32 v29, vcc, s6, v21
	v_lshlrev_b32_e32 v27, 2, v26
	v_ashrrev_i32_e32 v26, 31, v25
	v_addc_co_u32_e32 v30, vcc, v16, v22, vcc
	v_lshlrev_b64 v[25:26], 1, v[25:26]
	v_add_co_u32_e32 v31, vcc, s6, v23
	v_ashrrev_i32_e32 v28, 31, v27
	v_addc_co_u32_e32 v32, vcc, v16, v24, vcc
	v_lshlrev_b64 v[27:28], 1, v[27:28]
	v_add_co_u32_e32 v25, vcc, s6, v25
	v_addc_co_u32_e32 v26, vcc, v16, v26, vcc
	v_add_co_u32_e32 v27, vcc, s6, v27
	v_addc_co_u32_e32 v28, vcc, v16, v28, vcc
	global_load_dwordx4 v[21:24], v[7:8], off offset:16
	global_load_dwordx2 v[33:34], v[29:30], off
	global_load_dwordx2 v[35:36], v[31:32], off
	;; [unrolled: 1-line block ×4, first 2 shown]
	s_waitcnt vmcnt(3)
	v_fma_mix_f32 v6, v17, v33, v14 op_sel_hi:[1,1,0]
	v_fma_mix_f32 v13, v19, v33, v13 op_sel_hi:[1,1,0]
	v_fma_mix_f32 v6, v17, v33, v6 op_sel:[1,1,0] op_sel_hi:[1,1,0]
	v_fma_mix_f32 v13, v19, v33, v13 op_sel:[1,1,0] op_sel_hi:[1,1,0]
	v_fma_mix_f32 v6, v18, v34, v6 op_sel_hi:[1,1,0]
	v_fma_mix_f32 v13, v20, v34, v13 op_sel_hi:[1,1,0]
	v_fma_mix_f32 v6, v18, v34, v6 op_sel:[1,1,0] op_sel_hi:[1,1,0]
	v_fma_mix_f32 v25, v20, v34, v13 op_sel:[1,1,0] op_sel_hi:[1,1,0]
	global_load_dwordx4 v[17:20], v[7:8], off offset:1024
	v_fma_mix_f32 v12, v21, v33, v12 op_sel_hi:[1,1,0]
	v_fma_mix_f32 v11, v23, v33, v11 op_sel_hi:[1,1,0]
	v_fma_mix_f32 v12, v21, v33, v12 op_sel:[1,1,0] op_sel_hi:[1,1,0]
	v_fma_mix_f32 v11, v23, v33, v11 op_sel:[1,1,0] op_sel_hi:[1,1,0]
	v_fma_mix_f32 v12, v22, v34, v12 op_sel_hi:[1,1,0]
	v_fma_mix_f32 v11, v24, v34, v11 op_sel_hi:[1,1,0]
	v_fma_mix_f32 v21, v22, v34, v12 op_sel:[1,1,0] op_sel_hi:[1,1,0]
	v_fma_mix_f32 v22, v24, v34, v11 op_sel:[1,1,0] op_sel_hi:[1,1,0]
	global_load_dwordx4 v[11:14], v[7:8], off offset:1040
	s_waitcnt vmcnt(1)
	v_fma_mix_f32 v6, v17, v35, v6 op_sel_hi:[1,1,0]
	v_fma_mix_f32 v23, v19, v35, v25 op_sel_hi:[1,1,0]
	v_fma_mix_f32 v6, v17, v35, v6 op_sel:[1,1,0] op_sel_hi:[1,1,0]
	v_fma_mix_f32 v17, v19, v35, v23 op_sel:[1,1,0] op_sel_hi:[1,1,0]
	v_fma_mix_f32 v6, v18, v36, v6 op_sel_hi:[1,1,0]
	v_fma_mix_f32 v17, v20, v36, v17 op_sel_hi:[1,1,0]
	v_fma_mix_f32 v6, v18, v36, v6 op_sel:[1,1,0] op_sel_hi:[1,1,0]
	v_fma_mix_f32 v25, v20, v36, v17 op_sel:[1,1,0] op_sel_hi:[1,1,0]
	global_load_dwordx4 v[17:20], v[7:8], off offset:2048
	s_waitcnt vmcnt(1)
	v_fma_mix_f32 v21, v11, v35, v21 op_sel_hi:[1,1,0]
	v_fma_mix_f32 v22, v13, v35, v22 op_sel_hi:[1,1,0]
	v_fma_mix_f32 v11, v11, v35, v21 op_sel:[1,1,0] op_sel_hi:[1,1,0]
	v_fma_mix_f32 v13, v13, v35, v22 op_sel:[1,1,0] op_sel_hi:[1,1,0]
	v_fma_mix_f32 v11, v12, v36, v11 op_sel_hi:[1,1,0]
	v_fma_mix_f32 v13, v14, v36, v13 op_sel_hi:[1,1,0]
	v_fma_mix_f32 v26, v12, v36, v11 op_sel:[1,1,0] op_sel_hi:[1,1,0]
	v_fma_mix_f32 v27, v14, v36, v13 op_sel:[1,1,0] op_sel_hi:[1,1,0]
	global_load_dwordx4 v[11:14], v[7:8], off offset:2064
	global_load_dwordx4 v[21:24], v[7:8], off offset:3072
	s_waitcnt vmcnt(2)
	v_fma_mix_f32 v6, v17, v37, v6 op_sel_hi:[1,1,0]
	v_fma_mix_f32 v25, v19, v37, v25 op_sel_hi:[1,1,0]
	v_fma_mix_f32 v6, v17, v37, v6 op_sel:[1,1,0] op_sel_hi:[1,1,0]
	v_fma_mix_f32 v17, v19, v37, v25 op_sel:[1,1,0] op_sel_hi:[1,1,0]
	v_fma_mix_f32 v6, v18, v38, v6 op_sel_hi:[1,1,0]
	v_fma_mix_f32 v17, v20, v38, v17 op_sel_hi:[1,1,0]
	v_fma_mix_f32 v6, v18, v38, v6 op_sel:[1,1,0] op_sel_hi:[1,1,0]
	v_fma_mix_f32 v25, v20, v38, v17 op_sel:[1,1,0] op_sel_hi:[1,1,0]
	global_load_dwordx4 v[17:20], v[7:8], off offset:3088
	s_waitcnt vmcnt(2)
	v_fma_mix_f32 v26, v11, v37, v26 op_sel_hi:[1,1,0]
	v_fma_mix_f32 v27, v13, v37, v27 op_sel_hi:[1,1,0]
	v_fma_mix_f32 v11, v11, v37, v26 op_sel:[1,1,0] op_sel_hi:[1,1,0]
	v_fma_mix_f32 v13, v13, v37, v27 op_sel:[1,1,0] op_sel_hi:[1,1,0]
	v_fma_mix_f32 v11, v12, v38, v11 op_sel_hi:[1,1,0]
	v_fma_mix_f32 v13, v14, v38, v13 op_sel_hi:[1,1,0]
	v_fma_mix_f32 v11, v12, v38, v11 op_sel:[1,1,0] op_sel_hi:[1,1,0]
	v_fma_mix_f32 v12, v14, v38, v13 op_sel:[1,1,0] op_sel_hi:[1,1,0]
	v_add_co_u32_e32 v7, vcc, 0x1000, v7
	s_waitcnt vmcnt(1)
	v_fma_mix_f32 v6, v21, v39, v6 op_sel_hi:[1,1,0]
	v_fma_mix_f32 v13, v23, v39, v25 op_sel_hi:[1,1,0]
	v_addc_co_u32_e32 v8, vcc, 0, v8, vcc
	v_fma_mix_f32 v6, v21, v39, v6 op_sel:[1,1,0] op_sel_hi:[1,1,0]
	v_fma_mix_f32 v13, v23, v39, v13 op_sel:[1,1,0] op_sel_hi:[1,1,0]
	v_cmp_ge_i32_e32 vcc, v5, v10
	v_fma_mix_f32 v6, v22, v40, v6 op_sel_hi:[1,1,0]
	v_fma_mix_f32 v13, v24, v40, v13 op_sel_hi:[1,1,0]
	s_or_b64 s[10:11], vcc, s[10:11]
	v_fma_mix_f32 v14, v22, v40, v6 op_sel:[1,1,0] op_sel_hi:[1,1,0]
	v_fma_mix_f32 v13, v24, v40, v13 op_sel:[1,1,0] op_sel_hi:[1,1,0]
	s_waitcnt vmcnt(0)
	v_fma_mix_f32 v11, v17, v39, v11 op_sel_hi:[1,1,0]
	v_fma_mix_f32 v12, v19, v39, v12 op_sel_hi:[1,1,0]
	v_fma_mix_f32 v11, v17, v39, v11 op_sel:[1,1,0] op_sel_hi:[1,1,0]
	v_fma_mix_f32 v12, v19, v39, v12 op_sel:[1,1,0] op_sel_hi:[1,1,0]
	v_fma_mix_f32 v11, v18, v40, v11 op_sel_hi:[1,1,0]
	v_fma_mix_f32 v17, v20, v40, v12 op_sel_hi:[1,1,0]
	v_fma_mix_f32 v12, v18, v40, v11 op_sel:[1,1,0] op_sel_hi:[1,1,0]
	v_fma_mix_f32 v11, v20, v40, v17 op_sel:[1,1,0] op_sel_hi:[1,1,0]
	s_andn2_b64 exec, exec, s[10:11]
	s_cbranch_execnz .LBB93_21
; %bb.22:
	s_or_b64 exec, exec, s[10:11]
.LBB93_23:
	s_or_b64 exec, exec, s[2:3]
.LBB93_24:
	s_or_b64 exec, exec, s[8:9]
	s_cbranch_execz .LBB93_26
	s_branch .LBB93_37
.LBB93_25:
                                        ; implicit-def: $vgpr11
                                        ; implicit-def: $vgpr12
                                        ; implicit-def: $vgpr13
                                        ; implicit-def: $vgpr14
.LBB93_26:
	v_mov_b32_e32 v11, 0
	v_mov_b32_e32 v12, 0
	;; [unrolled: 1-line block ×4, first 2 shown]
	s_and_saveexec_b64 s[2:3], s[0:1]
	s_cbranch_execz .LBB93_36
; %bb.27:
	v_add_u32_e32 v1, v15, v9
	v_subrev_u32_e32 v1, s20, v1
	v_add_u32_e32 v1, 32, v1
	v_max_i32_e32 v1, v1, v10
	v_not_b32_e32 v5, v15
	v_add3_u32 v1, s20, v1, v5
	v_sub_u32_e32 v5, v1, v9
	s_movk_i32 s0, 0x60
	v_and_b32_e32 v1, 0x60, v5
	v_cmp_ne_u32_e32 vcc, s0, v1
	v_mov_b32_e32 v14, 0
	v_mov_b32_e32 v13, 0
	;; [unrolled: 1-line block ×4, first 2 shown]
	s_and_saveexec_b64 s[8:9], vcc
	s_cbranch_execz .LBB93_31
; %bb.28:
	v_lshrrev_b32_e32 v1, 5, v5
	v_add_u32_e32 v1, 1, v1
	v_and_b32_e32 v1, 3, v1
	v_sub_u32_e32 v6, 0, v1
	v_mov_b32_e32 v11, 0
	s_mov_b64 s[10:11], 0
	v_mov_b32_e32 v7, s13
	v_mov_b32_e32 v8, s7
	;; [unrolled: 1-line block ×5, first 2 shown]
.LBB93_29:                              ; =>This Inner Loop Header: Depth=1
	v_ashrrev_i32_e32 v1, 31, v0
	v_lshlrev_b64 v[15:16], 2, v[0:1]
	v_add_co_u32_e64 v6, s[0:1], 1, v6
	v_add_co_u32_e32 v19, vcc, s12, v15
	v_addc_co_u32_e32 v20, vcc, v7, v16, vcc
	global_load_dword v1, v[19:20], off
	global_load_dwordx4 v[15:18], v[2:3], off
	v_add_u32_e32 v0, 32, v0
	s_or_b64 s[10:11], s[0:1], s[10:11]
	s_waitcnt vmcnt(1)
	v_subrev_u32_e32 v1, s20, v1
	v_lshlrev_b32_e32 v19, 2, v1
	v_ashrrev_i32_e32 v20, 31, v19
	v_lshlrev_b64 v[19:20], 1, v[19:20]
	v_add_co_u32_e32 v23, vcc, s6, v19
	v_addc_co_u32_e32 v24, vcc, v8, v20, vcc
	global_load_dwordx2 v[25:26], v[23:24], off
	global_load_dwordx4 v[19:22], v[2:3], off offset:16
	v_add_co_u32_e32 v2, vcc, 0x400, v2
	v_addc_co_u32_e32 v3, vcc, 0, v3, vcc
	s_waitcnt vmcnt(1)
	v_fma_mix_f32 v1, v15, v25, v14 op_sel_hi:[1,1,0]
	v_fma_mix_f32 v13, v15, v25, v13 op_sel:[1,0,0] op_sel_hi:[1,1,0]
	v_fma_mix_f32 v12, v16, v25, v12 op_sel_hi:[1,1,0]
	v_fma_mix_f32 v11, v16, v25, v11 op_sel:[1,0,0] op_sel_hi:[1,1,0]
	v_fma_mix_f32 v1, v17, v25, v1 op_sel:[0,1,0] op_sel_hi:[1,1,0]
	;; [unrolled: 1-line block ×5, first 2 shown]
	s_waitcnt vmcnt(0)
	v_fma_mix_f32 v1, v19, v26, v1 op_sel_hi:[1,1,0]
	v_fma_mix_f32 v13, v19, v26, v13 op_sel:[1,0,0] op_sel_hi:[1,1,0]
	v_fma_mix_f32 v12, v20, v26, v12 op_sel_hi:[1,1,0]
	v_fma_mix_f32 v11, v20, v26, v11 op_sel:[1,0,0] op_sel_hi:[1,1,0]
	v_fma_mix_f32 v14, v21, v26, v1 op_sel:[0,1,0] op_sel_hi:[1,1,0]
	;; [unrolled: 1-line block ×5, first 2 shown]
	s_andn2_b64 exec, exec, s[10:11]
	s_cbranch_execnz .LBB93_29
; %bb.30:
	s_or_b64 exec, exec, s[10:11]
.LBB93_31:
	s_or_b64 exec, exec, s[8:9]
	s_movk_i32 s0, 0x5f
	v_cmp_lt_u32_e32 vcc, s0, v5
	s_and_saveexec_b64 s[0:1], vcc
	s_cbranch_execz .LBB93_35
; %bb.32:
	s_mov_b64 s[8:9], 0
	v_mov_b32_e32 v5, s13
	v_mov_b32_e32 v6, s7
.LBB93_33:                              ; =>This Inner Loop Header: Depth=1
	v_ashrrev_i32_e32 v1, 31, v0
	v_lshlrev_b64 v[7:8], 2, v[0:1]
	global_load_dwordx4 v[15:18], v[2:3], off
	v_add_co_u32_e32 v7, vcc, s12, v7
	v_addc_co_u32_e32 v8, vcc, v5, v8, vcc
	global_load_dword v1, v[7:8], off
	global_load_dword v19, v[7:8], off offset:128
	global_load_dword v20, v[7:8], off offset:256
	;; [unrolled: 1-line block ×3, first 2 shown]
	v_add_u32_e32 v0, 0x80, v0
	s_waitcnt vmcnt(3)
	v_subrev_u32_e32 v1, s20, v1
	s_waitcnt vmcnt(2)
	v_subrev_u32_e32 v8, s20, v19
	v_lshlrev_b32_e32 v7, 2, v1
	v_lshlrev_b32_e32 v19, 2, v8
	v_ashrrev_i32_e32 v8, 31, v7
	s_waitcnt vmcnt(1)
	v_subrev_u32_e32 v20, s20, v20
	v_lshlrev_b64 v[7:8], 1, v[7:8]
	s_waitcnt vmcnt(0)
	v_subrev_u32_e32 v22, s20, v21
	v_lshlrev_b32_e32 v21, 2, v20
	v_ashrrev_i32_e32 v20, 31, v19
	v_lshlrev_b64 v[19:20], 1, v[19:20]
	v_add_co_u32_e32 v7, vcc, s6, v7
	v_lshlrev_b32_e32 v23, 2, v22
	v_ashrrev_i32_e32 v22, 31, v21
	v_addc_co_u32_e32 v8, vcc, v6, v8, vcc
	v_lshlrev_b64 v[21:22], 1, v[21:22]
	v_add_co_u32_e32 v25, vcc, s6, v19
	v_ashrrev_i32_e32 v24, 31, v23
	v_addc_co_u32_e32 v26, vcc, v6, v20, vcc
	v_lshlrev_b64 v[23:24], 1, v[23:24]
	v_add_co_u32_e32 v27, vcc, s6, v21
	v_addc_co_u32_e32 v28, vcc, v6, v22, vcc
	v_add_co_u32_e32 v23, vcc, s6, v23
	v_addc_co_u32_e32 v24, vcc, v6, v24, vcc
	global_load_dwordx4 v[19:22], v[2:3], off offset:16
	global_load_dwordx2 v[29:30], v[7:8], off
	global_load_dwordx2 v[31:32], v[25:26], off
	;; [unrolled: 1-line block ×4, first 2 shown]
	s_waitcnt vmcnt(3)
	v_fma_mix_f32 v11, v16, v29, v11 op_sel:[1,0,0] op_sel_hi:[1,1,0]
	v_fma_mix_f32 v1, v15, v29, v14 op_sel_hi:[1,1,0]
	v_fma_mix_f32 v7, v15, v29, v13 op_sel:[1,0,0] op_sel_hi:[1,1,0]
	v_fma_mix_f32 v8, v16, v29, v12 op_sel_hi:[1,1,0]
	v_fma_mix_f32 v15, v18, v29, v11 op_sel:[1,1,0] op_sel_hi:[1,1,0]
	global_load_dwordx4 v[11:14], v[2:3], off offset:1024
	v_fma_mix_f32 v1, v17, v29, v1 op_sel:[0,1,0] op_sel_hi:[1,1,0]
	v_fma_mix_f32 v7, v17, v29, v7 op_sel:[1,1,0] op_sel_hi:[1,1,0]
	;; [unrolled: 1-line block ×4, first 2 shown]
	v_fma_mix_f32 v1, v19, v30, v1 op_sel_hi:[1,1,0]
	v_fma_mix_f32 v7, v19, v30, v7 op_sel:[1,0,0] op_sel_hi:[1,1,0]
	v_fma_mix_f32 v19, v22, v30, v15 op_sel:[1,1,0] op_sel_hi:[1,1,0]
	global_load_dwordx4 v[15:18], v[2:3], off offset:1040
	v_fma_mix_f32 v8, v20, v30, v8 op_sel_hi:[1,1,0]
	v_fma_mix_f32 v1, v21, v30, v1 op_sel:[0,1,0] op_sel_hi:[1,1,0]
	v_fma_mix_f32 v7, v21, v30, v7 op_sel:[1,1,0] op_sel_hi:[1,1,0]
	;; [unrolled: 1-line block ×3, first 2 shown]
	s_waitcnt vmcnt(1)
	v_fma_mix_f32 v1, v11, v31, v1 op_sel_hi:[1,1,0]
	v_fma_mix_f32 v7, v11, v31, v7 op_sel:[1,0,0] op_sel_hi:[1,1,0]
	v_fma_mix_f32 v8, v12, v31, v8 op_sel_hi:[1,1,0]
	v_fma_mix_f32 v11, v12, v31, v19 op_sel:[1,0,0] op_sel_hi:[1,1,0]
	v_fma_mix_f32 v1, v13, v31, v1 op_sel:[0,1,0] op_sel_hi:[1,1,0]
	;; [unrolled: 1-line block ×5, first 2 shown]
	global_load_dwordx4 v[11:14], v[2:3], off offset:2048
	s_waitcnt vmcnt(1)
	v_fma_mix_f32 v1, v15, v32, v1 op_sel_hi:[1,1,0]
	v_fma_mix_f32 v7, v15, v32, v7 op_sel:[1,0,0] op_sel_hi:[1,1,0]
	v_fma_mix_f32 v8, v16, v32, v8 op_sel_hi:[1,1,0]
	v_fma_mix_f32 v15, v16, v32, v19 op_sel:[1,0,0] op_sel_hi:[1,1,0]
	v_fma_mix_f32 v1, v17, v32, v1 op_sel:[0,1,0] op_sel_hi:[1,1,0]
	;; [unrolled: 1-line block ×5, first 2 shown]
	global_load_dwordx4 v[15:18], v[2:3], off offset:2064
	global_load_dwordx4 v[19:22], v[2:3], off offset:3072
	s_waitcnt vmcnt(2)
	v_fma_mix_f32 v1, v11, v33, v1 op_sel_hi:[1,1,0]
	v_fma_mix_f32 v7, v11, v33, v7 op_sel:[1,0,0] op_sel_hi:[1,1,0]
	v_fma_mix_f32 v11, v12, v33, v23 op_sel:[1,0,0] op_sel_hi:[1,1,0]
	global_load_dwordx4 v[23:26], v[2:3], off offset:3088
	v_fma_mix_f32 v8, v12, v33, v8 op_sel_hi:[1,1,0]
	v_fma_mix_f32 v1, v13, v33, v1 op_sel:[0,1,0] op_sel_hi:[1,1,0]
	v_fma_mix_f32 v7, v13, v33, v7 op_sel:[1,1,0] op_sel_hi:[1,1,0]
	;; [unrolled: 1-line block ×4, first 2 shown]
	s_waitcnt vmcnt(2)
	v_fma_mix_f32 v1, v15, v34, v1 op_sel_hi:[1,1,0]
	v_fma_mix_f32 v7, v15, v34, v7 op_sel:[1,0,0] op_sel_hi:[1,1,0]
	v_fma_mix_f32 v8, v16, v34, v8 op_sel_hi:[1,1,0]
	v_fma_mix_f32 v11, v16, v34, v11 op_sel:[1,0,0] op_sel_hi:[1,1,0]
	v_fma_mix_f32 v1, v17, v34, v1 op_sel:[0,1,0] op_sel_hi:[1,1,0]
	;; [unrolled: 1-line block ×5, first 2 shown]
	v_add_co_u32_e32 v2, vcc, 0x1000, v2
	s_waitcnt vmcnt(1)
	v_fma_mix_f32 v1, v19, v35, v1 op_sel_hi:[1,1,0]
	v_fma_mix_f32 v7, v19, v35, v7 op_sel:[1,0,0] op_sel_hi:[1,1,0]
	v_fma_mix_f32 v8, v20, v35, v8 op_sel_hi:[1,1,0]
	v_fma_mix_f32 v11, v20, v35, v11 op_sel:[1,0,0] op_sel_hi:[1,1,0]
	v_addc_co_u32_e32 v3, vcc, 0, v3, vcc
	v_fma_mix_f32 v1, v21, v35, v1 op_sel:[0,1,0] op_sel_hi:[1,1,0]
	v_fma_mix_f32 v7, v21, v35, v7 op_sel:[1,1,0] op_sel_hi:[1,1,0]
	v_fma_mix_f32 v8, v22, v35, v8 op_sel:[0,1,0] op_sel_hi:[1,1,0]
	v_fma_mix_f32 v11, v22, v35, v11 op_sel:[1,1,0] op_sel_hi:[1,1,0]
	v_cmp_ge_i32_e32 vcc, v0, v10
	s_or_b64 s[8:9], vcc, s[8:9]
	s_waitcnt vmcnt(0)
	v_fma_mix_f32 v1, v23, v36, v1 op_sel_hi:[1,1,0]
	v_fma_mix_f32 v7, v23, v36, v7 op_sel:[1,0,0] op_sel_hi:[1,1,0]
	v_fma_mix_f32 v8, v24, v36, v8 op_sel_hi:[1,1,0]
	v_fma_mix_f32 v11, v24, v36, v11 op_sel:[1,0,0] op_sel_hi:[1,1,0]
	v_fma_mix_f32 v14, v25, v36, v1 op_sel:[0,1,0] op_sel_hi:[1,1,0]
	;; [unrolled: 1-line block ×5, first 2 shown]
	s_andn2_b64 exec, exec, s[8:9]
	s_cbranch_execnz .LBB93_33
; %bb.34:
	s_or_b64 exec, exec, s[8:9]
.LBB93_35:
	s_or_b64 exec, exec, s[0:1]
.LBB93_36:
	s_or_b64 exec, exec, s[2:3]
.LBB93_37:
	v_mov_b32_dpp v0, v14 row_shr:1 row_mask:0xf bank_mask:0xf
	v_mov_b32_dpp v2, v13 row_shr:1 row_mask:0xf bank_mask:0xf
	v_mov_b32_dpp v5, v12 row_shr:1 row_mask:0xf bank_mask:0xf
	v_mov_b32_dpp v7, v11 row_shr:1 row_mask:0xf bank_mask:0xf
	v_add_f32_e32 v0, v14, v0
	v_add_f32_e32 v2, v13, v2
	v_add_f32_e32 v5, v12, v5
	v_add_f32_e32 v7, v11, v7
	v_mov_b32_dpp v1, v0 row_shr:2 row_mask:0xf bank_mask:0xf
	v_mov_b32_dpp v3, v2 row_shr:2 row_mask:0xf bank_mask:0xf
	v_mov_b32_dpp v6, v5 row_shr:2 row_mask:0xf bank_mask:0xf
	v_mov_b32_dpp v8, v7 row_shr:2 row_mask:0xf bank_mask:0xf
	v_add_f32_e32 v0, v0, v1
	v_add_f32_e32 v2, v2, v3
	v_add_f32_e32 v5, v5, v6
	v_add_f32_e32 v7, v7, v8
	;; [unrolled: 8-line block ×4, first 2 shown]
	v_mov_b32_dpp v1, v0 row_bcast:15 row_mask:0xa bank_mask:0xf
	v_mov_b32_dpp v3, v2 row_bcast:15 row_mask:0xa bank_mask:0xf
	;; [unrolled: 1-line block ×4, first 2 shown]
	v_cmp_eq_u32_e32 vcc, 31, v9
	s_and_b64 exec, exec, vcc
	s_cbranch_execz .LBB93_10
; %bb.38:
	s_load_dwordx2 s[0:1], s[4:5], 0x50
	v_add_f32_e32 v0, v0, v1
	v_add_f32_e32 v1, v2, v3
	;; [unrolled: 1-line block ×4, first 2 shown]
	v_cmp_eq_f32_e64 s[2:3], s16, 0
	s_and_b64 vcc, exec, s[2:3]
	v_mul_f32_e32 v0, s18, v0
	v_mul_f32_e32 v1, s18, v1
	;; [unrolled: 1-line block ×4, first 2 shown]
	v_lshlrev_b32_e32 v4, 2, v4
	s_cbranch_vccz .LBB93_40
; %bb.39:
	v_ashrrev_i32_e32 v5, 31, v4
	v_lshlrev_b64 v[5:6], 2, v[4:5]
	s_waitcnt lgkmcnt(0)
	v_mov_b32_e32 v7, s1
	v_add_co_u32_e32 v5, vcc, s0, v5
	v_addc_co_u32_e32 v6, vcc, v7, v6, vcc
	global_store_dwordx4 v[5:6], v[0:3], off
	s_cbranch_execnz .LBB93_10
	s_branch .LBB93_41
.LBB93_40:
.LBB93_41:
	v_ashrrev_i32_e32 v5, 31, v4
	v_lshlrev_b64 v[4:5], 2, v[4:5]
	s_waitcnt lgkmcnt(0)
	v_mov_b32_e32 v6, s1
	v_add_co_u32_e32 v8, vcc, s0, v4
	v_addc_co_u32_e32 v9, vcc, v6, v5, vcc
	global_load_dwordx4 v[4:7], v[8:9], off
	s_waitcnt vmcnt(0)
	v_fmac_f32_e32 v0, s16, v4
	v_fmac_f32_e32 v1, s16, v5
	;; [unrolled: 1-line block ×4, first 2 shown]
	global_store_dwordx4 v[8:9], v[0:3], off
	s_endpgm
	.section	.rodata,"a",@progbits
	.p2align	6, 0x0
	.amdhsa_kernel _ZN9rocsparseL18bsrxmvn_4x4_kernelILj128ELj32EfiiDF16_DF16_fEEvT3_20rocsparse_direction_NS_24const_host_device_scalarIT1_EES1_PKS1_PKT2_SA_S7_PKT4_PKT5_S5_PT6_21rocsparse_index_base_b
		.amdhsa_group_segment_fixed_size 0
		.amdhsa_private_segment_fixed_size 0
		.amdhsa_kernarg_size 96
		.amdhsa_user_sgpr_count 6
		.amdhsa_user_sgpr_private_segment_buffer 1
		.amdhsa_user_sgpr_dispatch_ptr 0
		.amdhsa_user_sgpr_queue_ptr 0
		.amdhsa_user_sgpr_kernarg_segment_ptr 1
		.amdhsa_user_sgpr_dispatch_id 0
		.amdhsa_user_sgpr_flat_scratch_init 0
		.amdhsa_user_sgpr_private_segment_size 0
		.amdhsa_uses_dynamic_stack 0
		.amdhsa_system_sgpr_private_segment_wavefront_offset 0
		.amdhsa_system_sgpr_workgroup_id_x 1
		.amdhsa_system_sgpr_workgroup_id_y 0
		.amdhsa_system_sgpr_workgroup_id_z 0
		.amdhsa_system_sgpr_workgroup_info 0
		.amdhsa_system_vgpr_workitem_id 0
		.amdhsa_next_free_vgpr 41
		.amdhsa_next_free_sgpr 22
		.amdhsa_reserve_vcc 1
		.amdhsa_reserve_flat_scratch 0
		.amdhsa_float_round_mode_32 0
		.amdhsa_float_round_mode_16_64 0
		.amdhsa_float_denorm_mode_32 3
		.amdhsa_float_denorm_mode_16_64 3
		.amdhsa_dx10_clamp 1
		.amdhsa_ieee_mode 1
		.amdhsa_fp16_overflow 0
		.amdhsa_exception_fp_ieee_invalid_op 0
		.amdhsa_exception_fp_denorm_src 0
		.amdhsa_exception_fp_ieee_div_zero 0
		.amdhsa_exception_fp_ieee_overflow 0
		.amdhsa_exception_fp_ieee_underflow 0
		.amdhsa_exception_fp_ieee_inexact 0
		.amdhsa_exception_int_div_zero 0
	.end_amdhsa_kernel
	.section	.text._ZN9rocsparseL18bsrxmvn_4x4_kernelILj128ELj32EfiiDF16_DF16_fEEvT3_20rocsparse_direction_NS_24const_host_device_scalarIT1_EES1_PKS1_PKT2_SA_S7_PKT4_PKT5_S5_PT6_21rocsparse_index_base_b,"axG",@progbits,_ZN9rocsparseL18bsrxmvn_4x4_kernelILj128ELj32EfiiDF16_DF16_fEEvT3_20rocsparse_direction_NS_24const_host_device_scalarIT1_EES1_PKS1_PKT2_SA_S7_PKT4_PKT5_S5_PT6_21rocsparse_index_base_b,comdat
.Lfunc_end93:
	.size	_ZN9rocsparseL18bsrxmvn_4x4_kernelILj128ELj32EfiiDF16_DF16_fEEvT3_20rocsparse_direction_NS_24const_host_device_scalarIT1_EES1_PKS1_PKT2_SA_S7_PKT4_PKT5_S5_PT6_21rocsparse_index_base_b, .Lfunc_end93-_ZN9rocsparseL18bsrxmvn_4x4_kernelILj128ELj32EfiiDF16_DF16_fEEvT3_20rocsparse_direction_NS_24const_host_device_scalarIT1_EES1_PKS1_PKT2_SA_S7_PKT4_PKT5_S5_PT6_21rocsparse_index_base_b
                                        ; -- End function
	.set _ZN9rocsparseL18bsrxmvn_4x4_kernelILj128ELj32EfiiDF16_DF16_fEEvT3_20rocsparse_direction_NS_24const_host_device_scalarIT1_EES1_PKS1_PKT2_SA_S7_PKT4_PKT5_S5_PT6_21rocsparse_index_base_b.num_vgpr, 41
	.set _ZN9rocsparseL18bsrxmvn_4x4_kernelILj128ELj32EfiiDF16_DF16_fEEvT3_20rocsparse_direction_NS_24const_host_device_scalarIT1_EES1_PKS1_PKT2_SA_S7_PKT4_PKT5_S5_PT6_21rocsparse_index_base_b.num_agpr, 0
	.set _ZN9rocsparseL18bsrxmvn_4x4_kernelILj128ELj32EfiiDF16_DF16_fEEvT3_20rocsparse_direction_NS_24const_host_device_scalarIT1_EES1_PKS1_PKT2_SA_S7_PKT4_PKT5_S5_PT6_21rocsparse_index_base_b.numbered_sgpr, 22
	.set _ZN9rocsparseL18bsrxmvn_4x4_kernelILj128ELj32EfiiDF16_DF16_fEEvT3_20rocsparse_direction_NS_24const_host_device_scalarIT1_EES1_PKS1_PKT2_SA_S7_PKT4_PKT5_S5_PT6_21rocsparse_index_base_b.num_named_barrier, 0
	.set _ZN9rocsparseL18bsrxmvn_4x4_kernelILj128ELj32EfiiDF16_DF16_fEEvT3_20rocsparse_direction_NS_24const_host_device_scalarIT1_EES1_PKS1_PKT2_SA_S7_PKT4_PKT5_S5_PT6_21rocsparse_index_base_b.private_seg_size, 0
	.set _ZN9rocsparseL18bsrxmvn_4x4_kernelILj128ELj32EfiiDF16_DF16_fEEvT3_20rocsparse_direction_NS_24const_host_device_scalarIT1_EES1_PKS1_PKT2_SA_S7_PKT4_PKT5_S5_PT6_21rocsparse_index_base_b.uses_vcc, 1
	.set _ZN9rocsparseL18bsrxmvn_4x4_kernelILj128ELj32EfiiDF16_DF16_fEEvT3_20rocsparse_direction_NS_24const_host_device_scalarIT1_EES1_PKS1_PKT2_SA_S7_PKT4_PKT5_S5_PT6_21rocsparse_index_base_b.uses_flat_scratch, 0
	.set _ZN9rocsparseL18bsrxmvn_4x4_kernelILj128ELj32EfiiDF16_DF16_fEEvT3_20rocsparse_direction_NS_24const_host_device_scalarIT1_EES1_PKS1_PKT2_SA_S7_PKT4_PKT5_S5_PT6_21rocsparse_index_base_b.has_dyn_sized_stack, 0
	.set _ZN9rocsparseL18bsrxmvn_4x4_kernelILj128ELj32EfiiDF16_DF16_fEEvT3_20rocsparse_direction_NS_24const_host_device_scalarIT1_EES1_PKS1_PKT2_SA_S7_PKT4_PKT5_S5_PT6_21rocsparse_index_base_b.has_recursion, 0
	.set _ZN9rocsparseL18bsrxmvn_4x4_kernelILj128ELj32EfiiDF16_DF16_fEEvT3_20rocsparse_direction_NS_24const_host_device_scalarIT1_EES1_PKS1_PKT2_SA_S7_PKT4_PKT5_S5_PT6_21rocsparse_index_base_b.has_indirect_call, 0
	.section	.AMDGPU.csdata,"",@progbits
; Kernel info:
; codeLenInByte = 3460
; TotalNumSgprs: 26
; NumVgprs: 41
; ScratchSize: 0
; MemoryBound: 0
; FloatMode: 240
; IeeeMode: 1
; LDSByteSize: 0 bytes/workgroup (compile time only)
; SGPRBlocks: 3
; VGPRBlocks: 10
; NumSGPRsForWavesPerEU: 26
; NumVGPRsForWavesPerEU: 41
; Occupancy: 5
; WaveLimiterHint : 1
; COMPUTE_PGM_RSRC2:SCRATCH_EN: 0
; COMPUTE_PGM_RSRC2:USER_SGPR: 6
; COMPUTE_PGM_RSRC2:TRAP_HANDLER: 0
; COMPUTE_PGM_RSRC2:TGID_X_EN: 1
; COMPUTE_PGM_RSRC2:TGID_Y_EN: 0
; COMPUTE_PGM_RSRC2:TGID_Z_EN: 0
; COMPUTE_PGM_RSRC2:TIDIG_COMP_CNT: 0
	.section	.text._ZN9rocsparseL18bsrxmvn_4x4_kernelILj128ELj64EfiiDF16_DF16_fEEvT3_20rocsparse_direction_NS_24const_host_device_scalarIT1_EES1_PKS1_PKT2_SA_S7_PKT4_PKT5_S5_PT6_21rocsparse_index_base_b,"axG",@progbits,_ZN9rocsparseL18bsrxmvn_4x4_kernelILj128ELj64EfiiDF16_DF16_fEEvT3_20rocsparse_direction_NS_24const_host_device_scalarIT1_EES1_PKS1_PKT2_SA_S7_PKT4_PKT5_S5_PT6_21rocsparse_index_base_b,comdat
	.globl	_ZN9rocsparseL18bsrxmvn_4x4_kernelILj128ELj64EfiiDF16_DF16_fEEvT3_20rocsparse_direction_NS_24const_host_device_scalarIT1_EES1_PKS1_PKT2_SA_S7_PKT4_PKT5_S5_PT6_21rocsparse_index_base_b ; -- Begin function _ZN9rocsparseL18bsrxmvn_4x4_kernelILj128ELj64EfiiDF16_DF16_fEEvT3_20rocsparse_direction_NS_24const_host_device_scalarIT1_EES1_PKS1_PKT2_SA_S7_PKT4_PKT5_S5_PT6_21rocsparse_index_base_b
	.p2align	8
	.type	_ZN9rocsparseL18bsrxmvn_4x4_kernelILj128ELj64EfiiDF16_DF16_fEEvT3_20rocsparse_direction_NS_24const_host_device_scalarIT1_EES1_PKS1_PKT2_SA_S7_PKT4_PKT5_S5_PT6_21rocsparse_index_base_b,@function
_ZN9rocsparseL18bsrxmvn_4x4_kernelILj128ELj64EfiiDF16_DF16_fEEvT3_20rocsparse_direction_NS_24const_host_device_scalarIT1_EES1_PKS1_PKT2_SA_S7_PKT4_PKT5_S5_PT6_21rocsparse_index_base_b: ; @_ZN9rocsparseL18bsrxmvn_4x4_kernelILj128ELj64EfiiDF16_DF16_fEEvT3_20rocsparse_direction_NS_24const_host_device_scalarIT1_EES1_PKS1_PKT2_SA_S7_PKT4_PKT5_S5_PT6_21rocsparse_index_base_b
; %bb.0:
	s_load_dwordx2 s[20:21], s[4:5], 0x58
	s_load_dwordx2 s[18:19], s[4:5], 0x8
	;; [unrolled: 1-line block ×3, first 2 shown]
	s_waitcnt lgkmcnt(0)
	s_bitcmp1_b32 s21, 0
	s_cselect_b64 s[2:3], -1, 0
	s_xor_b64 s[0:1], s[2:3], -1
	s_and_b64 vcc, exec, s[2:3]
	s_cbranch_vccnz .LBB94_2
; %bb.1:
	s_load_dword s18, s[18:19], 0x0
.LBB94_2:
	s_andn2_b64 vcc, exec, s[0:1]
	s_cbranch_vccnz .LBB94_4
; %bb.3:
	s_load_dword s16, s[16:17], 0x0
.LBB94_4:
	s_waitcnt lgkmcnt(0)
	v_cmp_neq_f32_e64 s[0:1], s18, 0
	v_cmp_neq_f32_e64 s[2:3], s16, 1.0
	s_or_b64 s[0:1], s[0:1], s[2:3]
	s_andn2_b64 vcc, exec, s[0:1]
	s_cbranch_vccnz .LBB94_10
; %bb.5:
	s_load_dwordx2 s[8:9], s[4:5], 0x18
	s_load_dwordx2 s[0:1], s[4:5], 0x0
	v_lshrrev_b32_e32 v1, 6, v0
	v_lshl_or_b32 v4, s6, 1, v1
	s_mov_b64 s[2:3], 0
	s_waitcnt lgkmcnt(0)
	s_cmp_lg_u64 s[8:9], 0
	s_cbranch_scc0 .LBB94_11
; %bb.6:
	s_load_dword s6, s[4:5], 0x10
                                        ; implicit-def: $vgpr1
	s_waitcnt lgkmcnt(0)
	v_cmp_gt_i32_e32 vcc, s6, v4
	s_and_saveexec_b64 s[6:7], vcc
	s_xor_b64 s[6:7], exec, s[6:7]
	s_cbranch_execz .LBB94_8
; %bb.7:
	v_ashrrev_i32_e32 v5, 31, v4
	v_lshlrev_b64 v[1:2], 2, v[4:5]
	v_mov_b32_e32 v3, s9
	v_add_co_u32_e32 v1, vcc, s8, v1
	v_addc_co_u32_e32 v2, vcc, v3, v2, vcc
	global_load_dword v1, v[1:2], off
	s_mov_b64 s[2:3], exec
	s_waitcnt vmcnt(0)
	v_subrev_u32_e32 v1, s20, v1
.LBB94_8:
	s_or_b64 exec, exec, s[6:7]
	s_branch .LBB94_12
.LBB94_9:
	v_cmp_gt_i32_e32 vcc, s0, v4
	s_andn2_b64 s[2:3], s[2:3], exec
	s_and_b64 s[6:7], vcc, exec
	s_or_b64 s[2:3], s[2:3], s[6:7]
	s_and_saveexec_b64 s[6:7], s[2:3]
	s_cbranch_execnz .LBB94_13
.LBB94_10:
	s_endpgm
.LBB94_11:
                                        ; implicit-def: $vgpr1
	s_cbranch_execnz .LBB94_9
.LBB94_12:
	v_mov_b32_e32 v4, v1
	s_and_saveexec_b64 s[6:7], s[2:3]
	s_cbranch_execz .LBB94_10
.LBB94_13:
	s_load_dwordx8 s[8:15], s[4:5], 0x20
	v_ashrrev_i32_e32 v5, 31, v4
	v_lshlrev_b64 v[1:2], 2, v[4:5]
	v_and_b32_e32 v9, 63, v0
	s_load_dwordx2 s[6:7], s[4:5], 0x40
	s_waitcnt lgkmcnt(0)
	v_mov_b32_e32 v3, s9
	v_add_co_u32_e32 v5, vcc, s8, v1
	v_addc_co_u32_e32 v6, vcc, v3, v2, vcc
	v_add_co_u32_e32 v3, vcc, 4, v5
	global_load_dword v15, v[5:6], off
	v_addc_co_u32_e32 v5, vcc, 0, v6, vcc
	v_mov_b32_e32 v6, s11
	v_add_co_u32_e32 v1, vcc, s10, v1
	s_cmp_eq_u64 s[10:11], 0
	v_addc_co_u32_e32 v2, vcc, v6, v2, vcc
	s_cselect_b64 vcc, -1, 0
	v_cndmask_b32_e32 v2, v2, v5, vcc
	v_cndmask_b32_e32 v1, v1, v3, vcc
	global_load_dword v1, v[1:2], off
	v_mov_b32_e32 v5, s15
	s_cmp_eq_u32 s1, 1
	s_waitcnt vmcnt(1)
	v_subrev_u32_e32 v0, s20, v15
	v_add_u32_e32 v0, v0, v9
	s_waitcnt vmcnt(0)
	v_subrev_u32_e32 v10, s20, v1
	v_ashrrev_i32_e32 v1, 31, v0
	v_lshlrev_b64 v[2:3], 5, v[0:1]
	v_cmp_lt_i32_e64 s[0:1], v0, v10
	v_add_co_u32_e32 v2, vcc, s14, v2
	v_addc_co_u32_e32 v3, vcc, v5, v3, vcc
	s_cbranch_scc1 .LBB94_25
; %bb.14:
	v_mov_b32_e32 v11, 0
	v_mov_b32_e32 v12, 0
	;; [unrolled: 1-line block ×4, first 2 shown]
	s_and_saveexec_b64 s[8:9], s[0:1]
	s_cbranch_execz .LBB94_24
; %bb.15:
	v_add_u32_e32 v1, v15, v9
	v_subrev_u32_e32 v1, s20, v1
	v_add_u32_e32 v1, 64, v1
	v_max_i32_e32 v1, v1, v10
	v_not_b32_e32 v5, v15
	v_add3_u32 v1, s20, v1, v5
	v_sub_u32_e32 v1, v1, v9
	s_movk_i32 s2, 0xc0
	v_and_b32_e32 v5, 0xc0, v1
	v_mov_b32_e32 v8, v3
	v_cmp_ne_u32_e32 vcc, s2, v5
	v_mov_b32_e32 v14, 0
	v_mov_b32_e32 v13, 0
	;; [unrolled: 1-line block ×6, first 2 shown]
	s_and_saveexec_b64 s[10:11], vcc
	s_cbranch_execz .LBB94_19
; %bb.16:
	v_lshrrev_b32_e32 v5, 6, v1
	v_add_u32_e32 v5, 1, v5
	v_and_b32_e32 v5, 3, v5
	v_mov_b32_e32 v8, v3
	v_sub_u32_e32 v16, 0, v5
	v_mov_b32_e32 v11, 0
	s_mov_b64 s[14:15], 0
	v_mov_b32_e32 v17, s13
	v_mov_b32_e32 v18, s7
	;; [unrolled: 1-line block ×7, first 2 shown]
.LBB94_17:                              ; =>This Inner Loop Header: Depth=1
	v_ashrrev_i32_e32 v6, 31, v5
	v_lshlrev_b64 v[19:20], 2, v[5:6]
	v_add_co_u32_e64 v16, s[2:3], 1, v16
	v_add_co_u32_e32 v27, vcc, s12, v19
	v_addc_co_u32_e32 v28, vcc, v17, v20, vcc
	global_load_dword v6, v[27:28], off
	global_load_dwordx4 v[19:22], v[7:8], off
	global_load_dwordx4 v[23:26], v[7:8], off offset:16
	v_add_u32_e32 v5, 64, v5
	s_or_b64 s[14:15], s[2:3], s[14:15]
	s_waitcnt vmcnt(2)
	v_subrev_u32_e32 v6, s20, v6
	v_lshlrev_b32_e32 v27, 2, v6
	v_ashrrev_i32_e32 v28, 31, v27
	v_lshlrev_b64 v[27:28], 1, v[27:28]
	v_add_co_u32_e32 v27, vcc, s6, v27
	v_addc_co_u32_e32 v28, vcc, v18, v28, vcc
	global_load_dwordx2 v[27:28], v[27:28], off
	v_add_co_u32_e32 v7, vcc, 0x800, v7
	v_addc_co_u32_e32 v8, vcc, 0, v8, vcc
	s_waitcnt vmcnt(0)
	v_fma_mix_f32 v6, v19, v27, v14 op_sel_hi:[1,1,0]
	v_fma_mix_f32 v13, v21, v27, v13 op_sel_hi:[1,1,0]
	;; [unrolled: 1-line block ×4, first 2 shown]
	v_fma_mix_f32 v6, v19, v27, v6 op_sel:[1,1,0] op_sel_hi:[1,1,0]
	v_fma_mix_f32 v13, v21, v27, v13 op_sel:[1,1,0] op_sel_hi:[1,1,0]
	;; [unrolled: 1-line block ×4, first 2 shown]
	v_fma_mix_f32 v6, v20, v28, v6 op_sel_hi:[1,1,0]
	v_fma_mix_f32 v13, v22, v28, v13 op_sel_hi:[1,1,0]
	;; [unrolled: 1-line block ×4, first 2 shown]
	v_fma_mix_f32 v14, v20, v28, v6 op_sel:[1,1,0] op_sel_hi:[1,1,0]
	v_fma_mix_f32 v13, v22, v28, v13 op_sel:[1,1,0] op_sel_hi:[1,1,0]
	;; [unrolled: 1-line block ×4, first 2 shown]
	s_andn2_b64 exec, exec, s[14:15]
	s_cbranch_execnz .LBB94_17
; %bb.18:
	s_or_b64 exec, exec, s[14:15]
.LBB94_19:
	s_or_b64 exec, exec, s[10:11]
	s_movk_i32 s2, 0xbf
	v_cmp_lt_u32_e32 vcc, s2, v1
	s_and_saveexec_b64 s[2:3], vcc
	s_cbranch_execz .LBB94_23
; %bb.20:
	s_mov_b64 s[10:11], 0
	v_mov_b32_e32 v1, s13
	v_mov_b32_e32 v16, s7
	s_movk_i32 s14, 0x1000
.LBB94_21:                              ; =>This Inner Loop Header: Depth=1
	v_ashrrev_i32_e32 v6, 31, v5
	v_lshlrev_b64 v[25:26], 2, v[5:6]
	global_load_dwordx4 v[17:20], v[7:8], off
	global_load_dwordx4 v[21:24], v[7:8], off offset:16
	v_add_co_u32_e32 v25, vcc, s12, v25
	v_addc_co_u32_e32 v26, vcc, v1, v26, vcc
	global_load_dword v6, v[25:26], off
	global_load_dword v27, v[25:26], off offset:256
	global_load_dword v33, v[25:26], off offset:512
	;; [unrolled: 1-line block ×3, first 2 shown]
	v_add_u32_e32 v5, 0x100, v5
	s_waitcnt vmcnt(3)
	v_subrev_u32_e32 v6, s20, v6
	s_waitcnt vmcnt(2)
	v_subrev_u32_e32 v26, s20, v27
	v_lshlrev_b32_e32 v25, 2, v6
	v_lshlrev_b32_e32 v27, 2, v26
	v_ashrrev_i32_e32 v26, 31, v25
	v_lshlrev_b64 v[25:26], 1, v[25:26]
	v_ashrrev_i32_e32 v28, 31, v27
	v_lshlrev_b64 v[27:28], 1, v[27:28]
	v_add_co_u32_e32 v25, vcc, s6, v25
	v_addc_co_u32_e32 v26, vcc, v16, v26, vcc
	v_add_co_u32_e32 v27, vcc, s6, v27
	v_addc_co_u32_e32 v28, vcc, v16, v28, vcc
	global_load_dwordx2 v[29:30], v[25:26], off
	global_load_dwordx2 v[31:32], v[27:28], off
	v_add_co_u32_e32 v25, vcc, s14, v7
	v_addc_co_u32_e32 v26, vcc, 0, v8, vcc
	s_waitcnt vmcnt(1)
	v_fma_mix_f32 v6, v17, v29, v14 op_sel_hi:[1,1,0]
	v_fma_mix_f32 v13, v19, v29, v13 op_sel_hi:[1,1,0]
	;; [unrolled: 1-line block ×4, first 2 shown]
	v_fma_mix_f32 v6, v17, v29, v6 op_sel:[1,1,0] op_sel_hi:[1,1,0]
	v_fma_mix_f32 v13, v19, v29, v13 op_sel:[1,1,0] op_sel_hi:[1,1,0]
	;; [unrolled: 1-line block ×4, first 2 shown]
	v_fma_mix_f32 v6, v18, v30, v6 op_sel_hi:[1,1,0]
	v_fma_mix_f32 v13, v20, v30, v13 op_sel_hi:[1,1,0]
	;; [unrolled: 1-line block ×4, first 2 shown]
	v_fma_mix_f32 v6, v18, v30, v6 op_sel:[1,1,0] op_sel_hi:[1,1,0]
	v_fma_mix_f32 v27, v20, v30, v13 op_sel:[1,1,0] op_sel_hi:[1,1,0]
	global_load_dwordx4 v[17:20], v[7:8], off offset:2048
	v_fma_mix_f32 v21, v22, v30, v12 op_sel:[1,1,0] op_sel_hi:[1,1,0]
	v_fma_mix_f32 v22, v24, v30, v11 op_sel:[1,1,0] op_sel_hi:[1,1,0]
	global_load_dwordx4 v[11:14], v[7:8], off offset:2064
	s_waitcnt vmcnt(1)
	v_fma_mix_f32 v6, v17, v31, v6 op_sel_hi:[1,1,0]
	v_fma_mix_f32 v23, v19, v31, v27 op_sel_hi:[1,1,0]
	v_fma_mix_f32 v6, v17, v31, v6 op_sel:[1,1,0] op_sel_hi:[1,1,0]
	s_waitcnt vmcnt(0)
	v_fma_mix_f32 v21, v11, v31, v21 op_sel_hi:[1,1,0]
	v_fma_mix_f32 v22, v13, v31, v22 op_sel_hi:[1,1,0]
	v_fma_mix_f32 v11, v11, v31, v21 op_sel:[1,1,0] op_sel_hi:[1,1,0]
	v_subrev_u32_e32 v21, s20, v33
	v_fma_mix_f32 v13, v13, v31, v22 op_sel:[1,1,0] op_sel_hi:[1,1,0]
	v_subrev_u32_e32 v22, s20, v34
	v_lshlrev_b32_e32 v21, 2, v21
	v_fma_mix_f32 v17, v19, v31, v23 op_sel:[1,1,0] op_sel_hi:[1,1,0]
	v_lshlrev_b32_e32 v23, 2, v22
	v_ashrrev_i32_e32 v22, 31, v21
	v_lshlrev_b64 v[21:22], 1, v[21:22]
	v_ashrrev_i32_e32 v24, 31, v23
	v_lshlrev_b64 v[23:24], 1, v[23:24]
	v_add_co_u32_e32 v21, vcc, s6, v21
	v_fma_mix_f32 v6, v18, v32, v6 op_sel_hi:[1,1,0]
	v_fma_mix_f32 v17, v20, v32, v17 op_sel_hi:[1,1,0]
	v_addc_co_u32_e32 v22, vcc, v16, v22, vcc
	v_fma_mix_f32 v6, v18, v32, v6 op_sel:[1,1,0] op_sel_hi:[1,1,0]
	v_fma_mix_f32 v35, v20, v32, v17 op_sel:[1,1,0] op_sel_hi:[1,1,0]
	global_load_dwordx4 v[17:20], v[25:26], off
	v_fma_mix_f32 v11, v12, v32, v11 op_sel_hi:[1,1,0]
	v_fma_mix_f32 v13, v14, v32, v13 op_sel_hi:[1,1,0]
	v_add_co_u32_e32 v23, vcc, s6, v23
	v_fma_mix_f32 v31, v12, v32, v11 op_sel:[1,1,0] op_sel_hi:[1,1,0]
	v_fma_mix_f32 v32, v14, v32, v13 op_sel:[1,1,0] op_sel_hi:[1,1,0]
	global_load_dwordx4 v[11:14], v[25:26], off offset:16
	v_addc_co_u32_e32 v24, vcc, v16, v24, vcc
	global_load_dwordx2 v[27:28], v[21:22], off
	global_load_dwordx2 v[29:30], v[23:24], off
	v_add_co_u32_e32 v7, vcc, 0x2000, v7
	v_addc_co_u32_e32 v8, vcc, 0, v8, vcc
	v_cmp_ge_i32_e32 vcc, v5, v10
	s_or_b64 s[10:11], vcc, s[10:11]
	s_waitcnt vmcnt(1)
	v_fma_mix_f32 v6, v17, v27, v6 op_sel_hi:[1,1,0]
	v_fma_mix_f32 v21, v19, v27, v35 op_sel_hi:[1,1,0]
	v_fma_mix_f32 v6, v17, v27, v6 op_sel:[1,1,0] op_sel_hi:[1,1,0]
	v_fma_mix_f32 v17, v19, v27, v21 op_sel:[1,1,0] op_sel_hi:[1,1,0]
	v_fma_mix_f32 v6, v18, v28, v6 op_sel_hi:[1,1,0]
	v_fma_mix_f32 v17, v20, v28, v17 op_sel_hi:[1,1,0]
	v_fma_mix_f32 v6, v18, v28, v6 op_sel:[1,1,0] op_sel_hi:[1,1,0]
	v_fma_mix_f32 v33, v20, v28, v17 op_sel:[1,1,0] op_sel_hi:[1,1,0]
	global_load_dwordx4 v[17:20], v[25:26], off offset:2048
	global_load_dwordx4 v[21:24], v[25:26], off offset:2064
	v_fma_mix_f32 v25, v11, v27, v31 op_sel_hi:[1,1,0]
	v_fma_mix_f32 v26, v13, v27, v32 op_sel_hi:[1,1,0]
	v_fma_mix_f32 v11, v11, v27, v25 op_sel:[1,1,0] op_sel_hi:[1,1,0]
	v_fma_mix_f32 v13, v13, v27, v26 op_sel:[1,1,0] op_sel_hi:[1,1,0]
	v_fma_mix_f32 v11, v12, v28, v11 op_sel_hi:[1,1,0]
	v_fma_mix_f32 v13, v14, v28, v13 op_sel_hi:[1,1,0]
	v_fma_mix_f32 v11, v12, v28, v11 op_sel:[1,1,0] op_sel_hi:[1,1,0]
	v_fma_mix_f32 v12, v14, v28, v13 op_sel:[1,1,0] op_sel_hi:[1,1,0]
	s_waitcnt vmcnt(1)
	v_fma_mix_f32 v6, v17, v29, v6 op_sel_hi:[1,1,0]
	v_fma_mix_f32 v13, v19, v29, v33 op_sel_hi:[1,1,0]
	s_waitcnt vmcnt(0)
	v_fma_mix_f32 v11, v21, v29, v11 op_sel_hi:[1,1,0]
	v_fma_mix_f32 v12, v23, v29, v12 op_sel_hi:[1,1,0]
	v_fma_mix_f32 v6, v17, v29, v6 op_sel:[1,1,0] op_sel_hi:[1,1,0]
	v_fma_mix_f32 v13, v19, v29, v13 op_sel:[1,1,0] op_sel_hi:[1,1,0]
	;; [unrolled: 1-line block ×4, first 2 shown]
	v_fma_mix_f32 v6, v18, v30, v6 op_sel_hi:[1,1,0]
	v_fma_mix_f32 v13, v20, v30, v13 op_sel_hi:[1,1,0]
	;; [unrolled: 1-line block ×4, first 2 shown]
	v_fma_mix_f32 v14, v18, v30, v6 op_sel:[1,1,0] op_sel_hi:[1,1,0]
	v_fma_mix_f32 v13, v20, v30, v13 op_sel:[1,1,0] op_sel_hi:[1,1,0]
	;; [unrolled: 1-line block ×4, first 2 shown]
	s_andn2_b64 exec, exec, s[10:11]
	s_cbranch_execnz .LBB94_21
; %bb.22:
	s_or_b64 exec, exec, s[10:11]
.LBB94_23:
	s_or_b64 exec, exec, s[2:3]
.LBB94_24:
	s_or_b64 exec, exec, s[8:9]
	s_cbranch_execz .LBB94_26
	s_branch .LBB94_37
.LBB94_25:
                                        ; implicit-def: $vgpr11
                                        ; implicit-def: $vgpr12
                                        ; implicit-def: $vgpr13
                                        ; implicit-def: $vgpr14
.LBB94_26:
	v_mov_b32_e32 v11, 0
	v_mov_b32_e32 v12, 0
	;; [unrolled: 1-line block ×4, first 2 shown]
	s_and_saveexec_b64 s[2:3], s[0:1]
	s_cbranch_execz .LBB94_36
; %bb.27:
	v_add_u32_e32 v1, v15, v9
	v_subrev_u32_e32 v1, s20, v1
	v_add_u32_e32 v1, 64, v1
	v_max_i32_e32 v1, v1, v10
	v_not_b32_e32 v5, v15
	v_add3_u32 v1, s20, v1, v5
	v_sub_u32_e32 v5, v1, v9
	s_movk_i32 s0, 0xc0
	v_and_b32_e32 v1, 0xc0, v5
	v_cmp_ne_u32_e32 vcc, s0, v1
	v_mov_b32_e32 v14, 0
	v_mov_b32_e32 v13, 0
	;; [unrolled: 1-line block ×4, first 2 shown]
	s_and_saveexec_b64 s[8:9], vcc
	s_cbranch_execz .LBB94_31
; %bb.28:
	v_lshrrev_b32_e32 v1, 6, v5
	v_add_u32_e32 v1, 1, v1
	v_and_b32_e32 v1, 3, v1
	v_sub_u32_e32 v6, 0, v1
	v_mov_b32_e32 v11, 0
	s_mov_b64 s[10:11], 0
	v_mov_b32_e32 v7, s13
	v_mov_b32_e32 v8, s7
	;; [unrolled: 1-line block ×5, first 2 shown]
.LBB94_29:                              ; =>This Inner Loop Header: Depth=1
	v_ashrrev_i32_e32 v1, 31, v0
	v_lshlrev_b64 v[15:16], 2, v[0:1]
	v_add_co_u32_e64 v6, s[0:1], 1, v6
	v_add_co_u32_e32 v19, vcc, s12, v15
	v_addc_co_u32_e32 v20, vcc, v7, v16, vcc
	global_load_dword v1, v[19:20], off
	global_load_dwordx4 v[15:18], v[2:3], off
	v_add_u32_e32 v0, 64, v0
	s_or_b64 s[10:11], s[0:1], s[10:11]
	s_waitcnt vmcnt(1)
	v_subrev_u32_e32 v1, s20, v1
	v_lshlrev_b32_e32 v19, 2, v1
	v_ashrrev_i32_e32 v20, 31, v19
	v_lshlrev_b64 v[19:20], 1, v[19:20]
	v_add_co_u32_e32 v23, vcc, s6, v19
	v_addc_co_u32_e32 v24, vcc, v8, v20, vcc
	global_load_dwordx2 v[25:26], v[23:24], off
	global_load_dwordx4 v[19:22], v[2:3], off offset:16
	v_add_co_u32_e32 v2, vcc, 0x800, v2
	v_addc_co_u32_e32 v3, vcc, 0, v3, vcc
	s_waitcnt vmcnt(1)
	v_fma_mix_f32 v1, v15, v25, v14 op_sel_hi:[1,1,0]
	v_fma_mix_f32 v13, v15, v25, v13 op_sel:[1,0,0] op_sel_hi:[1,1,0]
	v_fma_mix_f32 v12, v16, v25, v12 op_sel_hi:[1,1,0]
	v_fma_mix_f32 v11, v16, v25, v11 op_sel:[1,0,0] op_sel_hi:[1,1,0]
	v_fma_mix_f32 v1, v17, v25, v1 op_sel:[0,1,0] op_sel_hi:[1,1,0]
	;; [unrolled: 1-line block ×5, first 2 shown]
	s_waitcnt vmcnt(0)
	v_fma_mix_f32 v1, v19, v26, v1 op_sel_hi:[1,1,0]
	v_fma_mix_f32 v13, v19, v26, v13 op_sel:[1,0,0] op_sel_hi:[1,1,0]
	v_fma_mix_f32 v12, v20, v26, v12 op_sel_hi:[1,1,0]
	v_fma_mix_f32 v11, v20, v26, v11 op_sel:[1,0,0] op_sel_hi:[1,1,0]
	v_fma_mix_f32 v14, v21, v26, v1 op_sel:[0,1,0] op_sel_hi:[1,1,0]
	;; [unrolled: 1-line block ×5, first 2 shown]
	s_andn2_b64 exec, exec, s[10:11]
	s_cbranch_execnz .LBB94_29
; %bb.30:
	s_or_b64 exec, exec, s[10:11]
.LBB94_31:
	s_or_b64 exec, exec, s[8:9]
	s_movk_i32 s0, 0xbf
	v_cmp_lt_u32_e32 vcc, s0, v5
	s_and_saveexec_b64 s[0:1], vcc
	s_cbranch_execz .LBB94_35
; %bb.32:
	s_mov_b64 s[8:9], 0
	v_mov_b32_e32 v5, s13
	v_mov_b32_e32 v6, s7
	s_movk_i32 s7, 0x1000
.LBB94_33:                              ; =>This Inner Loop Header: Depth=1
	v_ashrrev_i32_e32 v1, 31, v0
	v_lshlrev_b64 v[7:8], 2, v[0:1]
	global_load_dwordx4 v[15:18], v[2:3], off
	global_load_dwordx4 v[19:22], v[2:3], off offset:16
	v_add_co_u32_e32 v7, vcc, s12, v7
	v_addc_co_u32_e32 v8, vcc, v5, v8, vcc
	global_load_dword v1, v[7:8], off
	global_load_dword v23, v[7:8], off offset:256
	global_load_dword v29, v[7:8], off offset:512
	;; [unrolled: 1-line block ×3, first 2 shown]
	v_add_u32_e32 v0, 0x100, v0
	s_waitcnt vmcnt(3)
	v_subrev_u32_e32 v1, s20, v1
	s_waitcnt vmcnt(2)
	v_subrev_u32_e32 v8, s20, v23
	v_lshlrev_b32_e32 v7, 2, v1
	v_lshlrev_b32_e32 v23, 2, v8
	v_ashrrev_i32_e32 v8, 31, v7
	v_lshlrev_b64 v[7:8], 1, v[7:8]
	v_ashrrev_i32_e32 v24, 31, v23
	v_lshlrev_b64 v[23:24], 1, v[23:24]
	v_add_co_u32_e32 v7, vcc, s6, v7
	v_addc_co_u32_e32 v8, vcc, v6, v8, vcc
	v_add_co_u32_e32 v23, vcc, s6, v23
	v_addc_co_u32_e32 v24, vcc, v6, v24, vcc
	global_load_dwordx2 v[25:26], v[7:8], off
	global_load_dwordx2 v[27:28], v[23:24], off
	s_waitcnt vmcnt(1)
	v_fma_mix_f32 v1, v15, v25, v14 op_sel_hi:[1,1,0]
	v_fma_mix_f32 v7, v15, v25, v13 op_sel:[1,0,0] op_sel_hi:[1,1,0]
	v_fma_mix_f32 v11, v16, v25, v11 op_sel:[1,0,0] op_sel_hi:[1,1,0]
	v_fma_mix_f32 v8, v16, v25, v12 op_sel_hi:[1,1,0]
	v_fma_mix_f32 v1, v17, v25, v1 op_sel:[0,1,0] op_sel_hi:[1,1,0]
	v_fma_mix_f32 v7, v17, v25, v7 op_sel:[1,1,0] op_sel_hi:[1,1,0]
	v_fma_mix_f32 v15, v18, v25, v11 op_sel:[1,1,0] op_sel_hi:[1,1,0]
	global_load_dwordx4 v[11:14], v[2:3], off offset:2048
	v_fma_mix_f32 v1, v19, v26, v1 op_sel_hi:[1,1,0]
	v_fma_mix_f32 v7, v19, v26, v7 op_sel:[1,0,0] op_sel_hi:[1,1,0]
	v_fma_mix_f32 v15, v20, v26, v15 op_sel:[1,0,0] op_sel_hi:[1,1,0]
	;; [unrolled: 1-line block ×6, first 2 shown]
	global_load_dwordx4 v[15:18], v[2:3], off offset:2064
	v_fma_mix_f32 v8, v20, v26, v8 op_sel_hi:[1,1,0]
	v_fma_mix_f32 v20, v22, v26, v8 op_sel:[0,1,0] op_sel_hi:[1,1,0]
	v_add_co_u32_e32 v7, vcc, s7, v2
	v_addc_co_u32_e32 v8, vcc, 0, v3, vcc
	s_waitcnt vmcnt(1)
	v_fma_mix_f32 v1, v11, v27, v1 op_sel_hi:[1,1,0]
	v_fma_mix_f32 v11, v11, v27, v19 op_sel:[1,0,0] op_sel_hi:[1,1,0]
	v_fma_mix_f32 v19, v12, v27, v20 op_sel_hi:[1,1,0]
	v_fma_mix_f32 v19, v14, v27, v19 op_sel:[0,1,0] op_sel_hi:[1,1,0]
	v_fma_mix_f32 v12, v12, v27, v21 op_sel:[1,0,0] op_sel_hi:[1,1,0]
	;; [unrolled: 1-line block ×5, first 2 shown]
	s_waitcnt vmcnt(0)
	v_fma_mix_f32 v19, v16, v28, v19 op_sel_hi:[1,1,0]
	v_fma_mix_f32 v31, v18, v28, v19 op_sel:[0,1,0] op_sel_hi:[1,1,0]
	v_subrev_u32_e32 v19, s20, v29
	v_fma_mix_f32 v1, v15, v28, v1 op_sel_hi:[1,1,0]
	v_fma_mix_f32 v15, v15, v28, v20 op_sel:[1,0,0] op_sel_hi:[1,1,0]
	v_subrev_u32_e32 v20, s20, v30
	v_lshlrev_b32_e32 v19, 2, v19
	v_fma_mix_f32 v16, v16, v28, v21 op_sel:[1,0,0] op_sel_hi:[1,1,0]
	v_lshlrev_b32_e32 v21, 2, v20
	v_ashrrev_i32_e32 v20, 31, v19
	v_lshlrev_b64 v[19:20], 1, v[19:20]
	v_ashrrev_i32_e32 v22, 31, v21
	v_lshlrev_b64 v[21:22], 1, v[21:22]
	v_add_co_u32_e32 v19, vcc, s6, v19
	v_addc_co_u32_e32 v20, vcc, v6, v20, vcc
	global_load_dwordx4 v[11:14], v[7:8], off
	v_add_co_u32_e32 v21, vcc, s6, v21
	v_fma_mix_f32 v1, v17, v28, v1 op_sel:[0,1,0] op_sel_hi:[1,1,0]
	v_fma_mix_f32 v27, v17, v28, v15 op_sel:[1,1,0] op_sel_hi:[1,1,0]
	;; [unrolled: 1-line block ×3, first 2 shown]
	global_load_dwordx4 v[15:18], v[7:8], off offset:16
	v_addc_co_u32_e32 v22, vcc, v6, v22, vcc
	global_load_dwordx2 v[23:24], v[19:20], off
	global_load_dwordx2 v[25:26], v[21:22], off
	v_add_co_u32_e32 v2, vcc, 0x2000, v2
	v_addc_co_u32_e32 v3, vcc, 0, v3, vcc
	v_cmp_ge_i32_e32 vcc, v0, v10
	s_or_b64 s[8:9], vcc, s[8:9]
	s_waitcnt vmcnt(1)
	v_fma_mix_f32 v1, v11, v23, v1 op_sel_hi:[1,1,0]
	v_fma_mix_f32 v11, v11, v23, v27 op_sel:[1,0,0] op_sel_hi:[1,1,0]
	v_fma_mix_f32 v19, v12, v23, v31 op_sel_hi:[1,1,0]
	v_fma_mix_f32 v12, v12, v23, v28 op_sel:[1,0,0] op_sel_hi:[1,1,0]
	v_fma_mix_f32 v1, v13, v23, v1 op_sel:[0,1,0] op_sel_hi:[1,1,0]
	;; [unrolled: 1-line block ×5, first 2 shown]
	global_load_dwordx4 v[11:14], v[7:8], off offset:2048
	global_load_dwordx4 v[19:22], v[7:8], off offset:2064
	v_fma_mix_f32 v1, v15, v24, v1 op_sel_hi:[1,1,0]
	v_fma_mix_f32 v7, v15, v24, v27 op_sel:[1,0,0] op_sel_hi:[1,1,0]
	v_fma_mix_f32 v8, v16, v24, v28 op_sel_hi:[1,1,0]
	v_fma_mix_f32 v15, v16, v24, v23 op_sel:[1,0,0] op_sel_hi:[1,1,0]
	v_fma_mix_f32 v1, v17, v24, v1 op_sel:[0,1,0] op_sel_hi:[1,1,0]
	;; [unrolled: 1-line block ×5, first 2 shown]
	s_waitcnt vmcnt(1)
	v_fma_mix_f32 v1, v11, v25, v1 op_sel_hi:[1,1,0]
	v_fma_mix_f32 v7, v11, v25, v7 op_sel:[1,0,0] op_sel_hi:[1,1,0]
	v_fma_mix_f32 v8, v12, v25, v8 op_sel_hi:[1,1,0]
	v_fma_mix_f32 v11, v12, v25, v15 op_sel:[1,0,0] op_sel_hi:[1,1,0]
	v_fma_mix_f32 v1, v13, v25, v1 op_sel:[0,1,0] op_sel_hi:[1,1,0]
	;; [unrolled: 1-line block ×5, first 2 shown]
	s_waitcnt vmcnt(0)
	v_fma_mix_f32 v1, v19, v26, v1 op_sel_hi:[1,1,0]
	v_fma_mix_f32 v7, v19, v26, v7 op_sel:[1,0,0] op_sel_hi:[1,1,0]
	v_fma_mix_f32 v8, v20, v26, v8 op_sel_hi:[1,1,0]
	v_fma_mix_f32 v11, v20, v26, v11 op_sel:[1,0,0] op_sel_hi:[1,1,0]
	v_fma_mix_f32 v14, v21, v26, v1 op_sel:[0,1,0] op_sel_hi:[1,1,0]
	;; [unrolled: 1-line block ×5, first 2 shown]
	s_andn2_b64 exec, exec, s[8:9]
	s_cbranch_execnz .LBB94_33
; %bb.34:
	s_or_b64 exec, exec, s[8:9]
.LBB94_35:
	s_or_b64 exec, exec, s[0:1]
.LBB94_36:
	s_or_b64 exec, exec, s[2:3]
.LBB94_37:
	v_mov_b32_dpp v0, v14 row_shr:1 row_mask:0xf bank_mask:0xf
	v_mov_b32_dpp v2, v13 row_shr:1 row_mask:0xf bank_mask:0xf
	v_mov_b32_dpp v5, v12 row_shr:1 row_mask:0xf bank_mask:0xf
	v_mov_b32_dpp v7, v11 row_shr:1 row_mask:0xf bank_mask:0xf
	v_add_f32_e32 v0, v14, v0
	v_add_f32_e32 v2, v13, v2
	v_add_f32_e32 v5, v12, v5
	v_add_f32_e32 v7, v11, v7
	v_mov_b32_dpp v1, v0 row_shr:2 row_mask:0xf bank_mask:0xf
	v_mov_b32_dpp v3, v2 row_shr:2 row_mask:0xf bank_mask:0xf
	v_mov_b32_dpp v6, v5 row_shr:2 row_mask:0xf bank_mask:0xf
	v_mov_b32_dpp v8, v7 row_shr:2 row_mask:0xf bank_mask:0xf
	v_add_f32_e32 v0, v0, v1
	v_add_f32_e32 v2, v2, v3
	v_add_f32_e32 v5, v5, v6
	v_add_f32_e32 v7, v7, v8
	;; [unrolled: 8-line block ×4, first 2 shown]
	v_mov_b32_dpp v1, v0 row_bcast:15 row_mask:0xa bank_mask:0xf
	v_mov_b32_dpp v3, v2 row_bcast:15 row_mask:0xa bank_mask:0xf
	;; [unrolled: 1-line block ×4, first 2 shown]
	v_add_f32_e32 v0, v0, v1
	v_add_f32_e32 v2, v2, v3
	;; [unrolled: 1-line block ×4, first 2 shown]
	v_mov_b32_dpp v1, v0 row_bcast:31 row_mask:0xc bank_mask:0xf
	v_mov_b32_dpp v3, v2 row_bcast:31 row_mask:0xc bank_mask:0xf
	;; [unrolled: 1-line block ×4, first 2 shown]
	v_cmp_eq_u32_e32 vcc, 63, v9
	s_and_b64 exec, exec, vcc
	s_cbranch_execz .LBB94_10
; %bb.38:
	s_load_dwordx2 s[0:1], s[4:5], 0x50
	v_add_f32_e32 v0, v0, v1
	v_add_f32_e32 v1, v2, v3
	;; [unrolled: 1-line block ×4, first 2 shown]
	v_cmp_eq_f32_e64 s[2:3], s16, 0
	s_and_b64 vcc, exec, s[2:3]
	v_mul_f32_e32 v0, s18, v0
	v_mul_f32_e32 v1, s18, v1
	;; [unrolled: 1-line block ×4, first 2 shown]
	v_lshlrev_b32_e32 v4, 2, v4
	s_cbranch_vccz .LBB94_40
; %bb.39:
	v_ashrrev_i32_e32 v5, 31, v4
	v_lshlrev_b64 v[5:6], 2, v[4:5]
	s_waitcnt lgkmcnt(0)
	v_mov_b32_e32 v7, s1
	v_add_co_u32_e32 v5, vcc, s0, v5
	v_addc_co_u32_e32 v6, vcc, v7, v6, vcc
	global_store_dwordx4 v[5:6], v[0:3], off
	s_cbranch_execnz .LBB94_10
	s_branch .LBB94_41
.LBB94_40:
.LBB94_41:
	v_ashrrev_i32_e32 v5, 31, v4
	v_lshlrev_b64 v[4:5], 2, v[4:5]
	s_waitcnt lgkmcnt(0)
	v_mov_b32_e32 v6, s1
	v_add_co_u32_e32 v8, vcc, s0, v4
	v_addc_co_u32_e32 v9, vcc, v6, v5, vcc
	global_load_dwordx4 v[4:7], v[8:9], off
	s_waitcnt vmcnt(0)
	v_fmac_f32_e32 v0, s16, v4
	v_fmac_f32_e32 v1, s16, v5
	;; [unrolled: 1-line block ×4, first 2 shown]
	global_store_dwordx4 v[8:9], v[0:3], off
	s_endpgm
	.section	.rodata,"a",@progbits
	.p2align	6, 0x0
	.amdhsa_kernel _ZN9rocsparseL18bsrxmvn_4x4_kernelILj128ELj64EfiiDF16_DF16_fEEvT3_20rocsparse_direction_NS_24const_host_device_scalarIT1_EES1_PKS1_PKT2_SA_S7_PKT4_PKT5_S5_PT6_21rocsparse_index_base_b
		.amdhsa_group_segment_fixed_size 0
		.amdhsa_private_segment_fixed_size 0
		.amdhsa_kernarg_size 96
		.amdhsa_user_sgpr_count 6
		.amdhsa_user_sgpr_private_segment_buffer 1
		.amdhsa_user_sgpr_dispatch_ptr 0
		.amdhsa_user_sgpr_queue_ptr 0
		.amdhsa_user_sgpr_kernarg_segment_ptr 1
		.amdhsa_user_sgpr_dispatch_id 0
		.amdhsa_user_sgpr_flat_scratch_init 0
		.amdhsa_user_sgpr_private_segment_size 0
		.amdhsa_uses_dynamic_stack 0
		.amdhsa_system_sgpr_private_segment_wavefront_offset 0
		.amdhsa_system_sgpr_workgroup_id_x 1
		.amdhsa_system_sgpr_workgroup_id_y 0
		.amdhsa_system_sgpr_workgroup_id_z 0
		.amdhsa_system_sgpr_workgroup_info 0
		.amdhsa_system_vgpr_workitem_id 0
		.amdhsa_next_free_vgpr 36
		.amdhsa_next_free_sgpr 22
		.amdhsa_reserve_vcc 1
		.amdhsa_reserve_flat_scratch 0
		.amdhsa_float_round_mode_32 0
		.amdhsa_float_round_mode_16_64 0
		.amdhsa_float_denorm_mode_32 3
		.amdhsa_float_denorm_mode_16_64 3
		.amdhsa_dx10_clamp 1
		.amdhsa_ieee_mode 1
		.amdhsa_fp16_overflow 0
		.amdhsa_exception_fp_ieee_invalid_op 0
		.amdhsa_exception_fp_denorm_src 0
		.amdhsa_exception_fp_ieee_div_zero 0
		.amdhsa_exception_fp_ieee_overflow 0
		.amdhsa_exception_fp_ieee_underflow 0
		.amdhsa_exception_fp_ieee_inexact 0
		.amdhsa_exception_int_div_zero 0
	.end_amdhsa_kernel
	.section	.text._ZN9rocsparseL18bsrxmvn_4x4_kernelILj128ELj64EfiiDF16_DF16_fEEvT3_20rocsparse_direction_NS_24const_host_device_scalarIT1_EES1_PKS1_PKT2_SA_S7_PKT4_PKT5_S5_PT6_21rocsparse_index_base_b,"axG",@progbits,_ZN9rocsparseL18bsrxmvn_4x4_kernelILj128ELj64EfiiDF16_DF16_fEEvT3_20rocsparse_direction_NS_24const_host_device_scalarIT1_EES1_PKS1_PKT2_SA_S7_PKT4_PKT5_S5_PT6_21rocsparse_index_base_b,comdat
.Lfunc_end94:
	.size	_ZN9rocsparseL18bsrxmvn_4x4_kernelILj128ELj64EfiiDF16_DF16_fEEvT3_20rocsparse_direction_NS_24const_host_device_scalarIT1_EES1_PKS1_PKT2_SA_S7_PKT4_PKT5_S5_PT6_21rocsparse_index_base_b, .Lfunc_end94-_ZN9rocsparseL18bsrxmvn_4x4_kernelILj128ELj64EfiiDF16_DF16_fEEvT3_20rocsparse_direction_NS_24const_host_device_scalarIT1_EES1_PKS1_PKT2_SA_S7_PKT4_PKT5_S5_PT6_21rocsparse_index_base_b
                                        ; -- End function
	.set _ZN9rocsparseL18bsrxmvn_4x4_kernelILj128ELj64EfiiDF16_DF16_fEEvT3_20rocsparse_direction_NS_24const_host_device_scalarIT1_EES1_PKS1_PKT2_SA_S7_PKT4_PKT5_S5_PT6_21rocsparse_index_base_b.num_vgpr, 36
	.set _ZN9rocsparseL18bsrxmvn_4x4_kernelILj128ELj64EfiiDF16_DF16_fEEvT3_20rocsparse_direction_NS_24const_host_device_scalarIT1_EES1_PKS1_PKT2_SA_S7_PKT4_PKT5_S5_PT6_21rocsparse_index_base_b.num_agpr, 0
	.set _ZN9rocsparseL18bsrxmvn_4x4_kernelILj128ELj64EfiiDF16_DF16_fEEvT3_20rocsparse_direction_NS_24const_host_device_scalarIT1_EES1_PKS1_PKT2_SA_S7_PKT4_PKT5_S5_PT6_21rocsparse_index_base_b.numbered_sgpr, 22
	.set _ZN9rocsparseL18bsrxmvn_4x4_kernelILj128ELj64EfiiDF16_DF16_fEEvT3_20rocsparse_direction_NS_24const_host_device_scalarIT1_EES1_PKS1_PKT2_SA_S7_PKT4_PKT5_S5_PT6_21rocsparse_index_base_b.num_named_barrier, 0
	.set _ZN9rocsparseL18bsrxmvn_4x4_kernelILj128ELj64EfiiDF16_DF16_fEEvT3_20rocsparse_direction_NS_24const_host_device_scalarIT1_EES1_PKS1_PKT2_SA_S7_PKT4_PKT5_S5_PT6_21rocsparse_index_base_b.private_seg_size, 0
	.set _ZN9rocsparseL18bsrxmvn_4x4_kernelILj128ELj64EfiiDF16_DF16_fEEvT3_20rocsparse_direction_NS_24const_host_device_scalarIT1_EES1_PKS1_PKT2_SA_S7_PKT4_PKT5_S5_PT6_21rocsparse_index_base_b.uses_vcc, 1
	.set _ZN9rocsparseL18bsrxmvn_4x4_kernelILj128ELj64EfiiDF16_DF16_fEEvT3_20rocsparse_direction_NS_24const_host_device_scalarIT1_EES1_PKS1_PKT2_SA_S7_PKT4_PKT5_S5_PT6_21rocsparse_index_base_b.uses_flat_scratch, 0
	.set _ZN9rocsparseL18bsrxmvn_4x4_kernelILj128ELj64EfiiDF16_DF16_fEEvT3_20rocsparse_direction_NS_24const_host_device_scalarIT1_EES1_PKS1_PKT2_SA_S7_PKT4_PKT5_S5_PT6_21rocsparse_index_base_b.has_dyn_sized_stack, 0
	.set _ZN9rocsparseL18bsrxmvn_4x4_kernelILj128ELj64EfiiDF16_DF16_fEEvT3_20rocsparse_direction_NS_24const_host_device_scalarIT1_EES1_PKS1_PKT2_SA_S7_PKT4_PKT5_S5_PT6_21rocsparse_index_base_b.has_recursion, 0
	.set _ZN9rocsparseL18bsrxmvn_4x4_kernelILj128ELj64EfiiDF16_DF16_fEEvT3_20rocsparse_direction_NS_24const_host_device_scalarIT1_EES1_PKS1_PKT2_SA_S7_PKT4_PKT5_S5_PT6_21rocsparse_index_base_b.has_indirect_call, 0
	.section	.AMDGPU.csdata,"",@progbits
; Kernel info:
; codeLenInByte = 3508
; TotalNumSgprs: 26
; NumVgprs: 36
; ScratchSize: 0
; MemoryBound: 0
; FloatMode: 240
; IeeeMode: 1
; LDSByteSize: 0 bytes/workgroup (compile time only)
; SGPRBlocks: 3
; VGPRBlocks: 8
; NumSGPRsForWavesPerEU: 26
; NumVGPRsForWavesPerEU: 36
; Occupancy: 7
; WaveLimiterHint : 1
; COMPUTE_PGM_RSRC2:SCRATCH_EN: 0
; COMPUTE_PGM_RSRC2:USER_SGPR: 6
; COMPUTE_PGM_RSRC2:TRAP_HANDLER: 0
; COMPUTE_PGM_RSRC2:TGID_X_EN: 1
; COMPUTE_PGM_RSRC2:TGID_Y_EN: 0
; COMPUTE_PGM_RSRC2:TGID_Z_EN: 0
; COMPUTE_PGM_RSRC2:TIDIG_COMP_CNT: 0
	.section	.text._ZN9rocsparseL18bsrxmvn_4x4_kernelILj128ELj4EfliDF16_DF16_fEEvT3_20rocsparse_direction_NS_24const_host_device_scalarIT1_EES1_PKS1_PKT2_SA_S7_PKT4_PKT5_S5_PT6_21rocsparse_index_base_b,"axG",@progbits,_ZN9rocsparseL18bsrxmvn_4x4_kernelILj128ELj4EfliDF16_DF16_fEEvT3_20rocsparse_direction_NS_24const_host_device_scalarIT1_EES1_PKS1_PKT2_SA_S7_PKT4_PKT5_S5_PT6_21rocsparse_index_base_b,comdat
	.globl	_ZN9rocsparseL18bsrxmvn_4x4_kernelILj128ELj4EfliDF16_DF16_fEEvT3_20rocsparse_direction_NS_24const_host_device_scalarIT1_EES1_PKS1_PKT2_SA_S7_PKT4_PKT5_S5_PT6_21rocsparse_index_base_b ; -- Begin function _ZN9rocsparseL18bsrxmvn_4x4_kernelILj128ELj4EfliDF16_DF16_fEEvT3_20rocsparse_direction_NS_24const_host_device_scalarIT1_EES1_PKS1_PKT2_SA_S7_PKT4_PKT5_S5_PT6_21rocsparse_index_base_b
	.p2align	8
	.type	_ZN9rocsparseL18bsrxmvn_4x4_kernelILj128ELj4EfliDF16_DF16_fEEvT3_20rocsparse_direction_NS_24const_host_device_scalarIT1_EES1_PKS1_PKT2_SA_S7_PKT4_PKT5_S5_PT6_21rocsparse_index_base_b,@function
_ZN9rocsparseL18bsrxmvn_4x4_kernelILj128ELj4EfliDF16_DF16_fEEvT3_20rocsparse_direction_NS_24const_host_device_scalarIT1_EES1_PKS1_PKT2_SA_S7_PKT4_PKT5_S5_PT6_21rocsparse_index_base_b: ; @_ZN9rocsparseL18bsrxmvn_4x4_kernelILj128ELj4EfliDF16_DF16_fEEvT3_20rocsparse_direction_NS_24const_host_device_scalarIT1_EES1_PKS1_PKT2_SA_S7_PKT4_PKT5_S5_PT6_21rocsparse_index_base_b
; %bb.0:
	s_load_dwordx2 s[20:21], s[4:5], 0x58
	s_load_dwordx2 s[18:19], s[4:5], 0x8
	;; [unrolled: 1-line block ×3, first 2 shown]
	s_waitcnt lgkmcnt(0)
	s_bitcmp1_b32 s21, 0
	s_cselect_b64 s[2:3], -1, 0
	s_xor_b64 s[0:1], s[2:3], -1
	s_and_b64 vcc, exec, s[2:3]
	s_cbranch_vccnz .LBB95_2
; %bb.1:
	s_load_dword s18, s[18:19], 0x0
.LBB95_2:
	s_andn2_b64 vcc, exec, s[0:1]
	s_cbranch_vccnz .LBB95_4
; %bb.3:
	s_load_dword s16, s[16:17], 0x0
.LBB95_4:
	s_waitcnt lgkmcnt(0)
	v_cmp_neq_f32_e64 s[0:1], s18, 0
	v_cmp_neq_f32_e64 s[2:3], s16, 1.0
	s_or_b64 s[0:1], s[0:1], s[2:3]
	s_andn2_b64 vcc, exec, s[0:1]
	s_cbranch_vccnz .LBB95_10
; %bb.5:
	s_load_dwordx2 s[8:9], s[4:5], 0x18
	s_load_dwordx2 s[0:1], s[4:5], 0x0
	v_lshrrev_b32_e32 v1, 2, v0
	v_lshl_or_b32 v4, s6, 5, v1
	s_mov_b64 s[2:3], 0
	s_waitcnt lgkmcnt(0)
	s_cmp_lg_u64 s[8:9], 0
	s_cbranch_scc0 .LBB95_11
; %bb.6:
	s_load_dword s6, s[4:5], 0x10
                                        ; implicit-def: $vgpr1
	s_waitcnt lgkmcnt(0)
	v_cmp_gt_i32_e32 vcc, s6, v4
	s_and_saveexec_b64 s[6:7], vcc
	s_xor_b64 s[6:7], exec, s[6:7]
	s_cbranch_execz .LBB95_8
; %bb.7:
	v_ashrrev_i32_e32 v5, 31, v4
	v_lshlrev_b64 v[1:2], 2, v[4:5]
	v_mov_b32_e32 v3, s9
	v_add_co_u32_e32 v1, vcc, s8, v1
	v_addc_co_u32_e32 v2, vcc, v3, v2, vcc
	global_load_dword v1, v[1:2], off
	s_mov_b64 s[2:3], exec
	s_waitcnt vmcnt(0)
	v_subrev_u32_e32 v1, s20, v1
.LBB95_8:
	s_or_b64 exec, exec, s[6:7]
	s_branch .LBB95_12
.LBB95_9:
	v_cmp_gt_i32_e32 vcc, s0, v4
	s_andn2_b64 s[2:3], s[2:3], exec
	s_and_b64 s[6:7], vcc, exec
	s_or_b64 s[2:3], s[2:3], s[6:7]
	s_and_saveexec_b64 s[6:7], s[2:3]
	s_cbranch_execnz .LBB95_13
.LBB95_10:
	s_endpgm
.LBB95_11:
                                        ; implicit-def: $vgpr1
	s_cbranch_execnz .LBB95_9
.LBB95_12:
	v_mov_b32_e32 v4, v1
	s_and_saveexec_b64 s[6:7], s[2:3]
	s_cbranch_execz .LBB95_10
.LBB95_13:
	s_load_dwordx8 s[8:15], s[4:5], 0x20
	v_ashrrev_i32_e32 v5, 31, v4
	v_lshlrev_b64 v[1:2], 3, v[4:5]
	v_and_b32_e32 v21, 3, v0
	s_load_dwordx2 s[6:7], s[4:5], 0x40
	s_waitcnt lgkmcnt(0)
	v_mov_b32_e32 v3, s9
	v_add_co_u32_e32 v5, vcc, s8, v1
	v_addc_co_u32_e32 v6, vcc, v3, v2, vcc
	v_add_co_u32_e32 v3, vcc, 8, v5
	global_load_dwordx2 v[9:10], v[5:6], off
	v_addc_co_u32_e32 v5, vcc, 0, v6, vcc
	v_mov_b32_e32 v6, s11
	v_add_co_u32_e32 v1, vcc, s10, v1
	s_cmp_eq_u64 s[10:11], 0
	v_addc_co_u32_e32 v2, vcc, v6, v2, vcc
	s_cselect_b64 vcc, -1, 0
	v_cndmask_b32_e32 v2, v2, v5, vcc
	v_cndmask_b32_e32 v1, v1, v3, vcc
	global_load_dwordx2 v[2:3], v[1:2], off
	v_mov_b32_e32 v8, s15
	s_cmp_eq_u32 s1, 1
	v_mov_b32_e32 v7, 0
	s_waitcnt vmcnt(1)
	v_subrev_co_u32_e32 v0, vcc, s20, v9
	v_subbrev_co_u32_e32 v1, vcc, 0, v10, vcc
	v_add_co_u32_e32 v0, vcc, v0, v21
	v_addc_co_u32_e32 v1, vcc, 0, v1, vcc
	v_lshlrev_b64 v[5:6], 5, v[0:1]
	s_waitcnt vmcnt(0)
	v_subrev_co_u32_e32 v2, vcc, s20, v2
	v_subbrev_co_u32_e32 v3, vcc, 0, v3, vcc
	v_cmp_lt_i64_e64 s[0:1], v[0:1], v[2:3]
	v_add_co_u32_e32 v5, vcc, s14, v5
	v_addc_co_u32_e32 v6, vcc, v8, v6, vcc
	s_cbranch_scc1 .LBB95_25
; %bb.14:
	v_mov_b32_e32 v22, 0
	v_mov_b32_e32 v23, 0
	;; [unrolled: 1-line block ×3, first 2 shown]
	s_and_saveexec_b64 s[8:9], s[0:1]
	s_cbranch_execz .LBB95_24
; %bb.15:
	v_or_b32_e32 v7, 4, v21
	v_subrev_co_u32_e32 v7, vcc, s20, v7
	v_subb_co_u32_e64 v8, s[2:3], 0, 0, vcc
	v_add_co_u32_e32 v7, vcc, v7, v9
	v_addc_co_u32_e32 v8, vcc, v8, v10, vcc
	v_cmp_gt_i64_e32 vcc, v[7:8], v[2:3]
	v_not_b32_e32 v12, v9
	v_cndmask_b32_e32 v8, v3, v8, vcc
	v_cndmask_b32_e32 v7, v2, v7, vcc
	v_sub_co_u32_e32 v13, vcc, s20, v21
	v_not_b32_e32 v11, v10
	v_subb_co_u32_e64 v14, s[2:3], 0, 0, vcc
	v_add_co_u32_e32 v12, vcc, v13, v12
	v_addc_co_u32_e32 v11, vcc, v14, v11, vcc
	v_add_co_u32_e32 v15, vcc, v12, v7
	v_addc_co_u32_e32 v16, vcc, v11, v8, vcc
	v_and_b32_e32 v7, 12, v15
	v_mov_b32_e32 v8, 0
	v_cmp_ne_u64_e32 vcc, 12, v[7:8]
	v_mov_b32_e32 v12, v1
	v_mov_b32_e32 v14, v6
	;; [unrolled: 1-line block ×7, first 2 shown]
	s_and_saveexec_b64 s[10:11], vcc
	s_cbranch_execz .LBB95_19
; %bb.16:
	v_lshlrev_b64 v[11:12], 2, v[0:1]
	v_lshrrev_b32_e32 v7, 2, v15
	v_add_u32_e32 v7, 1, v7
	v_mov_b32_e32 v13, s13
	v_add_co_u32_e32 v17, vcc, s12, v11
	v_and_b32_e32 v8, 3, v7
	v_addc_co_u32_e32 v18, vcc, v13, v12, vcc
	v_sub_co_u32_e32 v19, vcc, 0, v8
	v_mov_b32_e32 v14, v6
	v_mov_b32_e32 v12, v1
	;; [unrolled: 1-line block ×3, first 2 shown]
	s_mov_b64 s[14:15], 0
	v_subb_co_u32_e64 v20, s[2:3], 0, 0, vcc
	s_movk_i32 s17, 0x80
	v_mov_b32_e32 v24, s7
	v_mov_b32_e32 v13, v5
	;; [unrolled: 1-line block ×6, first 2 shown]
.LBB95_17:                              ; =>This Inner Loop Header: Depth=1
	global_load_dword v33, v[17:18], off
	global_load_dwordx4 v[25:28], v[13:14], off
	global_load_dwordx4 v[29:32], v[13:14], off offset:16
	v_add_co_u32_e64 v11, s[2:3], 4, v11
	v_addc_co_u32_e64 v12, s[2:3], 0, v12, s[2:3]
	v_add_co_u32_e64 v17, s[2:3], 16, v17
	v_addc_co_u32_e64 v18, s[2:3], 0, v18, s[2:3]
	;; [unrolled: 2-line block ×3, first 2 shown]
	v_cmp_eq_u64_e64 s[2:3], 0, v[19:20]
	s_or_b64 s[14:15], s[2:3], s[14:15]
	s_waitcnt vmcnt(2)
	v_subrev_u32_e32 v33, s20, v33
	v_lshlrev_b32_e32 v33, 2, v33
	v_ashrrev_i32_e32 v34, 31, v33
	v_lshlrev_b64 v[33:34], 1, v[33:34]
	v_add_co_u32_e32 v33, vcc, s6, v33
	v_addc_co_u32_e32 v34, vcc, v24, v34, vcc
	global_load_dwordx2 v[33:34], v[33:34], off
	v_add_co_u32_e32 v13, vcc, s17, v13
	v_addc_co_u32_e32 v14, vcc, 0, v14, vcc
	s_waitcnt vmcnt(0)
	v_fma_mix_f32 v8, v25, v33, v8 op_sel_hi:[1,1,0]
	v_fma_mix_f32 v23, v27, v33, v23 op_sel_hi:[1,1,0]
	v_fma_mix_f32 v22, v29, v33, v22 op_sel_hi:[1,1,0]
	v_fma_mix_f32 v7, v31, v33, v7 op_sel_hi:[1,1,0]
	v_fma_mix_f32 v8, v25, v33, v8 op_sel:[1,1,0] op_sel_hi:[1,1,0]
	v_fma_mix_f32 v23, v27, v33, v23 op_sel:[1,1,0] op_sel_hi:[1,1,0]
	;; [unrolled: 1-line block ×4, first 2 shown]
	v_fma_mix_f32 v8, v26, v34, v8 op_sel_hi:[1,1,0]
	v_fma_mix_f32 v23, v28, v34, v23 op_sel_hi:[1,1,0]
	;; [unrolled: 1-line block ×4, first 2 shown]
	v_fma_mix_f32 v8, v26, v34, v8 op_sel:[1,1,0] op_sel_hi:[1,1,0]
	v_fma_mix_f32 v23, v28, v34, v23 op_sel:[1,1,0] op_sel_hi:[1,1,0]
	;; [unrolled: 1-line block ×4, first 2 shown]
	s_andn2_b64 exec, exec, s[14:15]
	s_cbranch_execnz .LBB95_17
; %bb.18:
	s_or_b64 exec, exec, s[14:15]
.LBB95_19:
	s_or_b64 exec, exec, s[10:11]
	v_cmp_lt_u64_e32 vcc, 11, v[15:16]
	s_and_saveexec_b64 s[10:11], vcc
	s_cbranch_execz .LBB95_23
; %bb.20:
	v_lshlrev_b64 v[15:16], 2, v[11:12]
	v_mov_b32_e32 v17, s13
	v_add_co_u32_e32 v15, vcc, s12, v15
	v_addc_co_u32_e32 v16, vcc, v17, v16, vcc
	v_add_co_u32_e32 v15, vcc, 32, v15
	v_addc_co_u32_e32 v16, vcc, 0, v16, vcc
	s_mov_b64 s[14:15], 0
	v_mov_b32_e32 v17, s7
	s_movk_i32 s17, 0x200
.LBB95_21:                              ; =>This Inner Loop Header: Depth=1
	global_load_dword v18, v[15:16], off offset:-32
	global_load_dword v19, v[15:16], off offset:-16
	global_load_dword v20, v[15:16], off
	global_load_dword v36, v[15:16], off offset:16
	global_load_dwordx4 v[24:27], v[13:14], off
	global_load_dwordx4 v[28:31], v[13:14], off offset:16
	global_load_dwordx4 v[32:35], v[13:14], off offset:128
	v_add_co_u32_e64 v11, s[2:3], 16, v11
	v_addc_co_u32_e64 v12, s[2:3], 0, v12, s[2:3]
	v_add_co_u32_e64 v15, s[2:3], 64, v15
	v_addc_co_u32_e64 v16, s[2:3], 0, v16, s[2:3]
	v_cmp_ge_i64_e64 s[2:3], v[11:12], v[2:3]
	s_or_b64 s[14:15], s[2:3], s[14:15]
	s_waitcnt vmcnt(6)
	v_subrev_u32_e32 v18, s20, v18
	s_waitcnt vmcnt(5)
	v_subrev_u32_e32 v19, s20, v19
	v_lshlrev_b32_e32 v18, 2, v18
	s_waitcnt vmcnt(3)
	v_subrev_u32_e32 v37, s20, v36
	v_lshlrev_b32_e32 v36, 2, v19
	v_ashrrev_i32_e32 v19, 31, v18
	v_lshlrev_b64 v[18:19], 1, v[18:19]
	v_subrev_u32_e32 v20, s20, v20
	v_lshlrev_b32_e32 v40, 2, v37
	v_ashrrev_i32_e32 v37, 31, v36
	v_lshlrev_b32_e32 v38, 2, v20
	v_lshlrev_b64 v[36:37], 1, v[36:37]
	v_add_co_u32_e32 v18, vcc, s6, v18
	v_ashrrev_i32_e32 v39, 31, v38
	v_addc_co_u32_e32 v19, vcc, v17, v19, vcc
	v_lshlrev_b64 v[38:39], 1, v[38:39]
	v_add_co_u32_e32 v36, vcc, s6, v36
	v_ashrrev_i32_e32 v41, 31, v40
	v_addc_co_u32_e32 v37, vcc, v17, v37, vcc
	v_lshlrev_b64 v[40:41], 1, v[40:41]
	v_add_co_u32_e32 v38, vcc, s6, v38
	v_addc_co_u32_e32 v39, vcc, v17, v39, vcc
	v_add_co_u32_e32 v40, vcc, s6, v40
	v_addc_co_u32_e32 v41, vcc, v17, v41, vcc
	global_load_dwordx2 v[42:43], v[18:19], off
	global_load_dwordx2 v[44:45], v[36:37], off
	;; [unrolled: 1-line block ×4, first 2 shown]
	s_waitcnt vmcnt(3)
	v_fma_mix_f32 v8, v24, v42, v8 op_sel_hi:[1,1,0]
	v_fma_mix_f32 v8, v24, v42, v8 op_sel:[1,1,0] op_sel_hi:[1,1,0]
	v_fma_mix_f32 v18, v26, v42, v23 op_sel_hi:[1,1,0]
	v_fma_mix_f32 v8, v25, v43, v8 op_sel_hi:[1,1,0]
	v_fma_mix_f32 v18, v26, v42, v18 op_sel:[1,1,0] op_sel_hi:[1,1,0]
	v_fma_mix_f32 v8, v25, v43, v8 op_sel:[1,1,0] op_sel_hi:[1,1,0]
	global_load_dwordx4 v[23:26], v[13:14], off offset:144
	v_fma_mix_f32 v19, v28, v42, v22 op_sel_hi:[1,1,0]
	v_fma_mix_f32 v7, v30, v42, v7 op_sel_hi:[1,1,0]
	v_fma_mix_f32 v19, v28, v42, v19 op_sel:[1,1,0] op_sel_hi:[1,1,0]
	v_fma_mix_f32 v7, v30, v42, v7 op_sel:[1,1,0] op_sel_hi:[1,1,0]
	v_fma_mix_f32 v18, v27, v43, v18 op_sel_hi:[1,1,0]
	v_fma_mix_f32 v19, v29, v43, v19 op_sel_hi:[1,1,0]
	;; [unrolled: 1-line block ×3, first 2 shown]
	v_fma_mix_f32 v18, v27, v43, v18 op_sel:[1,1,0] op_sel_hi:[1,1,0]
	v_fma_mix_f32 v19, v29, v43, v19 op_sel:[1,1,0] op_sel_hi:[1,1,0]
	;; [unrolled: 1-line block ×3, first 2 shown]
	global_load_dwordx4 v[27:30], v[13:14], off offset:256
	global_load_dwordx4 v[36:39], v[13:14], off offset:272
	s_waitcnt vmcnt(5)
	v_fma_mix_f32 v8, v32, v44, v8 op_sel_hi:[1,1,0]
	v_fma_mix_f32 v8, v32, v44, v8 op_sel:[1,1,0] op_sel_hi:[1,1,0]
	v_fma_mix_f32 v18, v34, v44, v18 op_sel_hi:[1,1,0]
	v_fma_mix_f32 v8, v33, v45, v8 op_sel_hi:[1,1,0]
	v_fma_mix_f32 v18, v34, v44, v18 op_sel:[1,1,0] op_sel_hi:[1,1,0]
	v_fma_mix_f32 v8, v33, v45, v8 op_sel:[1,1,0] op_sel_hi:[1,1,0]
	global_load_dwordx4 v[31:34], v[13:14], off offset:384
	v_fma_mix_f32 v18, v35, v45, v18 op_sel_hi:[1,1,0]
	v_fma_mix_f32 v18, v35, v45, v18 op_sel:[1,1,0] op_sel_hi:[1,1,0]
	s_waitcnt vmcnt(3)
	v_fma_mix_f32 v19, v23, v44, v19 op_sel_hi:[1,1,0]
	v_fma_mix_f32 v7, v25, v44, v7 op_sel_hi:[1,1,0]
	v_fma_mix_f32 v19, v23, v44, v19 op_sel:[1,1,0] op_sel_hi:[1,1,0]
	v_fma_mix_f32 v7, v25, v44, v7 op_sel:[1,1,0] op_sel_hi:[1,1,0]
	v_fma_mix_f32 v19, v24, v45, v19 op_sel_hi:[1,1,0]
	v_fma_mix_f32 v7, v26, v45, v7 op_sel_hi:[1,1,0]
	v_fma_mix_f32 v19, v24, v45, v19 op_sel:[1,1,0] op_sel_hi:[1,1,0]
	v_fma_mix_f32 v7, v26, v45, v7 op_sel:[1,1,0] op_sel_hi:[1,1,0]
	global_load_dwordx4 v[23:26], v[13:14], off offset:400
	v_add_co_u32_e32 v13, vcc, s17, v13
	s_waitcnt vmcnt(3)
	v_fma_mix_f32 v8, v27, v46, v8 op_sel_hi:[1,1,0]
	v_fma_mix_f32 v18, v29, v46, v18 op_sel_hi:[1,1,0]
	s_waitcnt vmcnt(2)
	v_fma_mix_f32 v19, v36, v46, v19 op_sel_hi:[1,1,0]
	v_fma_mix_f32 v7, v38, v46, v7 op_sel_hi:[1,1,0]
	v_fma_mix_f32 v8, v27, v46, v8 op_sel:[1,1,0] op_sel_hi:[1,1,0]
	v_fma_mix_f32 v18, v29, v46, v18 op_sel:[1,1,0] op_sel_hi:[1,1,0]
	;; [unrolled: 1-line block ×4, first 2 shown]
	v_fma_mix_f32 v8, v28, v47, v8 op_sel_hi:[1,1,0]
	v_fma_mix_f32 v18, v30, v47, v18 op_sel_hi:[1,1,0]
	;; [unrolled: 1-line block ×4, first 2 shown]
	v_fma_mix_f32 v8, v28, v47, v8 op_sel:[1,1,0] op_sel_hi:[1,1,0]
	v_fma_mix_f32 v18, v30, v47, v18 op_sel:[1,1,0] op_sel_hi:[1,1,0]
	;; [unrolled: 1-line block ×4, first 2 shown]
	s_waitcnt vmcnt(1)
	v_fma_mix_f32 v8, v31, v48, v8 op_sel_hi:[1,1,0]
	v_fma_mix_f32 v18, v33, v48, v18 op_sel_hi:[1,1,0]
	v_fma_mix_f32 v8, v31, v48, v8 op_sel:[1,1,0] op_sel_hi:[1,1,0]
	v_fma_mix_f32 v18, v33, v48, v18 op_sel:[1,1,0] op_sel_hi:[1,1,0]
	v_fma_mix_f32 v8, v32, v49, v8 op_sel_hi:[1,1,0]
	v_fma_mix_f32 v18, v34, v49, v18 op_sel_hi:[1,1,0]
	v_addc_co_u32_e32 v14, vcc, 0, v14, vcc
	v_fma_mix_f32 v8, v32, v49, v8 op_sel:[1,1,0] op_sel_hi:[1,1,0]
	s_waitcnt vmcnt(0)
	v_fma_mix_f32 v19, v23, v48, v19 op_sel_hi:[1,1,0]
	v_fma_mix_f32 v7, v25, v48, v7 op_sel_hi:[1,1,0]
	v_fma_mix_f32 v19, v23, v48, v19 op_sel:[1,1,0] op_sel_hi:[1,1,0]
	v_fma_mix_f32 v7, v25, v48, v7 op_sel:[1,1,0] op_sel_hi:[1,1,0]
	v_fma_mix_f32 v19, v24, v49, v19 op_sel_hi:[1,1,0]
	v_fma_mix_f32 v7, v26, v49, v7 op_sel_hi:[1,1,0]
	v_fma_mix_f32 v23, v34, v49, v18 op_sel:[1,1,0] op_sel_hi:[1,1,0]
	v_fma_mix_f32 v22, v24, v49, v19 op_sel:[1,1,0] op_sel_hi:[1,1,0]
	;; [unrolled: 1-line block ×3, first 2 shown]
	s_andn2_b64 exec, exec, s[14:15]
	s_cbranch_execnz .LBB95_21
; %bb.22:
	s_or_b64 exec, exec, s[14:15]
.LBB95_23:
	s_or_b64 exec, exec, s[10:11]
.LBB95_24:
	s_or_b64 exec, exec, s[8:9]
	s_cbranch_execz .LBB95_26
	s_branch .LBB95_37
.LBB95_25:
                                        ; implicit-def: $vgpr7
                                        ; implicit-def: $vgpr22
                                        ; implicit-def: $vgpr23
                                        ; implicit-def: $vgpr8
.LBB95_26:
	v_mov_b32_e32 v7, 0
	v_mov_b32_e32 v22, 0
	;; [unrolled: 1-line block ×4, first 2 shown]
	s_and_saveexec_b64 s[2:3], s[0:1]
	s_cbranch_execz .LBB95_36
; %bb.27:
	v_or_b32_e32 v7, 4, v21
	v_subrev_co_u32_e32 v7, vcc, s20, v7
	v_subb_co_u32_e64 v8, s[0:1], 0, 0, vcc
	v_add_co_u32_e32 v7, vcc, v7, v9
	v_addc_co_u32_e32 v8, vcc, v8, v10, vcc
	v_cmp_gt_i64_e32 vcc, v[7:8], v[2:3]
	v_not_b32_e32 v9, v9
	v_cndmask_b32_e32 v8, v3, v8, vcc
	v_cndmask_b32_e32 v7, v2, v7, vcc
	v_sub_co_u32_e32 v11, vcc, s20, v21
	v_not_b32_e32 v10, v10
	v_subb_co_u32_e64 v12, s[0:1], 0, 0, vcc
	v_add_co_u32_e32 v9, vcc, v11, v9
	v_addc_co_u32_e32 v10, vcc, v12, v10, vcc
	v_add_co_u32_e32 v9, vcc, v9, v7
	v_addc_co_u32_e32 v10, vcc, v10, v8, vcc
	v_and_b32_e32 v7, 12, v9
	v_mov_b32_e32 v8, 0
	v_cmp_ne_u64_e32 vcc, 12, v[7:8]
	v_mov_b32_e32 v23, v8
	v_mov_b32_e32 v22, v8
	;; [unrolled: 1-line block ×3, first 2 shown]
	s_and_saveexec_b64 s[8:9], vcc
	s_cbranch_execz .LBB95_31
; %bb.28:
	v_lshlrev_b64 v[11:12], 2, v[0:1]
	v_lshrrev_b32_e32 v7, 2, v9
	v_add_u32_e32 v7, 1, v7
	v_mov_b32_e32 v13, s13
	v_add_co_u32_e32 v11, vcc, s12, v11
	v_and_b32_e32 v8, 3, v7
	v_addc_co_u32_e32 v12, vcc, v13, v12, vcc
	v_sub_co_u32_e32 v13, vcc, 0, v8
	v_mov_b32_e32 v7, 0
	s_mov_b64 s[10:11], 0
	v_subb_co_u32_e64 v14, s[0:1], 0, 0, vcc
	s_movk_i32 s14, 0x80
	v_mov_b32_e32 v15, s7
	v_mov_b32_e32 v22, 0
	v_mov_b32_e32 v23, 0
	v_mov_b32_e32 v8, 0
.LBB95_29:                              ; =>This Inner Loop Header: Depth=1
	global_load_dword v20, v[11:12], off
	global_load_dwordx4 v[16:19], v[5:6], off
	v_add_co_u32_e64 v0, s[0:1], 4, v0
	v_addc_co_u32_e64 v1, s[0:1], 0, v1, s[0:1]
	v_add_co_u32_e64 v11, s[0:1], 16, v11
	v_addc_co_u32_e64 v12, s[0:1], 0, v12, s[0:1]
	v_add_co_u32_e64 v13, s[0:1], 1, v13
	v_addc_co_u32_e64 v14, s[0:1], 0, v14, s[0:1]
	v_cmp_eq_u64_e64 s[0:1], 0, v[13:14]
	s_or_b64 s[10:11], s[0:1], s[10:11]
	s_waitcnt vmcnt(1)
	v_subrev_u32_e32 v20, s20, v20
	v_lshlrev_b32_e32 v24, 2, v20
	v_ashrrev_i32_e32 v25, 31, v24
	v_lshlrev_b64 v[24:25], 1, v[24:25]
	v_add_co_u32_e32 v28, vcc, s6, v24
	v_addc_co_u32_e32 v29, vcc, v15, v25, vcc
	global_load_dwordx2 v[30:31], v[28:29], off
	global_load_dwordx4 v[24:27], v[5:6], off offset:16
	v_add_co_u32_e32 v5, vcc, s14, v5
	v_addc_co_u32_e32 v6, vcc, 0, v6, vcc
	s_waitcnt vmcnt(1)
	v_fma_mix_f32 v8, v16, v30, v8 op_sel_hi:[1,1,0]
	v_fma_mix_f32 v16, v16, v30, v23 op_sel:[1,0,0] op_sel_hi:[1,1,0]
	v_fma_mix_f32 v20, v17, v30, v22 op_sel_hi:[1,1,0]
	v_fma_mix_f32 v7, v17, v30, v7 op_sel:[1,0,0] op_sel_hi:[1,1,0]
	v_fma_mix_f32 v8, v18, v30, v8 op_sel:[0,1,0] op_sel_hi:[1,1,0]
	v_fma_mix_f32 v16, v18, v30, v16 op_sel:[1,1,0] op_sel_hi:[1,1,0]
	v_fma_mix_f32 v17, v19, v30, v20 op_sel:[0,1,0] op_sel_hi:[1,1,0]
	v_fma_mix_f32 v7, v19, v30, v7 op_sel:[1,1,0] op_sel_hi:[1,1,0]
	s_waitcnt vmcnt(0)
	v_fma_mix_f32 v8, v24, v31, v8 op_sel_hi:[1,1,0]
	v_fma_mix_f32 v16, v24, v31, v16 op_sel:[1,0,0] op_sel_hi:[1,1,0]
	v_fma_mix_f32 v17, v25, v31, v17 op_sel_hi:[1,1,0]
	v_fma_mix_f32 v7, v25, v31, v7 op_sel:[1,0,0] op_sel_hi:[1,1,0]
	v_fma_mix_f32 v8, v26, v31, v8 op_sel:[0,1,0] op_sel_hi:[1,1,0]
	;; [unrolled: 1-line block ×5, first 2 shown]
	s_andn2_b64 exec, exec, s[10:11]
	s_cbranch_execnz .LBB95_29
; %bb.30:
	s_or_b64 exec, exec, s[10:11]
.LBB95_31:
	s_or_b64 exec, exec, s[8:9]
	v_cmp_lt_u64_e32 vcc, 11, v[9:10]
	s_and_saveexec_b64 s[8:9], vcc
	s_cbranch_execz .LBB95_35
; %bb.32:
	v_lshlrev_b64 v[9:10], 2, v[0:1]
	v_mov_b32_e32 v11, s13
	v_add_co_u32_e32 v9, vcc, s12, v9
	v_addc_co_u32_e32 v10, vcc, v11, v10, vcc
	v_add_co_u32_e32 v9, vcc, 32, v9
	v_addc_co_u32_e32 v10, vcc, 0, v10, vcc
	s_mov_b64 s[10:11], 0
	v_mov_b32_e32 v11, s7
	s_movk_i32 s7, 0x200
.LBB95_33:                              ; =>This Inner Loop Header: Depth=1
	global_load_dword v20, v[9:10], off offset:-32
	global_load_dword v28, v[9:10], off offset:-16
	global_load_dword v29, v[9:10], off
	global_load_dword v30, v[9:10], off offset:16
	global_load_dwordx4 v[12:15], v[5:6], off
	global_load_dwordx4 v[16:19], v[5:6], off offset:16
	global_load_dwordx4 v[24:27], v[5:6], off offset:128
	v_add_co_u32_e64 v0, s[0:1], 16, v0
	v_addc_co_u32_e64 v1, s[0:1], 0, v1, s[0:1]
	v_add_co_u32_e64 v9, s[0:1], 64, v9
	v_addc_co_u32_e64 v10, s[0:1], 0, v10, s[0:1]
	v_cmp_ge_i64_e64 s[0:1], v[0:1], v[2:3]
	s_or_b64 s[10:11], s[0:1], s[10:11]
	s_waitcnt vmcnt(6)
	v_subrev_u32_e32 v20, s20, v20
	s_waitcnt vmcnt(5)
	v_subrev_u32_e32 v31, s20, v28
	s_waitcnt vmcnt(4)
	v_subrev_u32_e32 v29, s20, v29
	v_lshlrev_b32_e32 v28, 2, v20
	v_lshlrev_b32_e32 v32, 2, v29
	v_ashrrev_i32_e32 v29, 31, v28
	s_waitcnt vmcnt(3)
	v_subrev_u32_e32 v33, s20, v30
	v_lshlrev_b32_e32 v30, 2, v31
	v_lshlrev_b64 v[28:29], 1, v[28:29]
	v_ashrrev_i32_e32 v31, 31, v30
	v_lshlrev_b64 v[30:31], 1, v[30:31]
	v_add_co_u32_e32 v28, vcc, s6, v28
	v_lshlrev_b32_e32 v34, 2, v33
	v_ashrrev_i32_e32 v33, 31, v32
	v_addc_co_u32_e32 v29, vcc, v11, v29, vcc
	v_lshlrev_b64 v[32:33], 1, v[32:33]
	v_add_co_u32_e32 v30, vcc, s6, v30
	v_ashrrev_i32_e32 v35, 31, v34
	v_addc_co_u32_e32 v31, vcc, v11, v31, vcc
	v_lshlrev_b64 v[34:35], 1, v[34:35]
	v_add_co_u32_e32 v32, vcc, s6, v32
	v_addc_co_u32_e32 v33, vcc, v11, v33, vcc
	v_add_co_u32_e32 v34, vcc, s6, v34
	v_addc_co_u32_e32 v35, vcc, v11, v35, vcc
	global_load_dwordx2 v[36:37], v[28:29], off
	global_load_dwordx2 v[38:39], v[30:31], off
	;; [unrolled: 1-line block ×4, first 2 shown]
	s_waitcnt vmcnt(3)
	v_fma_mix_f32 v8, v12, v36, v8 op_sel_hi:[1,1,0]
	v_fma_mix_f32 v12, v12, v36, v23 op_sel:[1,0,0] op_sel_hi:[1,1,0]
	v_fma_mix_f32 v20, v13, v36, v22 op_sel_hi:[1,1,0]
	v_fma_mix_f32 v7, v13, v36, v7 op_sel:[1,0,0] op_sel_hi:[1,1,0]
	v_fma_mix_f32 v8, v14, v36, v8 op_sel:[0,1,0] op_sel_hi:[1,1,0]
	;; [unrolled: 1-line block ×5, first 2 shown]
	global_load_dwordx4 v[12:15], v[5:6], off offset:144
	v_fma_mix_f32 v8, v16, v37, v8 op_sel_hi:[1,1,0]
	v_fma_mix_f32 v16, v16, v37, v22 op_sel:[1,0,0] op_sel_hi:[1,1,0]
	v_fma_mix_f32 v20, v17, v37, v20 op_sel_hi:[1,1,0]
	v_fma_mix_f32 v7, v17, v37, v7 op_sel:[1,0,0] op_sel_hi:[1,1,0]
	v_fma_mix_f32 v8, v18, v37, v8 op_sel:[0,1,0] op_sel_hi:[1,1,0]
	;; [unrolled: 1-line block ×5, first 2 shown]
	global_load_dwordx4 v[16:19], v[5:6], off offset:256
	global_load_dwordx4 v[28:31], v[5:6], off offset:272
	s_waitcnt vmcnt(5)
	v_fma_mix_f32 v8, v24, v38, v8 op_sel_hi:[1,1,0]
	v_fma_mix_f32 v22, v24, v38, v22 op_sel:[1,0,0] op_sel_hi:[1,1,0]
	v_fma_mix_f32 v20, v25, v38, v20 op_sel_hi:[1,1,0]
	v_fma_mix_f32 v7, v25, v38, v7 op_sel:[1,0,0] op_sel_hi:[1,1,0]
	v_fma_mix_f32 v8, v26, v38, v8 op_sel:[0,1,0] op_sel_hi:[1,1,0]
	v_fma_mix_f32 v26, v26, v38, v22 op_sel:[1,1,0] op_sel_hi:[1,1,0]
	v_fma_mix_f32 v20, v27, v38, v20 op_sel:[0,1,0] op_sel_hi:[1,1,0]
	v_fma_mix_f32 v7, v27, v38, v7 op_sel:[1,1,0] op_sel_hi:[1,1,0]
	global_load_dwordx4 v[22:25], v[5:6], off offset:384
	s_waitcnt vmcnt(3)
	v_fma_mix_f32 v8, v12, v39, v8 op_sel_hi:[1,1,0]
	v_fma_mix_f32 v12, v12, v39, v26 op_sel:[1,0,0] op_sel_hi:[1,1,0]
	v_fma_mix_f32 v20, v13, v39, v20 op_sel_hi:[1,1,0]
	v_fma_mix_f32 v7, v13, v39, v7 op_sel:[1,0,0] op_sel_hi:[1,1,0]
	v_fma_mix_f32 v8, v14, v39, v8 op_sel:[0,1,0] op_sel_hi:[1,1,0]
	v_fma_mix_f32 v26, v14, v39, v12 op_sel:[1,1,0] op_sel_hi:[1,1,0]
	v_fma_mix_f32 v20, v15, v39, v20 op_sel:[0,1,0] op_sel_hi:[1,1,0]
	v_fma_mix_f32 v7, v15, v39, v7 op_sel:[1,1,0] op_sel_hi:[1,1,0]
	;; [unrolled: 10-line block ×3, first 2 shown]
	s_waitcnt vmcnt(2)
	v_fma_mix_f32 v8, v28, v41, v8 op_sel_hi:[1,1,0]
	v_fma_mix_f32 v16, v28, v41, v16 op_sel:[1,0,0] op_sel_hi:[1,1,0]
	v_fma_mix_f32 v17, v29, v41, v17 op_sel_hi:[1,1,0]
	v_fma_mix_f32 v7, v29, v41, v7 op_sel:[1,0,0] op_sel_hi:[1,1,0]
	v_fma_mix_f32 v8, v30, v41, v8 op_sel:[0,1,0] op_sel_hi:[1,1,0]
	;; [unrolled: 1-line block ×5, first 2 shown]
	s_waitcnt vmcnt(1)
	v_fma_mix_f32 v8, v22, v42, v8 op_sel_hi:[1,1,0]
	v_fma_mix_f32 v16, v22, v42, v16 op_sel:[1,0,0] op_sel_hi:[1,1,0]
	v_fma_mix_f32 v17, v23, v42, v17 op_sel_hi:[1,1,0]
	v_fma_mix_f32 v7, v23, v42, v7 op_sel:[1,0,0] op_sel_hi:[1,1,0]
	v_fma_mix_f32 v8, v24, v42, v8 op_sel:[0,1,0] op_sel_hi:[1,1,0]
	;; [unrolled: 1-line block ×5, first 2 shown]
	v_add_co_u32_e32 v5, vcc, s7, v5
	v_addc_co_u32_e32 v6, vcc, 0, v6, vcc
	s_waitcnt vmcnt(0)
	v_fma_mix_f32 v8, v12, v43, v8 op_sel_hi:[1,1,0]
	v_fma_mix_f32 v12, v12, v43, v16 op_sel:[1,0,0] op_sel_hi:[1,1,0]
	v_fma_mix_f32 v16, v13, v43, v17 op_sel_hi:[1,1,0]
	v_fma_mix_f32 v7, v13, v43, v7 op_sel:[1,0,0] op_sel_hi:[1,1,0]
	v_fma_mix_f32 v8, v14, v43, v8 op_sel:[0,1,0] op_sel_hi:[1,1,0]
	;; [unrolled: 1-line block ×5, first 2 shown]
	s_andn2_b64 exec, exec, s[10:11]
	s_cbranch_execnz .LBB95_33
; %bb.34:
	s_or_b64 exec, exec, s[10:11]
.LBB95_35:
	s_or_b64 exec, exec, s[8:9]
.LBB95_36:
	s_or_b64 exec, exec, s[2:3]
.LBB95_37:
	v_mov_b32_dpp v0, v8 row_shr:1 row_mask:0xf bank_mask:0xf
	v_add_f32_e32 v0, v8, v0
	v_mov_b32_dpp v2, v23 row_shr:1 row_mask:0xf bank_mask:0xf
	v_mov_b32_dpp v5, v22 row_shr:1 row_mask:0xf bank_mask:0xf
	v_mov_b32_dpp v8, v7 row_shr:1 row_mask:0xf bank_mask:0xf
	v_add_f32_e32 v2, v23, v2
	v_add_f32_e32 v5, v22, v5
	;; [unrolled: 1-line block ×3, first 2 shown]
	v_mov_b32_dpp v1, v0 row_shr:2 row_mask:0xf bank_mask:0xf
	v_mov_b32_dpp v3, v2 row_shr:2 row_mask:0xf bank_mask:0xf
	;; [unrolled: 1-line block ×4, first 2 shown]
	v_cmp_eq_u32_e32 vcc, 3, v21
	s_and_b64 exec, exec, vcc
	s_cbranch_execz .LBB95_10
; %bb.38:
	s_load_dwordx2 s[0:1], s[4:5], 0x50
	v_add_f32_e32 v0, v0, v1
	v_add_f32_e32 v1, v2, v3
	;; [unrolled: 1-line block ×4, first 2 shown]
	v_cmp_eq_f32_e64 s[2:3], s16, 0
	s_and_b64 vcc, exec, s[2:3]
	v_mul_f32_e32 v0, s18, v0
	v_mul_f32_e32 v1, s18, v1
	;; [unrolled: 1-line block ×4, first 2 shown]
	v_lshlrev_b32_e32 v4, 2, v4
	s_cbranch_vccz .LBB95_40
; %bb.39:
	v_ashrrev_i32_e32 v5, 31, v4
	v_lshlrev_b64 v[5:6], 2, v[4:5]
	s_waitcnt lgkmcnt(0)
	v_mov_b32_e32 v7, s1
	v_add_co_u32_e32 v5, vcc, s0, v5
	v_addc_co_u32_e32 v6, vcc, v7, v6, vcc
	global_store_dwordx4 v[5:6], v[0:3], off
	s_cbranch_execnz .LBB95_10
	s_branch .LBB95_41
.LBB95_40:
.LBB95_41:
	v_ashrrev_i32_e32 v5, 31, v4
	v_lshlrev_b64 v[4:5], 2, v[4:5]
	s_waitcnt lgkmcnt(0)
	v_mov_b32_e32 v6, s1
	v_add_co_u32_e32 v8, vcc, s0, v4
	v_addc_co_u32_e32 v9, vcc, v6, v5, vcc
	global_load_dwordx4 v[4:7], v[8:9], off
	s_waitcnt vmcnt(0)
	v_fmac_f32_e32 v0, s16, v4
	v_fmac_f32_e32 v1, s16, v5
	;; [unrolled: 1-line block ×4, first 2 shown]
	global_store_dwordx4 v[8:9], v[0:3], off
	s_endpgm
	.section	.rodata,"a",@progbits
	.p2align	6, 0x0
	.amdhsa_kernel _ZN9rocsparseL18bsrxmvn_4x4_kernelILj128ELj4EfliDF16_DF16_fEEvT3_20rocsparse_direction_NS_24const_host_device_scalarIT1_EES1_PKS1_PKT2_SA_S7_PKT4_PKT5_S5_PT6_21rocsparse_index_base_b
		.amdhsa_group_segment_fixed_size 0
		.amdhsa_private_segment_fixed_size 0
		.amdhsa_kernarg_size 96
		.amdhsa_user_sgpr_count 6
		.amdhsa_user_sgpr_private_segment_buffer 1
		.amdhsa_user_sgpr_dispatch_ptr 0
		.amdhsa_user_sgpr_queue_ptr 0
		.amdhsa_user_sgpr_kernarg_segment_ptr 1
		.amdhsa_user_sgpr_dispatch_id 0
		.amdhsa_user_sgpr_flat_scratch_init 0
		.amdhsa_user_sgpr_private_segment_size 0
		.amdhsa_uses_dynamic_stack 0
		.amdhsa_system_sgpr_private_segment_wavefront_offset 0
		.amdhsa_system_sgpr_workgroup_id_x 1
		.amdhsa_system_sgpr_workgroup_id_y 0
		.amdhsa_system_sgpr_workgroup_id_z 0
		.amdhsa_system_sgpr_workgroup_info 0
		.amdhsa_system_vgpr_workitem_id 0
		.amdhsa_next_free_vgpr 50
		.amdhsa_next_free_sgpr 22
		.amdhsa_reserve_vcc 1
		.amdhsa_reserve_flat_scratch 0
		.amdhsa_float_round_mode_32 0
		.amdhsa_float_round_mode_16_64 0
		.amdhsa_float_denorm_mode_32 3
		.amdhsa_float_denorm_mode_16_64 3
		.amdhsa_dx10_clamp 1
		.amdhsa_ieee_mode 1
		.amdhsa_fp16_overflow 0
		.amdhsa_exception_fp_ieee_invalid_op 0
		.amdhsa_exception_fp_denorm_src 0
		.amdhsa_exception_fp_ieee_div_zero 0
		.amdhsa_exception_fp_ieee_overflow 0
		.amdhsa_exception_fp_ieee_underflow 0
		.amdhsa_exception_fp_ieee_inexact 0
		.amdhsa_exception_int_div_zero 0
	.end_amdhsa_kernel
	.section	.text._ZN9rocsparseL18bsrxmvn_4x4_kernelILj128ELj4EfliDF16_DF16_fEEvT3_20rocsparse_direction_NS_24const_host_device_scalarIT1_EES1_PKS1_PKT2_SA_S7_PKT4_PKT5_S5_PT6_21rocsparse_index_base_b,"axG",@progbits,_ZN9rocsparseL18bsrxmvn_4x4_kernelILj128ELj4EfliDF16_DF16_fEEvT3_20rocsparse_direction_NS_24const_host_device_scalarIT1_EES1_PKS1_PKT2_SA_S7_PKT4_PKT5_S5_PT6_21rocsparse_index_base_b,comdat
.Lfunc_end95:
	.size	_ZN9rocsparseL18bsrxmvn_4x4_kernelILj128ELj4EfliDF16_DF16_fEEvT3_20rocsparse_direction_NS_24const_host_device_scalarIT1_EES1_PKS1_PKT2_SA_S7_PKT4_PKT5_S5_PT6_21rocsparse_index_base_b, .Lfunc_end95-_ZN9rocsparseL18bsrxmvn_4x4_kernelILj128ELj4EfliDF16_DF16_fEEvT3_20rocsparse_direction_NS_24const_host_device_scalarIT1_EES1_PKS1_PKT2_SA_S7_PKT4_PKT5_S5_PT6_21rocsparse_index_base_b
                                        ; -- End function
	.set _ZN9rocsparseL18bsrxmvn_4x4_kernelILj128ELj4EfliDF16_DF16_fEEvT3_20rocsparse_direction_NS_24const_host_device_scalarIT1_EES1_PKS1_PKT2_SA_S7_PKT4_PKT5_S5_PT6_21rocsparse_index_base_b.num_vgpr, 50
	.set _ZN9rocsparseL18bsrxmvn_4x4_kernelILj128ELj4EfliDF16_DF16_fEEvT3_20rocsparse_direction_NS_24const_host_device_scalarIT1_EES1_PKS1_PKT2_SA_S7_PKT4_PKT5_S5_PT6_21rocsparse_index_base_b.num_agpr, 0
	.set _ZN9rocsparseL18bsrxmvn_4x4_kernelILj128ELj4EfliDF16_DF16_fEEvT3_20rocsparse_direction_NS_24const_host_device_scalarIT1_EES1_PKS1_PKT2_SA_S7_PKT4_PKT5_S5_PT6_21rocsparse_index_base_b.numbered_sgpr, 22
	.set _ZN9rocsparseL18bsrxmvn_4x4_kernelILj128ELj4EfliDF16_DF16_fEEvT3_20rocsparse_direction_NS_24const_host_device_scalarIT1_EES1_PKS1_PKT2_SA_S7_PKT4_PKT5_S5_PT6_21rocsparse_index_base_b.num_named_barrier, 0
	.set _ZN9rocsparseL18bsrxmvn_4x4_kernelILj128ELj4EfliDF16_DF16_fEEvT3_20rocsparse_direction_NS_24const_host_device_scalarIT1_EES1_PKS1_PKT2_SA_S7_PKT4_PKT5_S5_PT6_21rocsparse_index_base_b.private_seg_size, 0
	.set _ZN9rocsparseL18bsrxmvn_4x4_kernelILj128ELj4EfliDF16_DF16_fEEvT3_20rocsparse_direction_NS_24const_host_device_scalarIT1_EES1_PKS1_PKT2_SA_S7_PKT4_PKT5_S5_PT6_21rocsparse_index_base_b.uses_vcc, 1
	.set _ZN9rocsparseL18bsrxmvn_4x4_kernelILj128ELj4EfliDF16_DF16_fEEvT3_20rocsparse_direction_NS_24const_host_device_scalarIT1_EES1_PKS1_PKT2_SA_S7_PKT4_PKT5_S5_PT6_21rocsparse_index_base_b.uses_flat_scratch, 0
	.set _ZN9rocsparseL18bsrxmvn_4x4_kernelILj128ELj4EfliDF16_DF16_fEEvT3_20rocsparse_direction_NS_24const_host_device_scalarIT1_EES1_PKS1_PKT2_SA_S7_PKT4_PKT5_S5_PT6_21rocsparse_index_base_b.has_dyn_sized_stack, 0
	.set _ZN9rocsparseL18bsrxmvn_4x4_kernelILj128ELj4EfliDF16_DF16_fEEvT3_20rocsparse_direction_NS_24const_host_device_scalarIT1_EES1_PKS1_PKT2_SA_S7_PKT4_PKT5_S5_PT6_21rocsparse_index_base_b.has_recursion, 0
	.set _ZN9rocsparseL18bsrxmvn_4x4_kernelILj128ELj4EfliDF16_DF16_fEEvT3_20rocsparse_direction_NS_24const_host_device_scalarIT1_EES1_PKS1_PKT2_SA_S7_PKT4_PKT5_S5_PT6_21rocsparse_index_base_b.has_indirect_call, 0
	.section	.AMDGPU.csdata,"",@progbits
; Kernel info:
; codeLenInByte = 3544
; TotalNumSgprs: 26
; NumVgprs: 50
; ScratchSize: 0
; MemoryBound: 0
; FloatMode: 240
; IeeeMode: 1
; LDSByteSize: 0 bytes/workgroup (compile time only)
; SGPRBlocks: 3
; VGPRBlocks: 12
; NumSGPRsForWavesPerEU: 26
; NumVGPRsForWavesPerEU: 50
; Occupancy: 4
; WaveLimiterHint : 1
; COMPUTE_PGM_RSRC2:SCRATCH_EN: 0
; COMPUTE_PGM_RSRC2:USER_SGPR: 6
; COMPUTE_PGM_RSRC2:TRAP_HANDLER: 0
; COMPUTE_PGM_RSRC2:TGID_X_EN: 1
; COMPUTE_PGM_RSRC2:TGID_Y_EN: 0
; COMPUTE_PGM_RSRC2:TGID_Z_EN: 0
; COMPUTE_PGM_RSRC2:TIDIG_COMP_CNT: 0
	.section	.text._ZN9rocsparseL18bsrxmvn_4x4_kernelILj128ELj8EfliDF16_DF16_fEEvT3_20rocsparse_direction_NS_24const_host_device_scalarIT1_EES1_PKS1_PKT2_SA_S7_PKT4_PKT5_S5_PT6_21rocsparse_index_base_b,"axG",@progbits,_ZN9rocsparseL18bsrxmvn_4x4_kernelILj128ELj8EfliDF16_DF16_fEEvT3_20rocsparse_direction_NS_24const_host_device_scalarIT1_EES1_PKS1_PKT2_SA_S7_PKT4_PKT5_S5_PT6_21rocsparse_index_base_b,comdat
	.globl	_ZN9rocsparseL18bsrxmvn_4x4_kernelILj128ELj8EfliDF16_DF16_fEEvT3_20rocsparse_direction_NS_24const_host_device_scalarIT1_EES1_PKS1_PKT2_SA_S7_PKT4_PKT5_S5_PT6_21rocsparse_index_base_b ; -- Begin function _ZN9rocsparseL18bsrxmvn_4x4_kernelILj128ELj8EfliDF16_DF16_fEEvT3_20rocsparse_direction_NS_24const_host_device_scalarIT1_EES1_PKS1_PKT2_SA_S7_PKT4_PKT5_S5_PT6_21rocsparse_index_base_b
	.p2align	8
	.type	_ZN9rocsparseL18bsrxmvn_4x4_kernelILj128ELj8EfliDF16_DF16_fEEvT3_20rocsparse_direction_NS_24const_host_device_scalarIT1_EES1_PKS1_PKT2_SA_S7_PKT4_PKT5_S5_PT6_21rocsparse_index_base_b,@function
_ZN9rocsparseL18bsrxmvn_4x4_kernelILj128ELj8EfliDF16_DF16_fEEvT3_20rocsparse_direction_NS_24const_host_device_scalarIT1_EES1_PKS1_PKT2_SA_S7_PKT4_PKT5_S5_PT6_21rocsparse_index_base_b: ; @_ZN9rocsparseL18bsrxmvn_4x4_kernelILj128ELj8EfliDF16_DF16_fEEvT3_20rocsparse_direction_NS_24const_host_device_scalarIT1_EES1_PKS1_PKT2_SA_S7_PKT4_PKT5_S5_PT6_21rocsparse_index_base_b
; %bb.0:
	s_load_dwordx2 s[20:21], s[4:5], 0x58
	s_load_dwordx2 s[18:19], s[4:5], 0x8
	;; [unrolled: 1-line block ×3, first 2 shown]
	s_waitcnt lgkmcnt(0)
	s_bitcmp1_b32 s21, 0
	s_cselect_b64 s[2:3], -1, 0
	s_xor_b64 s[0:1], s[2:3], -1
	s_and_b64 vcc, exec, s[2:3]
	s_cbranch_vccnz .LBB96_2
; %bb.1:
	s_load_dword s18, s[18:19], 0x0
.LBB96_2:
	s_andn2_b64 vcc, exec, s[0:1]
	s_cbranch_vccnz .LBB96_4
; %bb.3:
	s_load_dword s16, s[16:17], 0x0
.LBB96_4:
	s_waitcnt lgkmcnt(0)
	v_cmp_neq_f32_e64 s[0:1], s18, 0
	v_cmp_neq_f32_e64 s[2:3], s16, 1.0
	s_or_b64 s[0:1], s[0:1], s[2:3]
	s_andn2_b64 vcc, exec, s[0:1]
	s_cbranch_vccnz .LBB96_10
; %bb.5:
	s_load_dwordx2 s[8:9], s[4:5], 0x18
	s_load_dwordx2 s[0:1], s[4:5], 0x0
	v_lshrrev_b32_e32 v1, 3, v0
	v_lshl_or_b32 v4, s6, 4, v1
	s_mov_b64 s[2:3], 0
	s_waitcnt lgkmcnt(0)
	s_cmp_lg_u64 s[8:9], 0
	s_cbranch_scc0 .LBB96_11
; %bb.6:
	s_load_dword s6, s[4:5], 0x10
                                        ; implicit-def: $vgpr1
	s_waitcnt lgkmcnt(0)
	v_cmp_gt_i32_e32 vcc, s6, v4
	s_and_saveexec_b64 s[6:7], vcc
	s_xor_b64 s[6:7], exec, s[6:7]
	s_cbranch_execz .LBB96_8
; %bb.7:
	v_ashrrev_i32_e32 v5, 31, v4
	v_lshlrev_b64 v[1:2], 2, v[4:5]
	v_mov_b32_e32 v3, s9
	v_add_co_u32_e32 v1, vcc, s8, v1
	v_addc_co_u32_e32 v2, vcc, v3, v2, vcc
	global_load_dword v1, v[1:2], off
	s_mov_b64 s[2:3], exec
	s_waitcnt vmcnt(0)
	v_subrev_u32_e32 v1, s20, v1
.LBB96_8:
	s_or_b64 exec, exec, s[6:7]
	s_branch .LBB96_12
.LBB96_9:
	v_cmp_gt_i32_e32 vcc, s0, v4
	s_andn2_b64 s[2:3], s[2:3], exec
	s_and_b64 s[6:7], vcc, exec
	s_or_b64 s[2:3], s[2:3], s[6:7]
	s_and_saveexec_b64 s[6:7], s[2:3]
	s_cbranch_execnz .LBB96_13
.LBB96_10:
	s_endpgm
.LBB96_11:
                                        ; implicit-def: $vgpr1
	s_cbranch_execnz .LBB96_9
.LBB96_12:
	v_mov_b32_e32 v4, v1
	s_and_saveexec_b64 s[6:7], s[2:3]
	s_cbranch_execz .LBB96_10
.LBB96_13:
	s_load_dwordx8 s[8:15], s[4:5], 0x20
	v_ashrrev_i32_e32 v5, 31, v4
	v_lshlrev_b64 v[1:2], 3, v[4:5]
	v_and_b32_e32 v21, 7, v0
	s_load_dwordx2 s[6:7], s[4:5], 0x40
	s_waitcnt lgkmcnt(0)
	v_mov_b32_e32 v3, s9
	v_add_co_u32_e32 v5, vcc, s8, v1
	v_addc_co_u32_e32 v6, vcc, v3, v2, vcc
	v_add_co_u32_e32 v3, vcc, 8, v5
	global_load_dwordx2 v[9:10], v[5:6], off
	v_addc_co_u32_e32 v5, vcc, 0, v6, vcc
	v_mov_b32_e32 v6, s11
	v_add_co_u32_e32 v1, vcc, s10, v1
	s_cmp_eq_u64 s[10:11], 0
	v_addc_co_u32_e32 v2, vcc, v6, v2, vcc
	s_cselect_b64 vcc, -1, 0
	v_cndmask_b32_e32 v2, v2, v5, vcc
	v_cndmask_b32_e32 v1, v1, v3, vcc
	global_load_dwordx2 v[2:3], v[1:2], off
	v_mov_b32_e32 v8, s15
	s_cmp_eq_u32 s1, 1
	v_mov_b32_e32 v7, 0
	s_waitcnt vmcnt(1)
	v_subrev_co_u32_e32 v0, vcc, s20, v9
	v_subbrev_co_u32_e32 v1, vcc, 0, v10, vcc
	v_add_co_u32_e32 v0, vcc, v0, v21
	v_addc_co_u32_e32 v1, vcc, 0, v1, vcc
	v_lshlrev_b64 v[5:6], 5, v[0:1]
	s_waitcnt vmcnt(0)
	v_subrev_co_u32_e32 v2, vcc, s20, v2
	v_subbrev_co_u32_e32 v3, vcc, 0, v3, vcc
	v_cmp_lt_i64_e64 s[0:1], v[0:1], v[2:3]
	v_add_co_u32_e32 v5, vcc, s14, v5
	v_addc_co_u32_e32 v6, vcc, v8, v6, vcc
	s_cbranch_scc1 .LBB96_25
; %bb.14:
	v_mov_b32_e32 v22, 0
	v_mov_b32_e32 v23, 0
	;; [unrolled: 1-line block ×3, first 2 shown]
	s_and_saveexec_b64 s[8:9], s[0:1]
	s_cbranch_execz .LBB96_24
; %bb.15:
	v_or_b32_e32 v7, 8, v21
	v_subrev_co_u32_e32 v7, vcc, s20, v7
	v_subb_co_u32_e64 v8, s[2:3], 0, 0, vcc
	v_add_co_u32_e32 v7, vcc, v7, v9
	v_addc_co_u32_e32 v8, vcc, v8, v10, vcc
	v_cmp_gt_i64_e32 vcc, v[7:8], v[2:3]
	v_not_b32_e32 v12, v9
	v_cndmask_b32_e32 v8, v3, v8, vcc
	v_cndmask_b32_e32 v7, v2, v7, vcc
	v_sub_co_u32_e32 v13, vcc, s20, v21
	v_not_b32_e32 v11, v10
	v_subb_co_u32_e64 v14, s[2:3], 0, 0, vcc
	v_add_co_u32_e32 v12, vcc, v13, v12
	v_addc_co_u32_e32 v11, vcc, v14, v11, vcc
	v_add_co_u32_e32 v15, vcc, v12, v7
	v_addc_co_u32_e32 v16, vcc, v11, v8, vcc
	v_and_b32_e32 v7, 24, v15
	v_mov_b32_e32 v8, 0
	v_cmp_ne_u64_e32 vcc, 24, v[7:8]
	v_mov_b32_e32 v12, v1
	v_mov_b32_e32 v14, v6
	v_mov_b32_e32 v23, v8
	v_mov_b32_e32 v22, v8
	v_mov_b32_e32 v7, v8
	v_mov_b32_e32 v11, v0
	v_mov_b32_e32 v13, v5
	s_and_saveexec_b64 s[10:11], vcc
	s_cbranch_execz .LBB96_19
; %bb.16:
	v_lshlrev_b64 v[11:12], 2, v[0:1]
	v_lshrrev_b32_e32 v7, 3, v15
	v_add_u32_e32 v7, 1, v7
	v_mov_b32_e32 v13, s13
	v_add_co_u32_e32 v17, vcc, s12, v11
	v_and_b32_e32 v8, 3, v7
	v_addc_co_u32_e32 v18, vcc, v13, v12, vcc
	v_sub_co_u32_e32 v19, vcc, 0, v8
	v_mov_b32_e32 v14, v6
	v_mov_b32_e32 v12, v1
	;; [unrolled: 1-line block ×3, first 2 shown]
	s_mov_b64 s[14:15], 0
	v_subb_co_u32_e64 v20, s[2:3], 0, 0, vcc
	s_movk_i32 s17, 0x100
	v_mov_b32_e32 v24, s7
	v_mov_b32_e32 v13, v5
	;; [unrolled: 1-line block ×6, first 2 shown]
.LBB96_17:                              ; =>This Inner Loop Header: Depth=1
	global_load_dword v33, v[17:18], off
	global_load_dwordx4 v[25:28], v[13:14], off
	global_load_dwordx4 v[29:32], v[13:14], off offset:16
	v_add_co_u32_e64 v11, s[2:3], 8, v11
	v_addc_co_u32_e64 v12, s[2:3], 0, v12, s[2:3]
	v_add_co_u32_e64 v17, s[2:3], 32, v17
	v_addc_co_u32_e64 v18, s[2:3], 0, v18, s[2:3]
	v_add_co_u32_e64 v19, s[2:3], 1, v19
	v_addc_co_u32_e64 v20, s[2:3], 0, v20, s[2:3]
	v_cmp_eq_u64_e64 s[2:3], 0, v[19:20]
	s_or_b64 s[14:15], s[2:3], s[14:15]
	s_waitcnt vmcnt(2)
	v_subrev_u32_e32 v33, s20, v33
	v_lshlrev_b32_e32 v33, 2, v33
	v_ashrrev_i32_e32 v34, 31, v33
	v_lshlrev_b64 v[33:34], 1, v[33:34]
	v_add_co_u32_e32 v33, vcc, s6, v33
	v_addc_co_u32_e32 v34, vcc, v24, v34, vcc
	global_load_dwordx2 v[33:34], v[33:34], off
	v_add_co_u32_e32 v13, vcc, s17, v13
	v_addc_co_u32_e32 v14, vcc, 0, v14, vcc
	s_waitcnt vmcnt(0)
	v_fma_mix_f32 v8, v25, v33, v8 op_sel_hi:[1,1,0]
	v_fma_mix_f32 v23, v27, v33, v23 op_sel_hi:[1,1,0]
	;; [unrolled: 1-line block ×4, first 2 shown]
	v_fma_mix_f32 v8, v25, v33, v8 op_sel:[1,1,0] op_sel_hi:[1,1,0]
	v_fma_mix_f32 v23, v27, v33, v23 op_sel:[1,1,0] op_sel_hi:[1,1,0]
	;; [unrolled: 1-line block ×4, first 2 shown]
	v_fma_mix_f32 v8, v26, v34, v8 op_sel_hi:[1,1,0]
	v_fma_mix_f32 v23, v28, v34, v23 op_sel_hi:[1,1,0]
	v_fma_mix_f32 v22, v30, v34, v22 op_sel_hi:[1,1,0]
	v_fma_mix_f32 v7, v32, v34, v7 op_sel_hi:[1,1,0]
	v_fma_mix_f32 v8, v26, v34, v8 op_sel:[1,1,0] op_sel_hi:[1,1,0]
	v_fma_mix_f32 v23, v28, v34, v23 op_sel:[1,1,0] op_sel_hi:[1,1,0]
	;; [unrolled: 1-line block ×4, first 2 shown]
	s_andn2_b64 exec, exec, s[14:15]
	s_cbranch_execnz .LBB96_17
; %bb.18:
	s_or_b64 exec, exec, s[14:15]
.LBB96_19:
	s_or_b64 exec, exec, s[10:11]
	v_cmp_lt_u64_e32 vcc, 23, v[15:16]
	s_and_saveexec_b64 s[10:11], vcc
	s_cbranch_execz .LBB96_23
; %bb.20:
	v_lshlrev_b64 v[15:16], 2, v[11:12]
	v_mov_b32_e32 v17, s13
	v_add_co_u32_e32 v15, vcc, s12, v15
	v_addc_co_u32_e32 v16, vcc, v17, v16, vcc
	v_add_co_u32_e32 v15, vcc, 64, v15
	v_addc_co_u32_e32 v16, vcc, 0, v16, vcc
	s_mov_b64 s[14:15], 0
	v_mov_b32_e32 v17, s7
	s_movk_i32 s17, 0x400
.LBB96_21:                              ; =>This Inner Loop Header: Depth=1
	global_load_dword v18, v[15:16], off offset:-64
	global_load_dword v19, v[15:16], off offset:-32
	global_load_dword v20, v[15:16], off
	global_load_dword v36, v[15:16], off offset:32
	global_load_dwordx4 v[24:27], v[13:14], off
	global_load_dwordx4 v[28:31], v[13:14], off offset:16
	global_load_dwordx4 v[32:35], v[13:14], off offset:256
	s_waitcnt vmcnt(6)
	v_subrev_u32_e32 v18, s20, v18
	s_waitcnt vmcnt(5)
	v_subrev_u32_e32 v19, s20, v19
	v_lshlrev_b32_e32 v18, 2, v18
	s_waitcnt vmcnt(3)
	v_subrev_u32_e32 v37, s20, v36
	v_lshlrev_b32_e32 v36, 2, v19
	v_ashrrev_i32_e32 v19, 31, v18
	v_lshlrev_b64 v[18:19], 1, v[18:19]
	v_subrev_u32_e32 v20, s20, v20
	v_lshlrev_b32_e32 v40, 2, v37
	v_ashrrev_i32_e32 v37, 31, v36
	v_lshlrev_b32_e32 v38, 2, v20
	v_lshlrev_b64 v[36:37], 1, v[36:37]
	v_add_co_u32_e32 v18, vcc, s6, v18
	v_ashrrev_i32_e32 v39, 31, v38
	v_addc_co_u32_e32 v19, vcc, v17, v19, vcc
	v_lshlrev_b64 v[38:39], 1, v[38:39]
	v_add_co_u32_e32 v36, vcc, s6, v36
	v_ashrrev_i32_e32 v41, 31, v40
	v_addc_co_u32_e32 v37, vcc, v17, v37, vcc
	v_lshlrev_b64 v[40:41], 1, v[40:41]
	v_add_co_u32_e32 v38, vcc, s6, v38
	v_addc_co_u32_e32 v39, vcc, v17, v39, vcc
	v_add_co_u32_e32 v40, vcc, s6, v40
	v_addc_co_u32_e32 v41, vcc, v17, v41, vcc
	global_load_dwordx2 v[42:43], v[18:19], off
	global_load_dwordx2 v[44:45], v[36:37], off
	;; [unrolled: 1-line block ×4, first 2 shown]
	s_waitcnt vmcnt(3)
	v_fma_mix_f32 v8, v24, v42, v8 op_sel_hi:[1,1,0]
	v_fma_mix_f32 v8, v24, v42, v8 op_sel:[1,1,0] op_sel_hi:[1,1,0]
	v_fma_mix_f32 v18, v26, v42, v23 op_sel_hi:[1,1,0]
	v_fma_mix_f32 v8, v25, v43, v8 op_sel_hi:[1,1,0]
	v_fma_mix_f32 v18, v26, v42, v18 op_sel:[1,1,0] op_sel_hi:[1,1,0]
	v_fma_mix_f32 v8, v25, v43, v8 op_sel:[1,1,0] op_sel_hi:[1,1,0]
	global_load_dwordx4 v[23:26], v[13:14], off offset:272
	v_fma_mix_f32 v19, v28, v42, v22 op_sel_hi:[1,1,0]
	v_fma_mix_f32 v7, v30, v42, v7 op_sel_hi:[1,1,0]
	v_fma_mix_f32 v19, v28, v42, v19 op_sel:[1,1,0] op_sel_hi:[1,1,0]
	v_fma_mix_f32 v7, v30, v42, v7 op_sel:[1,1,0] op_sel_hi:[1,1,0]
	v_fma_mix_f32 v18, v27, v43, v18 op_sel_hi:[1,1,0]
	v_fma_mix_f32 v19, v29, v43, v19 op_sel_hi:[1,1,0]
	;; [unrolled: 1-line block ×3, first 2 shown]
	v_fma_mix_f32 v18, v27, v43, v18 op_sel:[1,1,0] op_sel_hi:[1,1,0]
	v_fma_mix_f32 v19, v29, v43, v19 op_sel:[1,1,0] op_sel_hi:[1,1,0]
	;; [unrolled: 1-line block ×3, first 2 shown]
	global_load_dwordx4 v[27:30], v[13:14], off offset:512
	global_load_dwordx4 v[36:39], v[13:14], off offset:528
	s_waitcnt vmcnt(5)
	v_fma_mix_f32 v8, v32, v44, v8 op_sel_hi:[1,1,0]
	v_fma_mix_f32 v8, v32, v44, v8 op_sel:[1,1,0] op_sel_hi:[1,1,0]
	v_fma_mix_f32 v18, v34, v44, v18 op_sel_hi:[1,1,0]
	v_fma_mix_f32 v8, v33, v45, v8 op_sel_hi:[1,1,0]
	v_fma_mix_f32 v18, v34, v44, v18 op_sel:[1,1,0] op_sel_hi:[1,1,0]
	v_fma_mix_f32 v8, v33, v45, v8 op_sel:[1,1,0] op_sel_hi:[1,1,0]
	global_load_dwordx4 v[31:34], v[13:14], off offset:768
	v_fma_mix_f32 v18, v35, v45, v18 op_sel_hi:[1,1,0]
	v_fma_mix_f32 v18, v35, v45, v18 op_sel:[1,1,0] op_sel_hi:[1,1,0]
	s_waitcnt vmcnt(3)
	v_fma_mix_f32 v19, v23, v44, v19 op_sel_hi:[1,1,0]
	v_fma_mix_f32 v7, v25, v44, v7 op_sel_hi:[1,1,0]
	v_fma_mix_f32 v19, v23, v44, v19 op_sel:[1,1,0] op_sel_hi:[1,1,0]
	v_fma_mix_f32 v7, v25, v44, v7 op_sel:[1,1,0] op_sel_hi:[1,1,0]
	v_fma_mix_f32 v19, v24, v45, v19 op_sel_hi:[1,1,0]
	v_fma_mix_f32 v7, v26, v45, v7 op_sel_hi:[1,1,0]
	v_fma_mix_f32 v19, v24, v45, v19 op_sel:[1,1,0] op_sel_hi:[1,1,0]
	v_fma_mix_f32 v7, v26, v45, v7 op_sel:[1,1,0] op_sel_hi:[1,1,0]
	global_load_dwordx4 v[23:26], v[13:14], off offset:784
	v_add_co_u32_e32 v13, vcc, s17, v13
	s_waitcnt vmcnt(3)
	v_fma_mix_f32 v8, v27, v46, v8 op_sel_hi:[1,1,0]
	v_fma_mix_f32 v18, v29, v46, v18 op_sel_hi:[1,1,0]
	s_waitcnt vmcnt(2)
	v_fma_mix_f32 v19, v36, v46, v19 op_sel_hi:[1,1,0]
	v_fma_mix_f32 v7, v38, v46, v7 op_sel_hi:[1,1,0]
	v_fma_mix_f32 v8, v27, v46, v8 op_sel:[1,1,0] op_sel_hi:[1,1,0]
	v_fma_mix_f32 v18, v29, v46, v18 op_sel:[1,1,0] op_sel_hi:[1,1,0]
	;; [unrolled: 1-line block ×4, first 2 shown]
	v_fma_mix_f32 v8, v28, v47, v8 op_sel_hi:[1,1,0]
	v_fma_mix_f32 v18, v30, v47, v18 op_sel_hi:[1,1,0]
	v_fma_mix_f32 v19, v37, v47, v19 op_sel_hi:[1,1,0]
	v_fma_mix_f32 v7, v39, v47, v7 op_sel_hi:[1,1,0]
	s_mov_b64 s[2:3], vcc
	v_add_co_u32_e32 v11, vcc, 32, v11
	v_fma_mix_f32 v8, v28, v47, v8 op_sel:[1,1,0] op_sel_hi:[1,1,0]
	v_fma_mix_f32 v18, v30, v47, v18 op_sel:[1,1,0] op_sel_hi:[1,1,0]
	;; [unrolled: 1-line block ×4, first 2 shown]
	v_addc_co_u32_e32 v12, vcc, 0, v12, vcc
	v_addc_co_u32_e64 v14, s[2:3], 0, v14, s[2:3]
	s_waitcnt vmcnt(1)
	v_fma_mix_f32 v8, v31, v48, v8 op_sel_hi:[1,1,0]
	v_fma_mix_f32 v18, v33, v48, v18 op_sel_hi:[1,1,0]
	v_cmp_ge_i64_e64 s[2:3], v[11:12], v[2:3]
	v_fma_mix_f32 v8, v31, v48, v8 op_sel:[1,1,0] op_sel_hi:[1,1,0]
	v_fma_mix_f32 v18, v33, v48, v18 op_sel:[1,1,0] op_sel_hi:[1,1,0]
	v_add_co_u32_e32 v15, vcc, 0x80, v15
	v_fma_mix_f32 v8, v32, v49, v8 op_sel_hi:[1,1,0]
	v_fma_mix_f32 v18, v34, v49, v18 op_sel_hi:[1,1,0]
	v_addc_co_u32_e32 v16, vcc, 0, v16, vcc
	s_or_b64 s[14:15], s[2:3], s[14:15]
	v_fma_mix_f32 v8, v32, v49, v8 op_sel:[1,1,0] op_sel_hi:[1,1,0]
	s_waitcnt vmcnt(0)
	v_fma_mix_f32 v19, v23, v48, v19 op_sel_hi:[1,1,0]
	v_fma_mix_f32 v7, v25, v48, v7 op_sel_hi:[1,1,0]
	v_fma_mix_f32 v19, v23, v48, v19 op_sel:[1,1,0] op_sel_hi:[1,1,0]
	v_fma_mix_f32 v7, v25, v48, v7 op_sel:[1,1,0] op_sel_hi:[1,1,0]
	v_fma_mix_f32 v19, v24, v49, v19 op_sel_hi:[1,1,0]
	v_fma_mix_f32 v7, v26, v49, v7 op_sel_hi:[1,1,0]
	v_fma_mix_f32 v23, v34, v49, v18 op_sel:[1,1,0] op_sel_hi:[1,1,0]
	v_fma_mix_f32 v22, v24, v49, v19 op_sel:[1,1,0] op_sel_hi:[1,1,0]
	v_fma_mix_f32 v7, v26, v49, v7 op_sel:[1,1,0] op_sel_hi:[1,1,0]
	s_andn2_b64 exec, exec, s[14:15]
	s_cbranch_execnz .LBB96_21
; %bb.22:
	s_or_b64 exec, exec, s[14:15]
.LBB96_23:
	s_or_b64 exec, exec, s[10:11]
.LBB96_24:
	s_or_b64 exec, exec, s[8:9]
	s_cbranch_execz .LBB96_26
	s_branch .LBB96_37
.LBB96_25:
                                        ; implicit-def: $vgpr7
                                        ; implicit-def: $vgpr22
                                        ; implicit-def: $vgpr23
                                        ; implicit-def: $vgpr8
.LBB96_26:
	v_mov_b32_e32 v7, 0
	v_mov_b32_e32 v22, 0
	;; [unrolled: 1-line block ×4, first 2 shown]
	s_and_saveexec_b64 s[2:3], s[0:1]
	s_cbranch_execz .LBB96_36
; %bb.27:
	v_or_b32_e32 v7, 8, v21
	v_subrev_co_u32_e32 v7, vcc, s20, v7
	v_subb_co_u32_e64 v8, s[0:1], 0, 0, vcc
	v_add_co_u32_e32 v7, vcc, v7, v9
	v_addc_co_u32_e32 v8, vcc, v8, v10, vcc
	v_cmp_gt_i64_e32 vcc, v[7:8], v[2:3]
	v_not_b32_e32 v9, v9
	v_cndmask_b32_e32 v8, v3, v8, vcc
	v_cndmask_b32_e32 v7, v2, v7, vcc
	v_sub_co_u32_e32 v11, vcc, s20, v21
	v_not_b32_e32 v10, v10
	v_subb_co_u32_e64 v12, s[0:1], 0, 0, vcc
	v_add_co_u32_e32 v9, vcc, v11, v9
	v_addc_co_u32_e32 v10, vcc, v12, v10, vcc
	v_add_co_u32_e32 v9, vcc, v9, v7
	v_addc_co_u32_e32 v10, vcc, v10, v8, vcc
	v_and_b32_e32 v7, 24, v9
	v_mov_b32_e32 v8, 0
	v_cmp_ne_u64_e32 vcc, 24, v[7:8]
	v_mov_b32_e32 v23, v8
	v_mov_b32_e32 v22, v8
	v_mov_b32_e32 v7, v8
	s_and_saveexec_b64 s[8:9], vcc
	s_cbranch_execz .LBB96_31
; %bb.28:
	v_lshlrev_b64 v[11:12], 2, v[0:1]
	v_lshrrev_b32_e32 v7, 3, v9
	v_add_u32_e32 v7, 1, v7
	v_mov_b32_e32 v13, s13
	v_add_co_u32_e32 v11, vcc, s12, v11
	v_and_b32_e32 v8, 3, v7
	v_addc_co_u32_e32 v12, vcc, v13, v12, vcc
	v_sub_co_u32_e32 v13, vcc, 0, v8
	v_mov_b32_e32 v7, 0
	s_mov_b64 s[10:11], 0
	v_subb_co_u32_e64 v14, s[0:1], 0, 0, vcc
	s_movk_i32 s14, 0x100
	v_mov_b32_e32 v15, s7
	v_mov_b32_e32 v22, 0
	;; [unrolled: 1-line block ×4, first 2 shown]
.LBB96_29:                              ; =>This Inner Loop Header: Depth=1
	global_load_dword v20, v[11:12], off
	global_load_dwordx4 v[16:19], v[5:6], off
	v_add_co_u32_e64 v0, s[0:1], 8, v0
	v_addc_co_u32_e64 v1, s[0:1], 0, v1, s[0:1]
	v_add_co_u32_e64 v11, s[0:1], 32, v11
	v_addc_co_u32_e64 v12, s[0:1], 0, v12, s[0:1]
	;; [unrolled: 2-line block ×3, first 2 shown]
	v_cmp_eq_u64_e64 s[0:1], 0, v[13:14]
	s_or_b64 s[10:11], s[0:1], s[10:11]
	s_waitcnt vmcnt(1)
	v_subrev_u32_e32 v20, s20, v20
	v_lshlrev_b32_e32 v24, 2, v20
	v_ashrrev_i32_e32 v25, 31, v24
	v_lshlrev_b64 v[24:25], 1, v[24:25]
	v_add_co_u32_e32 v28, vcc, s6, v24
	v_addc_co_u32_e32 v29, vcc, v15, v25, vcc
	global_load_dwordx2 v[30:31], v[28:29], off
	global_load_dwordx4 v[24:27], v[5:6], off offset:16
	v_add_co_u32_e32 v5, vcc, s14, v5
	v_addc_co_u32_e32 v6, vcc, 0, v6, vcc
	s_waitcnt vmcnt(1)
	v_fma_mix_f32 v8, v16, v30, v8 op_sel_hi:[1,1,0]
	v_fma_mix_f32 v16, v16, v30, v23 op_sel:[1,0,0] op_sel_hi:[1,1,0]
	v_fma_mix_f32 v20, v17, v30, v22 op_sel_hi:[1,1,0]
	v_fma_mix_f32 v7, v17, v30, v7 op_sel:[1,0,0] op_sel_hi:[1,1,0]
	v_fma_mix_f32 v8, v18, v30, v8 op_sel:[0,1,0] op_sel_hi:[1,1,0]
	;; [unrolled: 1-line block ×5, first 2 shown]
	s_waitcnt vmcnt(0)
	v_fma_mix_f32 v8, v24, v31, v8 op_sel_hi:[1,1,0]
	v_fma_mix_f32 v16, v24, v31, v16 op_sel:[1,0,0] op_sel_hi:[1,1,0]
	v_fma_mix_f32 v17, v25, v31, v17 op_sel_hi:[1,1,0]
	v_fma_mix_f32 v7, v25, v31, v7 op_sel:[1,0,0] op_sel_hi:[1,1,0]
	v_fma_mix_f32 v8, v26, v31, v8 op_sel:[0,1,0] op_sel_hi:[1,1,0]
	v_fma_mix_f32 v23, v26, v31, v16 op_sel:[1,1,0] op_sel_hi:[1,1,0]
	v_fma_mix_f32 v22, v27, v31, v17 op_sel:[0,1,0] op_sel_hi:[1,1,0]
	v_fma_mix_f32 v7, v27, v31, v7 op_sel:[1,1,0] op_sel_hi:[1,1,0]
	s_andn2_b64 exec, exec, s[10:11]
	s_cbranch_execnz .LBB96_29
; %bb.30:
	s_or_b64 exec, exec, s[10:11]
.LBB96_31:
	s_or_b64 exec, exec, s[8:9]
	v_cmp_lt_u64_e32 vcc, 23, v[9:10]
	s_and_saveexec_b64 s[8:9], vcc
	s_cbranch_execz .LBB96_35
; %bb.32:
	v_lshlrev_b64 v[9:10], 2, v[0:1]
	v_mov_b32_e32 v11, s13
	v_add_co_u32_e32 v9, vcc, s12, v9
	v_addc_co_u32_e32 v10, vcc, v11, v10, vcc
	v_add_co_u32_e32 v9, vcc, 64, v9
	v_addc_co_u32_e32 v10, vcc, 0, v10, vcc
	s_mov_b64 s[10:11], 0
	v_mov_b32_e32 v11, s7
	s_movk_i32 s7, 0x400
.LBB96_33:                              ; =>This Inner Loop Header: Depth=1
	global_load_dword v20, v[9:10], off offset:-64
	global_load_dword v28, v[9:10], off offset:-32
	global_load_dword v29, v[9:10], off
	global_load_dword v30, v[9:10], off offset:32
	global_load_dwordx4 v[12:15], v[5:6], off
	global_load_dwordx4 v[16:19], v[5:6], off offset:16
	global_load_dwordx4 v[24:27], v[5:6], off offset:256
	v_add_co_u32_e64 v0, s[0:1], 32, v0
	v_addc_co_u32_e64 v1, s[0:1], 0, v1, s[0:1]
	v_cmp_ge_i64_e64 s[0:1], v[0:1], v[2:3]
	s_or_b64 s[10:11], s[0:1], s[10:11]
	s_waitcnt vmcnt(6)
	v_subrev_u32_e32 v20, s20, v20
	s_waitcnt vmcnt(5)
	v_subrev_u32_e32 v31, s20, v28
	;; [unrolled: 2-line block ×3, first 2 shown]
	v_lshlrev_b32_e32 v28, 2, v20
	v_lshlrev_b32_e32 v32, 2, v29
	v_ashrrev_i32_e32 v29, 31, v28
	s_waitcnt vmcnt(3)
	v_subrev_u32_e32 v33, s20, v30
	v_lshlrev_b32_e32 v30, 2, v31
	v_lshlrev_b64 v[28:29], 1, v[28:29]
	v_ashrrev_i32_e32 v31, 31, v30
	v_lshlrev_b64 v[30:31], 1, v[30:31]
	v_add_co_u32_e32 v28, vcc, s6, v28
	v_lshlrev_b32_e32 v34, 2, v33
	v_ashrrev_i32_e32 v33, 31, v32
	v_addc_co_u32_e32 v29, vcc, v11, v29, vcc
	v_lshlrev_b64 v[32:33], 1, v[32:33]
	v_add_co_u32_e32 v30, vcc, s6, v30
	v_ashrrev_i32_e32 v35, 31, v34
	v_addc_co_u32_e32 v31, vcc, v11, v31, vcc
	v_lshlrev_b64 v[34:35], 1, v[34:35]
	v_add_co_u32_e32 v32, vcc, s6, v32
	v_addc_co_u32_e32 v33, vcc, v11, v33, vcc
	v_add_co_u32_e32 v34, vcc, s6, v34
	v_addc_co_u32_e32 v35, vcc, v11, v35, vcc
	global_load_dwordx2 v[36:37], v[28:29], off
	global_load_dwordx2 v[38:39], v[30:31], off
	global_load_dwordx2 v[40:41], v[32:33], off
	global_load_dwordx2 v[42:43], v[34:35], off
	s_waitcnt vmcnt(3)
	v_fma_mix_f32 v8, v12, v36, v8 op_sel_hi:[1,1,0]
	v_fma_mix_f32 v12, v12, v36, v23 op_sel:[1,0,0] op_sel_hi:[1,1,0]
	v_fma_mix_f32 v20, v13, v36, v22 op_sel_hi:[1,1,0]
	v_fma_mix_f32 v7, v13, v36, v7 op_sel:[1,0,0] op_sel_hi:[1,1,0]
	v_fma_mix_f32 v8, v14, v36, v8 op_sel:[0,1,0] op_sel_hi:[1,1,0]
	;; [unrolled: 1-line block ×5, first 2 shown]
	global_load_dwordx4 v[12:15], v[5:6], off offset:272
	v_fma_mix_f32 v8, v16, v37, v8 op_sel_hi:[1,1,0]
	v_fma_mix_f32 v16, v16, v37, v22 op_sel:[1,0,0] op_sel_hi:[1,1,0]
	v_fma_mix_f32 v20, v17, v37, v20 op_sel_hi:[1,1,0]
	v_fma_mix_f32 v7, v17, v37, v7 op_sel:[1,0,0] op_sel_hi:[1,1,0]
	v_fma_mix_f32 v8, v18, v37, v8 op_sel:[0,1,0] op_sel_hi:[1,1,0]
	;; [unrolled: 1-line block ×5, first 2 shown]
	global_load_dwordx4 v[16:19], v[5:6], off offset:512
	global_load_dwordx4 v[28:31], v[5:6], off offset:528
	s_waitcnt vmcnt(5)
	v_fma_mix_f32 v8, v24, v38, v8 op_sel_hi:[1,1,0]
	v_fma_mix_f32 v22, v24, v38, v22 op_sel:[1,0,0] op_sel_hi:[1,1,0]
	v_fma_mix_f32 v20, v25, v38, v20 op_sel_hi:[1,1,0]
	v_fma_mix_f32 v7, v25, v38, v7 op_sel:[1,0,0] op_sel_hi:[1,1,0]
	v_fma_mix_f32 v8, v26, v38, v8 op_sel:[0,1,0] op_sel_hi:[1,1,0]
	v_fma_mix_f32 v26, v26, v38, v22 op_sel:[1,1,0] op_sel_hi:[1,1,0]
	v_fma_mix_f32 v20, v27, v38, v20 op_sel:[0,1,0] op_sel_hi:[1,1,0]
	v_fma_mix_f32 v7, v27, v38, v7 op_sel:[1,1,0] op_sel_hi:[1,1,0]
	global_load_dwordx4 v[22:25], v[5:6], off offset:768
	s_waitcnt vmcnt(3)
	v_fma_mix_f32 v8, v12, v39, v8 op_sel_hi:[1,1,0]
	v_fma_mix_f32 v12, v12, v39, v26 op_sel:[1,0,0] op_sel_hi:[1,1,0]
	v_fma_mix_f32 v20, v13, v39, v20 op_sel_hi:[1,1,0]
	v_fma_mix_f32 v7, v13, v39, v7 op_sel:[1,0,0] op_sel_hi:[1,1,0]
	v_fma_mix_f32 v8, v14, v39, v8 op_sel:[0,1,0] op_sel_hi:[1,1,0]
	v_fma_mix_f32 v26, v14, v39, v12 op_sel:[1,1,0] op_sel_hi:[1,1,0]
	v_fma_mix_f32 v20, v15, v39, v20 op_sel:[0,1,0] op_sel_hi:[1,1,0]
	v_fma_mix_f32 v7, v15, v39, v7 op_sel:[1,1,0] op_sel_hi:[1,1,0]
	;; [unrolled: 10-line block ×3, first 2 shown]
	s_waitcnt vmcnt(2)
	v_fma_mix_f32 v8, v28, v41, v8 op_sel_hi:[1,1,0]
	v_fma_mix_f32 v16, v28, v41, v16 op_sel:[1,0,0] op_sel_hi:[1,1,0]
	v_fma_mix_f32 v17, v29, v41, v17 op_sel_hi:[1,1,0]
	v_fma_mix_f32 v7, v29, v41, v7 op_sel:[1,0,0] op_sel_hi:[1,1,0]
	v_fma_mix_f32 v8, v30, v41, v8 op_sel:[0,1,0] op_sel_hi:[1,1,0]
	;; [unrolled: 1-line block ×5, first 2 shown]
	v_add_co_u32_e32 v5, vcc, s7, v5
	s_waitcnt vmcnt(1)
	v_fma_mix_f32 v8, v22, v42, v8 op_sel_hi:[1,1,0]
	v_fma_mix_f32 v16, v22, v42, v16 op_sel:[1,0,0] op_sel_hi:[1,1,0]
	v_fma_mix_f32 v17, v23, v42, v17 op_sel_hi:[1,1,0]
	v_fma_mix_f32 v7, v23, v42, v7 op_sel:[1,0,0] op_sel_hi:[1,1,0]
	v_addc_co_u32_e32 v6, vcc, 0, v6, vcc
	v_fma_mix_f32 v8, v24, v42, v8 op_sel:[0,1,0] op_sel_hi:[1,1,0]
	v_fma_mix_f32 v16, v24, v42, v16 op_sel:[1,1,0] op_sel_hi:[1,1,0]
	;; [unrolled: 1-line block ×4, first 2 shown]
	v_add_co_u32_e32 v9, vcc, 0x80, v9
	v_addc_co_u32_e32 v10, vcc, 0, v10, vcc
	s_waitcnt vmcnt(0)
	v_fma_mix_f32 v8, v12, v43, v8 op_sel_hi:[1,1,0]
	v_fma_mix_f32 v12, v12, v43, v16 op_sel:[1,0,0] op_sel_hi:[1,1,0]
	v_fma_mix_f32 v16, v13, v43, v17 op_sel_hi:[1,1,0]
	v_fma_mix_f32 v7, v13, v43, v7 op_sel:[1,0,0] op_sel_hi:[1,1,0]
	v_fma_mix_f32 v8, v14, v43, v8 op_sel:[0,1,0] op_sel_hi:[1,1,0]
	;; [unrolled: 1-line block ×5, first 2 shown]
	s_andn2_b64 exec, exec, s[10:11]
	s_cbranch_execnz .LBB96_33
; %bb.34:
	s_or_b64 exec, exec, s[10:11]
.LBB96_35:
	s_or_b64 exec, exec, s[8:9]
.LBB96_36:
	s_or_b64 exec, exec, s[2:3]
.LBB96_37:
	v_mov_b32_dpp v0, v8 row_shr:1 row_mask:0xf bank_mask:0xf
	v_add_f32_e32 v0, v8, v0
	v_mov_b32_dpp v2, v23 row_shr:1 row_mask:0xf bank_mask:0xf
	v_mov_b32_dpp v5, v22 row_shr:1 row_mask:0xf bank_mask:0xf
	;; [unrolled: 1-line block ×3, first 2 shown]
	v_add_f32_e32 v2, v23, v2
	v_add_f32_e32 v5, v22, v5
	v_add_f32_e32 v7, v7, v8
	v_mov_b32_dpp v1, v0 row_shr:2 row_mask:0xf bank_mask:0xf
	v_mov_b32_dpp v3, v2 row_shr:2 row_mask:0xf bank_mask:0xf
	;; [unrolled: 1-line block ×4, first 2 shown]
	v_add_f32_e32 v0, v0, v1
	v_add_f32_e32 v2, v2, v3
	v_add_f32_e32 v5, v5, v6
	v_add_f32_e32 v7, v7, v8
	v_mov_b32_dpp v1, v0 row_shr:4 row_mask:0xf bank_mask:0xe
	v_mov_b32_dpp v3, v2 row_shr:4 row_mask:0xf bank_mask:0xe
	;; [unrolled: 1-line block ×4, first 2 shown]
	v_cmp_eq_u32_e32 vcc, 7, v21
	s_and_b64 exec, exec, vcc
	s_cbranch_execz .LBB96_10
; %bb.38:
	s_load_dwordx2 s[0:1], s[4:5], 0x50
	v_add_f32_e32 v0, v0, v1
	v_add_f32_e32 v1, v2, v3
	;; [unrolled: 1-line block ×4, first 2 shown]
	v_cmp_eq_f32_e64 s[2:3], s16, 0
	s_and_b64 vcc, exec, s[2:3]
	v_mul_f32_e32 v0, s18, v0
	v_mul_f32_e32 v1, s18, v1
	;; [unrolled: 1-line block ×4, first 2 shown]
	v_lshlrev_b32_e32 v4, 2, v4
	s_cbranch_vccz .LBB96_40
; %bb.39:
	v_ashrrev_i32_e32 v5, 31, v4
	v_lshlrev_b64 v[5:6], 2, v[4:5]
	s_waitcnt lgkmcnt(0)
	v_mov_b32_e32 v7, s1
	v_add_co_u32_e32 v5, vcc, s0, v5
	v_addc_co_u32_e32 v6, vcc, v7, v6, vcc
	global_store_dwordx4 v[5:6], v[0:3], off
	s_cbranch_execnz .LBB96_10
	s_branch .LBB96_41
.LBB96_40:
.LBB96_41:
	v_ashrrev_i32_e32 v5, 31, v4
	v_lshlrev_b64 v[4:5], 2, v[4:5]
	s_waitcnt lgkmcnt(0)
	v_mov_b32_e32 v6, s1
	v_add_co_u32_e32 v8, vcc, s0, v4
	v_addc_co_u32_e32 v9, vcc, v6, v5, vcc
	global_load_dwordx4 v[4:7], v[8:9], off
	s_waitcnt vmcnt(0)
	v_fmac_f32_e32 v0, s16, v4
	v_fmac_f32_e32 v1, s16, v5
	;; [unrolled: 1-line block ×4, first 2 shown]
	global_store_dwordx4 v[8:9], v[0:3], off
	s_endpgm
	.section	.rodata,"a",@progbits
	.p2align	6, 0x0
	.amdhsa_kernel _ZN9rocsparseL18bsrxmvn_4x4_kernelILj128ELj8EfliDF16_DF16_fEEvT3_20rocsparse_direction_NS_24const_host_device_scalarIT1_EES1_PKS1_PKT2_SA_S7_PKT4_PKT5_S5_PT6_21rocsparse_index_base_b
		.amdhsa_group_segment_fixed_size 0
		.amdhsa_private_segment_fixed_size 0
		.amdhsa_kernarg_size 96
		.amdhsa_user_sgpr_count 6
		.amdhsa_user_sgpr_private_segment_buffer 1
		.amdhsa_user_sgpr_dispatch_ptr 0
		.amdhsa_user_sgpr_queue_ptr 0
		.amdhsa_user_sgpr_kernarg_segment_ptr 1
		.amdhsa_user_sgpr_dispatch_id 0
		.amdhsa_user_sgpr_flat_scratch_init 0
		.amdhsa_user_sgpr_private_segment_size 0
		.amdhsa_uses_dynamic_stack 0
		.amdhsa_system_sgpr_private_segment_wavefront_offset 0
		.amdhsa_system_sgpr_workgroup_id_x 1
		.amdhsa_system_sgpr_workgroup_id_y 0
		.amdhsa_system_sgpr_workgroup_id_z 0
		.amdhsa_system_sgpr_workgroup_info 0
		.amdhsa_system_vgpr_workitem_id 0
		.amdhsa_next_free_vgpr 50
		.amdhsa_next_free_sgpr 22
		.amdhsa_reserve_vcc 1
		.amdhsa_reserve_flat_scratch 0
		.amdhsa_float_round_mode_32 0
		.amdhsa_float_round_mode_16_64 0
		.amdhsa_float_denorm_mode_32 3
		.amdhsa_float_denorm_mode_16_64 3
		.amdhsa_dx10_clamp 1
		.amdhsa_ieee_mode 1
		.amdhsa_fp16_overflow 0
		.amdhsa_exception_fp_ieee_invalid_op 0
		.amdhsa_exception_fp_denorm_src 0
		.amdhsa_exception_fp_ieee_div_zero 0
		.amdhsa_exception_fp_ieee_overflow 0
		.amdhsa_exception_fp_ieee_underflow 0
		.amdhsa_exception_fp_ieee_inexact 0
		.amdhsa_exception_int_div_zero 0
	.end_amdhsa_kernel
	.section	.text._ZN9rocsparseL18bsrxmvn_4x4_kernelILj128ELj8EfliDF16_DF16_fEEvT3_20rocsparse_direction_NS_24const_host_device_scalarIT1_EES1_PKS1_PKT2_SA_S7_PKT4_PKT5_S5_PT6_21rocsparse_index_base_b,"axG",@progbits,_ZN9rocsparseL18bsrxmvn_4x4_kernelILj128ELj8EfliDF16_DF16_fEEvT3_20rocsparse_direction_NS_24const_host_device_scalarIT1_EES1_PKS1_PKT2_SA_S7_PKT4_PKT5_S5_PT6_21rocsparse_index_base_b,comdat
.Lfunc_end96:
	.size	_ZN9rocsparseL18bsrxmvn_4x4_kernelILj128ELj8EfliDF16_DF16_fEEvT3_20rocsparse_direction_NS_24const_host_device_scalarIT1_EES1_PKS1_PKT2_SA_S7_PKT4_PKT5_S5_PT6_21rocsparse_index_base_b, .Lfunc_end96-_ZN9rocsparseL18bsrxmvn_4x4_kernelILj128ELj8EfliDF16_DF16_fEEvT3_20rocsparse_direction_NS_24const_host_device_scalarIT1_EES1_PKS1_PKT2_SA_S7_PKT4_PKT5_S5_PT6_21rocsparse_index_base_b
                                        ; -- End function
	.set _ZN9rocsparseL18bsrxmvn_4x4_kernelILj128ELj8EfliDF16_DF16_fEEvT3_20rocsparse_direction_NS_24const_host_device_scalarIT1_EES1_PKS1_PKT2_SA_S7_PKT4_PKT5_S5_PT6_21rocsparse_index_base_b.num_vgpr, 50
	.set _ZN9rocsparseL18bsrxmvn_4x4_kernelILj128ELj8EfliDF16_DF16_fEEvT3_20rocsparse_direction_NS_24const_host_device_scalarIT1_EES1_PKS1_PKT2_SA_S7_PKT4_PKT5_S5_PT6_21rocsparse_index_base_b.num_agpr, 0
	.set _ZN9rocsparseL18bsrxmvn_4x4_kernelILj128ELj8EfliDF16_DF16_fEEvT3_20rocsparse_direction_NS_24const_host_device_scalarIT1_EES1_PKS1_PKT2_SA_S7_PKT4_PKT5_S5_PT6_21rocsparse_index_base_b.numbered_sgpr, 22
	.set _ZN9rocsparseL18bsrxmvn_4x4_kernelILj128ELj8EfliDF16_DF16_fEEvT3_20rocsparse_direction_NS_24const_host_device_scalarIT1_EES1_PKS1_PKT2_SA_S7_PKT4_PKT5_S5_PT6_21rocsparse_index_base_b.num_named_barrier, 0
	.set _ZN9rocsparseL18bsrxmvn_4x4_kernelILj128ELj8EfliDF16_DF16_fEEvT3_20rocsparse_direction_NS_24const_host_device_scalarIT1_EES1_PKS1_PKT2_SA_S7_PKT4_PKT5_S5_PT6_21rocsparse_index_base_b.private_seg_size, 0
	.set _ZN9rocsparseL18bsrxmvn_4x4_kernelILj128ELj8EfliDF16_DF16_fEEvT3_20rocsparse_direction_NS_24const_host_device_scalarIT1_EES1_PKS1_PKT2_SA_S7_PKT4_PKT5_S5_PT6_21rocsparse_index_base_b.uses_vcc, 1
	.set _ZN9rocsparseL18bsrxmvn_4x4_kernelILj128ELj8EfliDF16_DF16_fEEvT3_20rocsparse_direction_NS_24const_host_device_scalarIT1_EES1_PKS1_PKT2_SA_S7_PKT4_PKT5_S5_PT6_21rocsparse_index_base_b.uses_flat_scratch, 0
	.set _ZN9rocsparseL18bsrxmvn_4x4_kernelILj128ELj8EfliDF16_DF16_fEEvT3_20rocsparse_direction_NS_24const_host_device_scalarIT1_EES1_PKS1_PKT2_SA_S7_PKT4_PKT5_S5_PT6_21rocsparse_index_base_b.has_dyn_sized_stack, 0
	.set _ZN9rocsparseL18bsrxmvn_4x4_kernelILj128ELj8EfliDF16_DF16_fEEvT3_20rocsparse_direction_NS_24const_host_device_scalarIT1_EES1_PKS1_PKT2_SA_S7_PKT4_PKT5_S5_PT6_21rocsparse_index_base_b.has_recursion, 0
	.set _ZN9rocsparseL18bsrxmvn_4x4_kernelILj128ELj8EfliDF16_DF16_fEEvT3_20rocsparse_direction_NS_24const_host_device_scalarIT1_EES1_PKS1_PKT2_SA_S7_PKT4_PKT5_S5_PT6_21rocsparse_index_base_b.has_indirect_call, 0
	.section	.AMDGPU.csdata,"",@progbits
; Kernel info:
; codeLenInByte = 3584
; TotalNumSgprs: 26
; NumVgprs: 50
; ScratchSize: 0
; MemoryBound: 0
; FloatMode: 240
; IeeeMode: 1
; LDSByteSize: 0 bytes/workgroup (compile time only)
; SGPRBlocks: 3
; VGPRBlocks: 12
; NumSGPRsForWavesPerEU: 26
; NumVGPRsForWavesPerEU: 50
; Occupancy: 4
; WaveLimiterHint : 1
; COMPUTE_PGM_RSRC2:SCRATCH_EN: 0
; COMPUTE_PGM_RSRC2:USER_SGPR: 6
; COMPUTE_PGM_RSRC2:TRAP_HANDLER: 0
; COMPUTE_PGM_RSRC2:TGID_X_EN: 1
; COMPUTE_PGM_RSRC2:TGID_Y_EN: 0
; COMPUTE_PGM_RSRC2:TGID_Z_EN: 0
; COMPUTE_PGM_RSRC2:TIDIG_COMP_CNT: 0
	.section	.text._ZN9rocsparseL18bsrxmvn_4x4_kernelILj128ELj16EfliDF16_DF16_fEEvT3_20rocsparse_direction_NS_24const_host_device_scalarIT1_EES1_PKS1_PKT2_SA_S7_PKT4_PKT5_S5_PT6_21rocsparse_index_base_b,"axG",@progbits,_ZN9rocsparseL18bsrxmvn_4x4_kernelILj128ELj16EfliDF16_DF16_fEEvT3_20rocsparse_direction_NS_24const_host_device_scalarIT1_EES1_PKS1_PKT2_SA_S7_PKT4_PKT5_S5_PT6_21rocsparse_index_base_b,comdat
	.globl	_ZN9rocsparseL18bsrxmvn_4x4_kernelILj128ELj16EfliDF16_DF16_fEEvT3_20rocsparse_direction_NS_24const_host_device_scalarIT1_EES1_PKS1_PKT2_SA_S7_PKT4_PKT5_S5_PT6_21rocsparse_index_base_b ; -- Begin function _ZN9rocsparseL18bsrxmvn_4x4_kernelILj128ELj16EfliDF16_DF16_fEEvT3_20rocsparse_direction_NS_24const_host_device_scalarIT1_EES1_PKS1_PKT2_SA_S7_PKT4_PKT5_S5_PT6_21rocsparse_index_base_b
	.p2align	8
	.type	_ZN9rocsparseL18bsrxmvn_4x4_kernelILj128ELj16EfliDF16_DF16_fEEvT3_20rocsparse_direction_NS_24const_host_device_scalarIT1_EES1_PKS1_PKT2_SA_S7_PKT4_PKT5_S5_PT6_21rocsparse_index_base_b,@function
_ZN9rocsparseL18bsrxmvn_4x4_kernelILj128ELj16EfliDF16_DF16_fEEvT3_20rocsparse_direction_NS_24const_host_device_scalarIT1_EES1_PKS1_PKT2_SA_S7_PKT4_PKT5_S5_PT6_21rocsparse_index_base_b: ; @_ZN9rocsparseL18bsrxmvn_4x4_kernelILj128ELj16EfliDF16_DF16_fEEvT3_20rocsparse_direction_NS_24const_host_device_scalarIT1_EES1_PKS1_PKT2_SA_S7_PKT4_PKT5_S5_PT6_21rocsparse_index_base_b
; %bb.0:
	s_load_dwordx2 s[20:21], s[4:5], 0x58
	s_load_dwordx2 s[18:19], s[4:5], 0x8
	;; [unrolled: 1-line block ×3, first 2 shown]
	s_waitcnt lgkmcnt(0)
	s_bitcmp1_b32 s21, 0
	s_cselect_b64 s[2:3], -1, 0
	s_xor_b64 s[0:1], s[2:3], -1
	s_and_b64 vcc, exec, s[2:3]
	s_cbranch_vccnz .LBB97_2
; %bb.1:
	s_load_dword s18, s[18:19], 0x0
.LBB97_2:
	s_andn2_b64 vcc, exec, s[0:1]
	s_cbranch_vccnz .LBB97_4
; %bb.3:
	s_load_dword s16, s[16:17], 0x0
.LBB97_4:
	s_waitcnt lgkmcnt(0)
	v_cmp_neq_f32_e64 s[0:1], s18, 0
	v_cmp_neq_f32_e64 s[2:3], s16, 1.0
	s_or_b64 s[0:1], s[0:1], s[2:3]
	s_andn2_b64 vcc, exec, s[0:1]
	s_cbranch_vccnz .LBB97_10
; %bb.5:
	s_load_dwordx2 s[8:9], s[4:5], 0x18
	s_load_dwordx2 s[0:1], s[4:5], 0x0
	v_lshrrev_b32_e32 v1, 4, v0
	v_lshl_or_b32 v4, s6, 3, v1
	s_mov_b64 s[2:3], 0
	s_waitcnt lgkmcnt(0)
	s_cmp_lg_u64 s[8:9], 0
	s_cbranch_scc0 .LBB97_11
; %bb.6:
	s_load_dword s6, s[4:5], 0x10
                                        ; implicit-def: $vgpr1
	s_waitcnt lgkmcnt(0)
	v_cmp_gt_i32_e32 vcc, s6, v4
	s_and_saveexec_b64 s[6:7], vcc
	s_xor_b64 s[6:7], exec, s[6:7]
	s_cbranch_execz .LBB97_8
; %bb.7:
	v_ashrrev_i32_e32 v5, 31, v4
	v_lshlrev_b64 v[1:2], 2, v[4:5]
	v_mov_b32_e32 v3, s9
	v_add_co_u32_e32 v1, vcc, s8, v1
	v_addc_co_u32_e32 v2, vcc, v3, v2, vcc
	global_load_dword v1, v[1:2], off
	s_mov_b64 s[2:3], exec
	s_waitcnt vmcnt(0)
	v_subrev_u32_e32 v1, s20, v1
.LBB97_8:
	s_or_b64 exec, exec, s[6:7]
	s_branch .LBB97_12
.LBB97_9:
	v_cmp_gt_i32_e32 vcc, s0, v4
	s_andn2_b64 s[2:3], s[2:3], exec
	s_and_b64 s[6:7], vcc, exec
	s_or_b64 s[2:3], s[2:3], s[6:7]
	s_and_saveexec_b64 s[6:7], s[2:3]
	s_cbranch_execnz .LBB97_13
.LBB97_10:
	s_endpgm
.LBB97_11:
                                        ; implicit-def: $vgpr1
	s_cbranch_execnz .LBB97_9
.LBB97_12:
	v_mov_b32_e32 v4, v1
	s_and_saveexec_b64 s[6:7], s[2:3]
	s_cbranch_execz .LBB97_10
.LBB97_13:
	s_load_dwordx8 s[8:15], s[4:5], 0x20
	v_ashrrev_i32_e32 v5, 31, v4
	v_lshlrev_b64 v[1:2], 3, v[4:5]
	v_and_b32_e32 v21, 15, v0
	s_load_dwordx2 s[6:7], s[4:5], 0x40
	s_waitcnt lgkmcnt(0)
	v_mov_b32_e32 v3, s9
	v_add_co_u32_e32 v5, vcc, s8, v1
	v_addc_co_u32_e32 v6, vcc, v3, v2, vcc
	v_add_co_u32_e32 v3, vcc, 8, v5
	global_load_dwordx2 v[9:10], v[5:6], off
	v_addc_co_u32_e32 v5, vcc, 0, v6, vcc
	v_mov_b32_e32 v6, s11
	v_add_co_u32_e32 v1, vcc, s10, v1
	s_cmp_eq_u64 s[10:11], 0
	v_addc_co_u32_e32 v2, vcc, v6, v2, vcc
	s_cselect_b64 vcc, -1, 0
	v_cndmask_b32_e32 v2, v2, v5, vcc
	v_cndmask_b32_e32 v1, v1, v3, vcc
	global_load_dwordx2 v[2:3], v[1:2], off
	v_mov_b32_e32 v8, s15
	s_cmp_eq_u32 s1, 1
	v_mov_b32_e32 v7, 0
	s_waitcnt vmcnt(1)
	v_subrev_co_u32_e32 v0, vcc, s20, v9
	v_subbrev_co_u32_e32 v1, vcc, 0, v10, vcc
	v_add_co_u32_e32 v0, vcc, v0, v21
	v_addc_co_u32_e32 v1, vcc, 0, v1, vcc
	v_lshlrev_b64 v[5:6], 5, v[0:1]
	s_waitcnt vmcnt(0)
	v_subrev_co_u32_e32 v2, vcc, s20, v2
	v_subbrev_co_u32_e32 v3, vcc, 0, v3, vcc
	v_cmp_lt_i64_e64 s[0:1], v[0:1], v[2:3]
	v_add_co_u32_e32 v5, vcc, s14, v5
	v_addc_co_u32_e32 v6, vcc, v8, v6, vcc
	s_cbranch_scc1 .LBB97_25
; %bb.14:
	v_mov_b32_e32 v22, 0
	v_mov_b32_e32 v23, 0
	;; [unrolled: 1-line block ×3, first 2 shown]
	s_and_saveexec_b64 s[8:9], s[0:1]
	s_cbranch_execz .LBB97_24
; %bb.15:
	v_or_b32_e32 v7, 16, v21
	v_subrev_co_u32_e32 v7, vcc, s20, v7
	v_subb_co_u32_e64 v8, s[2:3], 0, 0, vcc
	v_add_co_u32_e32 v7, vcc, v7, v9
	v_addc_co_u32_e32 v8, vcc, v8, v10, vcc
	v_cmp_gt_i64_e32 vcc, v[7:8], v[2:3]
	v_not_b32_e32 v12, v9
	v_cndmask_b32_e32 v8, v3, v8, vcc
	v_cndmask_b32_e32 v7, v2, v7, vcc
	v_sub_co_u32_e32 v13, vcc, s20, v21
	v_not_b32_e32 v11, v10
	v_subb_co_u32_e64 v14, s[2:3], 0, 0, vcc
	v_add_co_u32_e32 v12, vcc, v13, v12
	v_addc_co_u32_e32 v11, vcc, v14, v11, vcc
	v_add_co_u32_e32 v15, vcc, v12, v7
	v_addc_co_u32_e32 v16, vcc, v11, v8, vcc
	v_and_b32_e32 v7, 48, v15
	v_mov_b32_e32 v8, 0
	v_cmp_ne_u64_e32 vcc, 48, v[7:8]
	v_mov_b32_e32 v12, v1
	v_mov_b32_e32 v14, v6
	;; [unrolled: 1-line block ×7, first 2 shown]
	s_and_saveexec_b64 s[10:11], vcc
	s_cbranch_execz .LBB97_19
; %bb.16:
	v_lshlrev_b64 v[11:12], 2, v[0:1]
	v_lshrrev_b32_e32 v7, 4, v15
	v_add_u32_e32 v7, 1, v7
	v_mov_b32_e32 v13, s13
	v_add_co_u32_e32 v17, vcc, s12, v11
	v_and_b32_e32 v8, 3, v7
	v_addc_co_u32_e32 v18, vcc, v13, v12, vcc
	v_sub_co_u32_e32 v19, vcc, 0, v8
	v_mov_b32_e32 v14, v6
	v_mov_b32_e32 v12, v1
	;; [unrolled: 1-line block ×3, first 2 shown]
	s_mov_b64 s[14:15], 0
	v_subb_co_u32_e64 v20, s[2:3], 0, 0, vcc
	s_movk_i32 s17, 0x200
	v_mov_b32_e32 v24, s7
	v_mov_b32_e32 v13, v5
	;; [unrolled: 1-line block ×6, first 2 shown]
.LBB97_17:                              ; =>This Inner Loop Header: Depth=1
	global_load_dword v33, v[17:18], off
	global_load_dwordx4 v[25:28], v[13:14], off
	global_load_dwordx4 v[29:32], v[13:14], off offset:16
	v_add_co_u32_e64 v11, s[2:3], 16, v11
	v_addc_co_u32_e64 v12, s[2:3], 0, v12, s[2:3]
	v_add_co_u32_e64 v17, s[2:3], 64, v17
	v_addc_co_u32_e64 v18, s[2:3], 0, v18, s[2:3]
	;; [unrolled: 2-line block ×3, first 2 shown]
	v_cmp_eq_u64_e64 s[2:3], 0, v[19:20]
	s_or_b64 s[14:15], s[2:3], s[14:15]
	s_waitcnt vmcnt(2)
	v_subrev_u32_e32 v33, s20, v33
	v_lshlrev_b32_e32 v33, 2, v33
	v_ashrrev_i32_e32 v34, 31, v33
	v_lshlrev_b64 v[33:34], 1, v[33:34]
	v_add_co_u32_e32 v33, vcc, s6, v33
	v_addc_co_u32_e32 v34, vcc, v24, v34, vcc
	global_load_dwordx2 v[33:34], v[33:34], off
	v_add_co_u32_e32 v13, vcc, s17, v13
	v_addc_co_u32_e32 v14, vcc, 0, v14, vcc
	s_waitcnt vmcnt(0)
	v_fma_mix_f32 v8, v25, v33, v8 op_sel_hi:[1,1,0]
	v_fma_mix_f32 v23, v27, v33, v23 op_sel_hi:[1,1,0]
	;; [unrolled: 1-line block ×4, first 2 shown]
	v_fma_mix_f32 v8, v25, v33, v8 op_sel:[1,1,0] op_sel_hi:[1,1,0]
	v_fma_mix_f32 v23, v27, v33, v23 op_sel:[1,1,0] op_sel_hi:[1,1,0]
	;; [unrolled: 1-line block ×4, first 2 shown]
	v_fma_mix_f32 v8, v26, v34, v8 op_sel_hi:[1,1,0]
	v_fma_mix_f32 v23, v28, v34, v23 op_sel_hi:[1,1,0]
	;; [unrolled: 1-line block ×4, first 2 shown]
	v_fma_mix_f32 v8, v26, v34, v8 op_sel:[1,1,0] op_sel_hi:[1,1,0]
	v_fma_mix_f32 v23, v28, v34, v23 op_sel:[1,1,0] op_sel_hi:[1,1,0]
	v_fma_mix_f32 v22, v30, v34, v22 op_sel:[1,1,0] op_sel_hi:[1,1,0]
	v_fma_mix_f32 v7, v32, v34, v7 op_sel:[1,1,0] op_sel_hi:[1,1,0]
	s_andn2_b64 exec, exec, s[14:15]
	s_cbranch_execnz .LBB97_17
; %bb.18:
	s_or_b64 exec, exec, s[14:15]
.LBB97_19:
	s_or_b64 exec, exec, s[10:11]
	v_cmp_lt_u64_e32 vcc, 47, v[15:16]
	s_and_saveexec_b64 s[10:11], vcc
	s_cbranch_execz .LBB97_23
; %bb.20:
	v_lshlrev_b64 v[15:16], 2, v[11:12]
	v_mov_b32_e32 v17, s13
	v_add_co_u32_e32 v15, vcc, s12, v15
	v_addc_co_u32_e32 v16, vcc, v17, v16, vcc
	v_add_co_u32_e32 v15, vcc, 0x80, v15
	v_addc_co_u32_e32 v16, vcc, 0, v16, vcc
	s_mov_b64 s[14:15], 0
	v_mov_b32_e32 v17, s7
	s_movk_i32 s17, 0x800
.LBB97_21:                              ; =>This Inner Loop Header: Depth=1
	global_load_dword v18, v[15:16], off offset:-128
	global_load_dword v19, v[15:16], off offset:-64
	global_load_dword v20, v[15:16], off
	global_load_dword v36, v[15:16], off offset:64
	global_load_dwordx4 v[24:27], v[13:14], off
	global_load_dwordx4 v[28:31], v[13:14], off offset:16
	global_load_dwordx4 v[32:35], v[13:14], off offset:512
	s_waitcnt vmcnt(6)
	v_subrev_u32_e32 v18, s20, v18
	s_waitcnt vmcnt(5)
	v_subrev_u32_e32 v19, s20, v19
	v_lshlrev_b32_e32 v18, 2, v18
	s_waitcnt vmcnt(3)
	v_subrev_u32_e32 v37, s20, v36
	v_lshlrev_b32_e32 v36, 2, v19
	v_ashrrev_i32_e32 v19, 31, v18
	v_lshlrev_b64 v[18:19], 1, v[18:19]
	v_subrev_u32_e32 v20, s20, v20
	v_lshlrev_b32_e32 v40, 2, v37
	v_ashrrev_i32_e32 v37, 31, v36
	v_lshlrev_b32_e32 v38, 2, v20
	v_lshlrev_b64 v[36:37], 1, v[36:37]
	v_add_co_u32_e32 v18, vcc, s6, v18
	v_ashrrev_i32_e32 v39, 31, v38
	v_addc_co_u32_e32 v19, vcc, v17, v19, vcc
	v_lshlrev_b64 v[38:39], 1, v[38:39]
	v_add_co_u32_e32 v36, vcc, s6, v36
	v_ashrrev_i32_e32 v41, 31, v40
	v_addc_co_u32_e32 v37, vcc, v17, v37, vcc
	v_lshlrev_b64 v[40:41], 1, v[40:41]
	v_add_co_u32_e32 v38, vcc, s6, v38
	v_addc_co_u32_e32 v39, vcc, v17, v39, vcc
	v_add_co_u32_e32 v40, vcc, s6, v40
	v_addc_co_u32_e32 v41, vcc, v17, v41, vcc
	global_load_dwordx2 v[42:43], v[18:19], off
	global_load_dwordx2 v[44:45], v[36:37], off
	global_load_dwordx2 v[46:47], v[38:39], off
	global_load_dwordx2 v[48:49], v[40:41], off
	s_waitcnt vmcnt(3)
	v_fma_mix_f32 v8, v24, v42, v8 op_sel_hi:[1,1,0]
	v_fma_mix_f32 v8, v24, v42, v8 op_sel:[1,1,0] op_sel_hi:[1,1,0]
	v_fma_mix_f32 v18, v26, v42, v23 op_sel_hi:[1,1,0]
	v_fma_mix_f32 v8, v25, v43, v8 op_sel_hi:[1,1,0]
	v_fma_mix_f32 v18, v26, v42, v18 op_sel:[1,1,0] op_sel_hi:[1,1,0]
	v_fma_mix_f32 v8, v25, v43, v8 op_sel:[1,1,0] op_sel_hi:[1,1,0]
	global_load_dwordx4 v[23:26], v[13:14], off offset:528
	v_fma_mix_f32 v19, v28, v42, v22 op_sel_hi:[1,1,0]
	v_fma_mix_f32 v7, v30, v42, v7 op_sel_hi:[1,1,0]
	v_fma_mix_f32 v19, v28, v42, v19 op_sel:[1,1,0] op_sel_hi:[1,1,0]
	v_fma_mix_f32 v7, v30, v42, v7 op_sel:[1,1,0] op_sel_hi:[1,1,0]
	v_fma_mix_f32 v18, v27, v43, v18 op_sel_hi:[1,1,0]
	v_fma_mix_f32 v19, v29, v43, v19 op_sel_hi:[1,1,0]
	;; [unrolled: 1-line block ×3, first 2 shown]
	v_fma_mix_f32 v18, v27, v43, v18 op_sel:[1,1,0] op_sel_hi:[1,1,0]
	v_fma_mix_f32 v19, v29, v43, v19 op_sel:[1,1,0] op_sel_hi:[1,1,0]
	;; [unrolled: 1-line block ×3, first 2 shown]
	global_load_dwordx4 v[27:30], v[13:14], off offset:1024
	global_load_dwordx4 v[36:39], v[13:14], off offset:1040
	s_waitcnt vmcnt(5)
	v_fma_mix_f32 v8, v32, v44, v8 op_sel_hi:[1,1,0]
	v_fma_mix_f32 v8, v32, v44, v8 op_sel:[1,1,0] op_sel_hi:[1,1,0]
	v_fma_mix_f32 v18, v34, v44, v18 op_sel_hi:[1,1,0]
	v_fma_mix_f32 v8, v33, v45, v8 op_sel_hi:[1,1,0]
	v_fma_mix_f32 v18, v34, v44, v18 op_sel:[1,1,0] op_sel_hi:[1,1,0]
	v_fma_mix_f32 v8, v33, v45, v8 op_sel:[1,1,0] op_sel_hi:[1,1,0]
	global_load_dwordx4 v[31:34], v[13:14], off offset:1536
	v_fma_mix_f32 v18, v35, v45, v18 op_sel_hi:[1,1,0]
	v_fma_mix_f32 v18, v35, v45, v18 op_sel:[1,1,0] op_sel_hi:[1,1,0]
	s_waitcnt vmcnt(3)
	v_fma_mix_f32 v19, v23, v44, v19 op_sel_hi:[1,1,0]
	v_fma_mix_f32 v7, v25, v44, v7 op_sel_hi:[1,1,0]
	v_fma_mix_f32 v19, v23, v44, v19 op_sel:[1,1,0] op_sel_hi:[1,1,0]
	v_fma_mix_f32 v7, v25, v44, v7 op_sel:[1,1,0] op_sel_hi:[1,1,0]
	v_fma_mix_f32 v19, v24, v45, v19 op_sel_hi:[1,1,0]
	v_fma_mix_f32 v7, v26, v45, v7 op_sel_hi:[1,1,0]
	v_fma_mix_f32 v19, v24, v45, v19 op_sel:[1,1,0] op_sel_hi:[1,1,0]
	v_fma_mix_f32 v7, v26, v45, v7 op_sel:[1,1,0] op_sel_hi:[1,1,0]
	global_load_dwordx4 v[23:26], v[13:14], off offset:1552
	v_add_co_u32_e32 v13, vcc, s17, v13
	s_waitcnt vmcnt(3)
	v_fma_mix_f32 v8, v27, v46, v8 op_sel_hi:[1,1,0]
	v_fma_mix_f32 v18, v29, v46, v18 op_sel_hi:[1,1,0]
	s_waitcnt vmcnt(2)
	v_fma_mix_f32 v19, v36, v46, v19 op_sel_hi:[1,1,0]
	v_fma_mix_f32 v7, v38, v46, v7 op_sel_hi:[1,1,0]
	v_fma_mix_f32 v8, v27, v46, v8 op_sel:[1,1,0] op_sel_hi:[1,1,0]
	v_fma_mix_f32 v18, v29, v46, v18 op_sel:[1,1,0] op_sel_hi:[1,1,0]
	;; [unrolled: 1-line block ×4, first 2 shown]
	v_fma_mix_f32 v8, v28, v47, v8 op_sel_hi:[1,1,0]
	v_fma_mix_f32 v18, v30, v47, v18 op_sel_hi:[1,1,0]
	;; [unrolled: 1-line block ×4, first 2 shown]
	s_mov_b64 s[2:3], vcc
	v_add_co_u32_e32 v11, vcc, 64, v11
	v_fma_mix_f32 v8, v28, v47, v8 op_sel:[1,1,0] op_sel_hi:[1,1,0]
	v_fma_mix_f32 v18, v30, v47, v18 op_sel:[1,1,0] op_sel_hi:[1,1,0]
	;; [unrolled: 1-line block ×4, first 2 shown]
	v_addc_co_u32_e32 v12, vcc, 0, v12, vcc
	v_addc_co_u32_e64 v14, s[2:3], 0, v14, s[2:3]
	s_waitcnt vmcnt(1)
	v_fma_mix_f32 v8, v31, v48, v8 op_sel_hi:[1,1,0]
	v_fma_mix_f32 v18, v33, v48, v18 op_sel_hi:[1,1,0]
	v_cmp_ge_i64_e64 s[2:3], v[11:12], v[2:3]
	v_fma_mix_f32 v8, v31, v48, v8 op_sel:[1,1,0] op_sel_hi:[1,1,0]
	v_fma_mix_f32 v18, v33, v48, v18 op_sel:[1,1,0] op_sel_hi:[1,1,0]
	v_add_co_u32_e32 v15, vcc, 0x100, v15
	v_fma_mix_f32 v8, v32, v49, v8 op_sel_hi:[1,1,0]
	v_fma_mix_f32 v18, v34, v49, v18 op_sel_hi:[1,1,0]
	v_addc_co_u32_e32 v16, vcc, 0, v16, vcc
	s_or_b64 s[14:15], s[2:3], s[14:15]
	v_fma_mix_f32 v8, v32, v49, v8 op_sel:[1,1,0] op_sel_hi:[1,1,0]
	s_waitcnt vmcnt(0)
	v_fma_mix_f32 v19, v23, v48, v19 op_sel_hi:[1,1,0]
	v_fma_mix_f32 v7, v25, v48, v7 op_sel_hi:[1,1,0]
	v_fma_mix_f32 v19, v23, v48, v19 op_sel:[1,1,0] op_sel_hi:[1,1,0]
	v_fma_mix_f32 v7, v25, v48, v7 op_sel:[1,1,0] op_sel_hi:[1,1,0]
	v_fma_mix_f32 v19, v24, v49, v19 op_sel_hi:[1,1,0]
	v_fma_mix_f32 v7, v26, v49, v7 op_sel_hi:[1,1,0]
	v_fma_mix_f32 v23, v34, v49, v18 op_sel:[1,1,0] op_sel_hi:[1,1,0]
	v_fma_mix_f32 v22, v24, v49, v19 op_sel:[1,1,0] op_sel_hi:[1,1,0]
	;; [unrolled: 1-line block ×3, first 2 shown]
	s_andn2_b64 exec, exec, s[14:15]
	s_cbranch_execnz .LBB97_21
; %bb.22:
	s_or_b64 exec, exec, s[14:15]
.LBB97_23:
	s_or_b64 exec, exec, s[10:11]
.LBB97_24:
	s_or_b64 exec, exec, s[8:9]
	s_cbranch_execz .LBB97_26
	s_branch .LBB97_37
.LBB97_25:
                                        ; implicit-def: $vgpr7
                                        ; implicit-def: $vgpr22
                                        ; implicit-def: $vgpr23
                                        ; implicit-def: $vgpr8
.LBB97_26:
	v_mov_b32_e32 v7, 0
	v_mov_b32_e32 v22, 0
	;; [unrolled: 1-line block ×4, first 2 shown]
	s_and_saveexec_b64 s[2:3], s[0:1]
	s_cbranch_execz .LBB97_36
; %bb.27:
	v_or_b32_e32 v7, 16, v21
	v_subrev_co_u32_e32 v7, vcc, s20, v7
	v_subb_co_u32_e64 v8, s[0:1], 0, 0, vcc
	v_add_co_u32_e32 v7, vcc, v7, v9
	v_addc_co_u32_e32 v8, vcc, v8, v10, vcc
	v_cmp_gt_i64_e32 vcc, v[7:8], v[2:3]
	v_not_b32_e32 v9, v9
	v_cndmask_b32_e32 v8, v3, v8, vcc
	v_cndmask_b32_e32 v7, v2, v7, vcc
	v_sub_co_u32_e32 v11, vcc, s20, v21
	v_not_b32_e32 v10, v10
	v_subb_co_u32_e64 v12, s[0:1], 0, 0, vcc
	v_add_co_u32_e32 v9, vcc, v11, v9
	v_addc_co_u32_e32 v10, vcc, v12, v10, vcc
	v_add_co_u32_e32 v9, vcc, v9, v7
	v_addc_co_u32_e32 v10, vcc, v10, v8, vcc
	v_and_b32_e32 v7, 48, v9
	v_mov_b32_e32 v8, 0
	v_cmp_ne_u64_e32 vcc, 48, v[7:8]
	v_mov_b32_e32 v23, v8
	v_mov_b32_e32 v22, v8
	v_mov_b32_e32 v7, v8
	s_and_saveexec_b64 s[8:9], vcc
	s_cbranch_execz .LBB97_31
; %bb.28:
	v_lshlrev_b64 v[11:12], 2, v[0:1]
	v_lshrrev_b32_e32 v7, 4, v9
	v_add_u32_e32 v7, 1, v7
	v_mov_b32_e32 v13, s13
	v_add_co_u32_e32 v11, vcc, s12, v11
	v_and_b32_e32 v8, 3, v7
	v_addc_co_u32_e32 v12, vcc, v13, v12, vcc
	v_sub_co_u32_e32 v13, vcc, 0, v8
	v_mov_b32_e32 v7, 0
	s_mov_b64 s[10:11], 0
	v_subb_co_u32_e64 v14, s[0:1], 0, 0, vcc
	s_movk_i32 s14, 0x200
	v_mov_b32_e32 v15, s7
	v_mov_b32_e32 v22, 0
	;; [unrolled: 1-line block ×4, first 2 shown]
.LBB97_29:                              ; =>This Inner Loop Header: Depth=1
	global_load_dword v20, v[11:12], off
	global_load_dwordx4 v[16:19], v[5:6], off
	v_add_co_u32_e64 v0, s[0:1], 16, v0
	v_addc_co_u32_e64 v1, s[0:1], 0, v1, s[0:1]
	v_add_co_u32_e64 v11, s[0:1], 64, v11
	v_addc_co_u32_e64 v12, s[0:1], 0, v12, s[0:1]
	v_add_co_u32_e64 v13, s[0:1], 1, v13
	v_addc_co_u32_e64 v14, s[0:1], 0, v14, s[0:1]
	v_cmp_eq_u64_e64 s[0:1], 0, v[13:14]
	s_or_b64 s[10:11], s[0:1], s[10:11]
	s_waitcnt vmcnt(1)
	v_subrev_u32_e32 v20, s20, v20
	v_lshlrev_b32_e32 v24, 2, v20
	v_ashrrev_i32_e32 v25, 31, v24
	v_lshlrev_b64 v[24:25], 1, v[24:25]
	v_add_co_u32_e32 v28, vcc, s6, v24
	v_addc_co_u32_e32 v29, vcc, v15, v25, vcc
	global_load_dwordx2 v[30:31], v[28:29], off
	global_load_dwordx4 v[24:27], v[5:6], off offset:16
	v_add_co_u32_e32 v5, vcc, s14, v5
	v_addc_co_u32_e32 v6, vcc, 0, v6, vcc
	s_waitcnt vmcnt(1)
	v_fma_mix_f32 v8, v16, v30, v8 op_sel_hi:[1,1,0]
	v_fma_mix_f32 v16, v16, v30, v23 op_sel:[1,0,0] op_sel_hi:[1,1,0]
	v_fma_mix_f32 v20, v17, v30, v22 op_sel_hi:[1,1,0]
	v_fma_mix_f32 v7, v17, v30, v7 op_sel:[1,0,0] op_sel_hi:[1,1,0]
	v_fma_mix_f32 v8, v18, v30, v8 op_sel:[0,1,0] op_sel_hi:[1,1,0]
	;; [unrolled: 1-line block ×5, first 2 shown]
	s_waitcnt vmcnt(0)
	v_fma_mix_f32 v8, v24, v31, v8 op_sel_hi:[1,1,0]
	v_fma_mix_f32 v16, v24, v31, v16 op_sel:[1,0,0] op_sel_hi:[1,1,0]
	v_fma_mix_f32 v17, v25, v31, v17 op_sel_hi:[1,1,0]
	v_fma_mix_f32 v7, v25, v31, v7 op_sel:[1,0,0] op_sel_hi:[1,1,0]
	v_fma_mix_f32 v8, v26, v31, v8 op_sel:[0,1,0] op_sel_hi:[1,1,0]
	;; [unrolled: 1-line block ×5, first 2 shown]
	s_andn2_b64 exec, exec, s[10:11]
	s_cbranch_execnz .LBB97_29
; %bb.30:
	s_or_b64 exec, exec, s[10:11]
.LBB97_31:
	s_or_b64 exec, exec, s[8:9]
	v_cmp_lt_u64_e32 vcc, 47, v[9:10]
	s_and_saveexec_b64 s[8:9], vcc
	s_cbranch_execz .LBB97_35
; %bb.32:
	v_lshlrev_b64 v[9:10], 2, v[0:1]
	v_mov_b32_e32 v11, s13
	v_add_co_u32_e32 v9, vcc, s12, v9
	v_addc_co_u32_e32 v10, vcc, v11, v10, vcc
	v_add_co_u32_e32 v9, vcc, 0x80, v9
	v_addc_co_u32_e32 v10, vcc, 0, v10, vcc
	s_mov_b64 s[10:11], 0
	v_mov_b32_e32 v11, s7
	s_movk_i32 s7, 0x800
.LBB97_33:                              ; =>This Inner Loop Header: Depth=1
	global_load_dword v20, v[9:10], off offset:-128
	global_load_dword v28, v[9:10], off offset:-64
	global_load_dword v29, v[9:10], off
	global_load_dword v30, v[9:10], off offset:64
	global_load_dwordx4 v[12:15], v[5:6], off
	global_load_dwordx4 v[16:19], v[5:6], off offset:16
	global_load_dwordx4 v[24:27], v[5:6], off offset:512
	v_add_co_u32_e64 v0, s[0:1], 64, v0
	v_addc_co_u32_e64 v1, s[0:1], 0, v1, s[0:1]
	v_cmp_ge_i64_e64 s[0:1], v[0:1], v[2:3]
	s_or_b64 s[10:11], s[0:1], s[10:11]
	s_waitcnt vmcnt(6)
	v_subrev_u32_e32 v20, s20, v20
	s_waitcnt vmcnt(5)
	v_subrev_u32_e32 v31, s20, v28
	;; [unrolled: 2-line block ×3, first 2 shown]
	v_lshlrev_b32_e32 v28, 2, v20
	v_lshlrev_b32_e32 v32, 2, v29
	v_ashrrev_i32_e32 v29, 31, v28
	s_waitcnt vmcnt(3)
	v_subrev_u32_e32 v33, s20, v30
	v_lshlrev_b32_e32 v30, 2, v31
	v_lshlrev_b64 v[28:29], 1, v[28:29]
	v_ashrrev_i32_e32 v31, 31, v30
	v_lshlrev_b64 v[30:31], 1, v[30:31]
	v_add_co_u32_e32 v28, vcc, s6, v28
	v_lshlrev_b32_e32 v34, 2, v33
	v_ashrrev_i32_e32 v33, 31, v32
	v_addc_co_u32_e32 v29, vcc, v11, v29, vcc
	v_lshlrev_b64 v[32:33], 1, v[32:33]
	v_add_co_u32_e32 v30, vcc, s6, v30
	v_ashrrev_i32_e32 v35, 31, v34
	v_addc_co_u32_e32 v31, vcc, v11, v31, vcc
	v_lshlrev_b64 v[34:35], 1, v[34:35]
	v_add_co_u32_e32 v32, vcc, s6, v32
	v_addc_co_u32_e32 v33, vcc, v11, v33, vcc
	v_add_co_u32_e32 v34, vcc, s6, v34
	v_addc_co_u32_e32 v35, vcc, v11, v35, vcc
	global_load_dwordx2 v[36:37], v[28:29], off
	global_load_dwordx2 v[38:39], v[30:31], off
	;; [unrolled: 1-line block ×4, first 2 shown]
	s_waitcnt vmcnt(3)
	v_fma_mix_f32 v8, v12, v36, v8 op_sel_hi:[1,1,0]
	v_fma_mix_f32 v12, v12, v36, v23 op_sel:[1,0,0] op_sel_hi:[1,1,0]
	v_fma_mix_f32 v20, v13, v36, v22 op_sel_hi:[1,1,0]
	v_fma_mix_f32 v7, v13, v36, v7 op_sel:[1,0,0] op_sel_hi:[1,1,0]
	v_fma_mix_f32 v8, v14, v36, v8 op_sel:[0,1,0] op_sel_hi:[1,1,0]
	;; [unrolled: 1-line block ×5, first 2 shown]
	global_load_dwordx4 v[12:15], v[5:6], off offset:528
	v_fma_mix_f32 v8, v16, v37, v8 op_sel_hi:[1,1,0]
	v_fma_mix_f32 v16, v16, v37, v22 op_sel:[1,0,0] op_sel_hi:[1,1,0]
	v_fma_mix_f32 v20, v17, v37, v20 op_sel_hi:[1,1,0]
	v_fma_mix_f32 v7, v17, v37, v7 op_sel:[1,0,0] op_sel_hi:[1,1,0]
	v_fma_mix_f32 v8, v18, v37, v8 op_sel:[0,1,0] op_sel_hi:[1,1,0]
	;; [unrolled: 1-line block ×5, first 2 shown]
	global_load_dwordx4 v[16:19], v[5:6], off offset:1024
	global_load_dwordx4 v[28:31], v[5:6], off offset:1040
	s_waitcnt vmcnt(5)
	v_fma_mix_f32 v8, v24, v38, v8 op_sel_hi:[1,1,0]
	v_fma_mix_f32 v22, v24, v38, v22 op_sel:[1,0,0] op_sel_hi:[1,1,0]
	v_fma_mix_f32 v20, v25, v38, v20 op_sel_hi:[1,1,0]
	v_fma_mix_f32 v7, v25, v38, v7 op_sel:[1,0,0] op_sel_hi:[1,1,0]
	v_fma_mix_f32 v8, v26, v38, v8 op_sel:[0,1,0] op_sel_hi:[1,1,0]
	v_fma_mix_f32 v26, v26, v38, v22 op_sel:[1,1,0] op_sel_hi:[1,1,0]
	v_fma_mix_f32 v20, v27, v38, v20 op_sel:[0,1,0] op_sel_hi:[1,1,0]
	v_fma_mix_f32 v7, v27, v38, v7 op_sel:[1,1,0] op_sel_hi:[1,1,0]
	global_load_dwordx4 v[22:25], v[5:6], off offset:1536
	s_waitcnt vmcnt(3)
	v_fma_mix_f32 v8, v12, v39, v8 op_sel_hi:[1,1,0]
	v_fma_mix_f32 v12, v12, v39, v26 op_sel:[1,0,0] op_sel_hi:[1,1,0]
	v_fma_mix_f32 v20, v13, v39, v20 op_sel_hi:[1,1,0]
	v_fma_mix_f32 v7, v13, v39, v7 op_sel:[1,0,0] op_sel_hi:[1,1,0]
	v_fma_mix_f32 v8, v14, v39, v8 op_sel:[0,1,0] op_sel_hi:[1,1,0]
	v_fma_mix_f32 v26, v14, v39, v12 op_sel:[1,1,0] op_sel_hi:[1,1,0]
	v_fma_mix_f32 v20, v15, v39, v20 op_sel:[0,1,0] op_sel_hi:[1,1,0]
	v_fma_mix_f32 v7, v15, v39, v7 op_sel:[1,1,0] op_sel_hi:[1,1,0]
	;; [unrolled: 10-line block ×3, first 2 shown]
	s_waitcnt vmcnt(2)
	v_fma_mix_f32 v8, v28, v41, v8 op_sel_hi:[1,1,0]
	v_fma_mix_f32 v16, v28, v41, v16 op_sel:[1,0,0] op_sel_hi:[1,1,0]
	v_fma_mix_f32 v17, v29, v41, v17 op_sel_hi:[1,1,0]
	v_fma_mix_f32 v7, v29, v41, v7 op_sel:[1,0,0] op_sel_hi:[1,1,0]
	v_fma_mix_f32 v8, v30, v41, v8 op_sel:[0,1,0] op_sel_hi:[1,1,0]
	;; [unrolled: 1-line block ×5, first 2 shown]
	v_add_co_u32_e32 v5, vcc, s7, v5
	s_waitcnt vmcnt(1)
	v_fma_mix_f32 v8, v22, v42, v8 op_sel_hi:[1,1,0]
	v_fma_mix_f32 v16, v22, v42, v16 op_sel:[1,0,0] op_sel_hi:[1,1,0]
	v_fma_mix_f32 v17, v23, v42, v17 op_sel_hi:[1,1,0]
	v_fma_mix_f32 v7, v23, v42, v7 op_sel:[1,0,0] op_sel_hi:[1,1,0]
	v_addc_co_u32_e32 v6, vcc, 0, v6, vcc
	v_fma_mix_f32 v8, v24, v42, v8 op_sel:[0,1,0] op_sel_hi:[1,1,0]
	v_fma_mix_f32 v16, v24, v42, v16 op_sel:[1,1,0] op_sel_hi:[1,1,0]
	;; [unrolled: 1-line block ×4, first 2 shown]
	v_add_co_u32_e32 v9, vcc, 0x100, v9
	v_addc_co_u32_e32 v10, vcc, 0, v10, vcc
	s_waitcnt vmcnt(0)
	v_fma_mix_f32 v8, v12, v43, v8 op_sel_hi:[1,1,0]
	v_fma_mix_f32 v12, v12, v43, v16 op_sel:[1,0,0] op_sel_hi:[1,1,0]
	v_fma_mix_f32 v16, v13, v43, v17 op_sel_hi:[1,1,0]
	v_fma_mix_f32 v7, v13, v43, v7 op_sel:[1,0,0] op_sel_hi:[1,1,0]
	v_fma_mix_f32 v8, v14, v43, v8 op_sel:[0,1,0] op_sel_hi:[1,1,0]
	;; [unrolled: 1-line block ×5, first 2 shown]
	s_andn2_b64 exec, exec, s[10:11]
	s_cbranch_execnz .LBB97_33
; %bb.34:
	s_or_b64 exec, exec, s[10:11]
.LBB97_35:
	s_or_b64 exec, exec, s[8:9]
.LBB97_36:
	s_or_b64 exec, exec, s[2:3]
.LBB97_37:
	v_mov_b32_dpp v0, v8 row_shr:1 row_mask:0xf bank_mask:0xf
	v_add_f32_e32 v0, v8, v0
	v_mov_b32_dpp v2, v23 row_shr:1 row_mask:0xf bank_mask:0xf
	v_mov_b32_dpp v5, v22 row_shr:1 row_mask:0xf bank_mask:0xf
	;; [unrolled: 1-line block ×3, first 2 shown]
	v_add_f32_e32 v2, v23, v2
	v_add_f32_e32 v5, v22, v5
	;; [unrolled: 1-line block ×3, first 2 shown]
	v_mov_b32_dpp v1, v0 row_shr:2 row_mask:0xf bank_mask:0xf
	v_mov_b32_dpp v3, v2 row_shr:2 row_mask:0xf bank_mask:0xf
	;; [unrolled: 1-line block ×4, first 2 shown]
	v_add_f32_e32 v0, v0, v1
	v_add_f32_e32 v2, v2, v3
	;; [unrolled: 1-line block ×4, first 2 shown]
	v_mov_b32_dpp v1, v0 row_shr:4 row_mask:0xf bank_mask:0xe
	v_mov_b32_dpp v3, v2 row_shr:4 row_mask:0xf bank_mask:0xe
	;; [unrolled: 1-line block ×4, first 2 shown]
	v_add_f32_e32 v0, v0, v1
	v_add_f32_e32 v2, v2, v3
	;; [unrolled: 1-line block ×4, first 2 shown]
	v_mov_b32_dpp v1, v0 row_shr:8 row_mask:0xf bank_mask:0xc
	v_mov_b32_dpp v3, v2 row_shr:8 row_mask:0xf bank_mask:0xc
	;; [unrolled: 1-line block ×4, first 2 shown]
	v_cmp_eq_u32_e32 vcc, 15, v21
	s_and_b64 exec, exec, vcc
	s_cbranch_execz .LBB97_10
; %bb.38:
	s_load_dwordx2 s[0:1], s[4:5], 0x50
	v_add_f32_e32 v0, v0, v1
	v_add_f32_e32 v1, v2, v3
	;; [unrolled: 1-line block ×4, first 2 shown]
	v_cmp_eq_f32_e64 s[2:3], s16, 0
	s_and_b64 vcc, exec, s[2:3]
	v_mul_f32_e32 v0, s18, v0
	v_mul_f32_e32 v1, s18, v1
	v_mul_f32_e32 v2, s18, v2
	v_mul_f32_e32 v3, s18, v3
	v_lshlrev_b32_e32 v4, 2, v4
	s_cbranch_vccz .LBB97_40
; %bb.39:
	v_ashrrev_i32_e32 v5, 31, v4
	v_lshlrev_b64 v[5:6], 2, v[4:5]
	s_waitcnt lgkmcnt(0)
	v_mov_b32_e32 v7, s1
	v_add_co_u32_e32 v5, vcc, s0, v5
	v_addc_co_u32_e32 v6, vcc, v7, v6, vcc
	global_store_dwordx4 v[5:6], v[0:3], off
	s_cbranch_execnz .LBB97_10
	s_branch .LBB97_41
.LBB97_40:
.LBB97_41:
	v_ashrrev_i32_e32 v5, 31, v4
	v_lshlrev_b64 v[4:5], 2, v[4:5]
	s_waitcnt lgkmcnt(0)
	v_mov_b32_e32 v6, s1
	v_add_co_u32_e32 v8, vcc, s0, v4
	v_addc_co_u32_e32 v9, vcc, v6, v5, vcc
	global_load_dwordx4 v[4:7], v[8:9], off
	s_waitcnt vmcnt(0)
	v_fmac_f32_e32 v0, s16, v4
	v_fmac_f32_e32 v1, s16, v5
	;; [unrolled: 1-line block ×4, first 2 shown]
	global_store_dwordx4 v[8:9], v[0:3], off
	s_endpgm
	.section	.rodata,"a",@progbits
	.p2align	6, 0x0
	.amdhsa_kernel _ZN9rocsparseL18bsrxmvn_4x4_kernelILj128ELj16EfliDF16_DF16_fEEvT3_20rocsparse_direction_NS_24const_host_device_scalarIT1_EES1_PKS1_PKT2_SA_S7_PKT4_PKT5_S5_PT6_21rocsparse_index_base_b
		.amdhsa_group_segment_fixed_size 0
		.amdhsa_private_segment_fixed_size 0
		.amdhsa_kernarg_size 96
		.amdhsa_user_sgpr_count 6
		.amdhsa_user_sgpr_private_segment_buffer 1
		.amdhsa_user_sgpr_dispatch_ptr 0
		.amdhsa_user_sgpr_queue_ptr 0
		.amdhsa_user_sgpr_kernarg_segment_ptr 1
		.amdhsa_user_sgpr_dispatch_id 0
		.amdhsa_user_sgpr_flat_scratch_init 0
		.amdhsa_user_sgpr_private_segment_size 0
		.amdhsa_uses_dynamic_stack 0
		.amdhsa_system_sgpr_private_segment_wavefront_offset 0
		.amdhsa_system_sgpr_workgroup_id_x 1
		.amdhsa_system_sgpr_workgroup_id_y 0
		.amdhsa_system_sgpr_workgroup_id_z 0
		.amdhsa_system_sgpr_workgroup_info 0
		.amdhsa_system_vgpr_workitem_id 0
		.amdhsa_next_free_vgpr 50
		.amdhsa_next_free_sgpr 22
		.amdhsa_reserve_vcc 1
		.amdhsa_reserve_flat_scratch 0
		.amdhsa_float_round_mode_32 0
		.amdhsa_float_round_mode_16_64 0
		.amdhsa_float_denorm_mode_32 3
		.amdhsa_float_denorm_mode_16_64 3
		.amdhsa_dx10_clamp 1
		.amdhsa_ieee_mode 1
		.amdhsa_fp16_overflow 0
		.amdhsa_exception_fp_ieee_invalid_op 0
		.amdhsa_exception_fp_denorm_src 0
		.amdhsa_exception_fp_ieee_div_zero 0
		.amdhsa_exception_fp_ieee_overflow 0
		.amdhsa_exception_fp_ieee_underflow 0
		.amdhsa_exception_fp_ieee_inexact 0
		.amdhsa_exception_int_div_zero 0
	.end_amdhsa_kernel
	.section	.text._ZN9rocsparseL18bsrxmvn_4x4_kernelILj128ELj16EfliDF16_DF16_fEEvT3_20rocsparse_direction_NS_24const_host_device_scalarIT1_EES1_PKS1_PKT2_SA_S7_PKT4_PKT5_S5_PT6_21rocsparse_index_base_b,"axG",@progbits,_ZN9rocsparseL18bsrxmvn_4x4_kernelILj128ELj16EfliDF16_DF16_fEEvT3_20rocsparse_direction_NS_24const_host_device_scalarIT1_EES1_PKS1_PKT2_SA_S7_PKT4_PKT5_S5_PT6_21rocsparse_index_base_b,comdat
.Lfunc_end97:
	.size	_ZN9rocsparseL18bsrxmvn_4x4_kernelILj128ELj16EfliDF16_DF16_fEEvT3_20rocsparse_direction_NS_24const_host_device_scalarIT1_EES1_PKS1_PKT2_SA_S7_PKT4_PKT5_S5_PT6_21rocsparse_index_base_b, .Lfunc_end97-_ZN9rocsparseL18bsrxmvn_4x4_kernelILj128ELj16EfliDF16_DF16_fEEvT3_20rocsparse_direction_NS_24const_host_device_scalarIT1_EES1_PKS1_PKT2_SA_S7_PKT4_PKT5_S5_PT6_21rocsparse_index_base_b
                                        ; -- End function
	.set _ZN9rocsparseL18bsrxmvn_4x4_kernelILj128ELj16EfliDF16_DF16_fEEvT3_20rocsparse_direction_NS_24const_host_device_scalarIT1_EES1_PKS1_PKT2_SA_S7_PKT4_PKT5_S5_PT6_21rocsparse_index_base_b.num_vgpr, 50
	.set _ZN9rocsparseL18bsrxmvn_4x4_kernelILj128ELj16EfliDF16_DF16_fEEvT3_20rocsparse_direction_NS_24const_host_device_scalarIT1_EES1_PKS1_PKT2_SA_S7_PKT4_PKT5_S5_PT6_21rocsparse_index_base_b.num_agpr, 0
	.set _ZN9rocsparseL18bsrxmvn_4x4_kernelILj128ELj16EfliDF16_DF16_fEEvT3_20rocsparse_direction_NS_24const_host_device_scalarIT1_EES1_PKS1_PKT2_SA_S7_PKT4_PKT5_S5_PT6_21rocsparse_index_base_b.numbered_sgpr, 22
	.set _ZN9rocsparseL18bsrxmvn_4x4_kernelILj128ELj16EfliDF16_DF16_fEEvT3_20rocsparse_direction_NS_24const_host_device_scalarIT1_EES1_PKS1_PKT2_SA_S7_PKT4_PKT5_S5_PT6_21rocsparse_index_base_b.num_named_barrier, 0
	.set _ZN9rocsparseL18bsrxmvn_4x4_kernelILj128ELj16EfliDF16_DF16_fEEvT3_20rocsparse_direction_NS_24const_host_device_scalarIT1_EES1_PKS1_PKT2_SA_S7_PKT4_PKT5_S5_PT6_21rocsparse_index_base_b.private_seg_size, 0
	.set _ZN9rocsparseL18bsrxmvn_4x4_kernelILj128ELj16EfliDF16_DF16_fEEvT3_20rocsparse_direction_NS_24const_host_device_scalarIT1_EES1_PKS1_PKT2_SA_S7_PKT4_PKT5_S5_PT6_21rocsparse_index_base_b.uses_vcc, 1
	.set _ZN9rocsparseL18bsrxmvn_4x4_kernelILj128ELj16EfliDF16_DF16_fEEvT3_20rocsparse_direction_NS_24const_host_device_scalarIT1_EES1_PKS1_PKT2_SA_S7_PKT4_PKT5_S5_PT6_21rocsparse_index_base_b.uses_flat_scratch, 0
	.set _ZN9rocsparseL18bsrxmvn_4x4_kernelILj128ELj16EfliDF16_DF16_fEEvT3_20rocsparse_direction_NS_24const_host_device_scalarIT1_EES1_PKS1_PKT2_SA_S7_PKT4_PKT5_S5_PT6_21rocsparse_index_base_b.has_dyn_sized_stack, 0
	.set _ZN9rocsparseL18bsrxmvn_4x4_kernelILj128ELj16EfliDF16_DF16_fEEvT3_20rocsparse_direction_NS_24const_host_device_scalarIT1_EES1_PKS1_PKT2_SA_S7_PKT4_PKT5_S5_PT6_21rocsparse_index_base_b.has_recursion, 0
	.set _ZN9rocsparseL18bsrxmvn_4x4_kernelILj128ELj16EfliDF16_DF16_fEEvT3_20rocsparse_direction_NS_24const_host_device_scalarIT1_EES1_PKS1_PKT2_SA_S7_PKT4_PKT5_S5_PT6_21rocsparse_index_base_b.has_indirect_call, 0
	.section	.AMDGPU.csdata,"",@progbits
; Kernel info:
; codeLenInByte = 3640
; TotalNumSgprs: 26
; NumVgprs: 50
; ScratchSize: 0
; MemoryBound: 0
; FloatMode: 240
; IeeeMode: 1
; LDSByteSize: 0 bytes/workgroup (compile time only)
; SGPRBlocks: 3
; VGPRBlocks: 12
; NumSGPRsForWavesPerEU: 26
; NumVGPRsForWavesPerEU: 50
; Occupancy: 4
; WaveLimiterHint : 1
; COMPUTE_PGM_RSRC2:SCRATCH_EN: 0
; COMPUTE_PGM_RSRC2:USER_SGPR: 6
; COMPUTE_PGM_RSRC2:TRAP_HANDLER: 0
; COMPUTE_PGM_RSRC2:TGID_X_EN: 1
; COMPUTE_PGM_RSRC2:TGID_Y_EN: 0
; COMPUTE_PGM_RSRC2:TGID_Z_EN: 0
; COMPUTE_PGM_RSRC2:TIDIG_COMP_CNT: 0
	.section	.text._ZN9rocsparseL18bsrxmvn_4x4_kernelILj128ELj32EfliDF16_DF16_fEEvT3_20rocsparse_direction_NS_24const_host_device_scalarIT1_EES1_PKS1_PKT2_SA_S7_PKT4_PKT5_S5_PT6_21rocsparse_index_base_b,"axG",@progbits,_ZN9rocsparseL18bsrxmvn_4x4_kernelILj128ELj32EfliDF16_DF16_fEEvT3_20rocsparse_direction_NS_24const_host_device_scalarIT1_EES1_PKS1_PKT2_SA_S7_PKT4_PKT5_S5_PT6_21rocsparse_index_base_b,comdat
	.globl	_ZN9rocsparseL18bsrxmvn_4x4_kernelILj128ELj32EfliDF16_DF16_fEEvT3_20rocsparse_direction_NS_24const_host_device_scalarIT1_EES1_PKS1_PKT2_SA_S7_PKT4_PKT5_S5_PT6_21rocsparse_index_base_b ; -- Begin function _ZN9rocsparseL18bsrxmvn_4x4_kernelILj128ELj32EfliDF16_DF16_fEEvT3_20rocsparse_direction_NS_24const_host_device_scalarIT1_EES1_PKS1_PKT2_SA_S7_PKT4_PKT5_S5_PT6_21rocsparse_index_base_b
	.p2align	8
	.type	_ZN9rocsparseL18bsrxmvn_4x4_kernelILj128ELj32EfliDF16_DF16_fEEvT3_20rocsparse_direction_NS_24const_host_device_scalarIT1_EES1_PKS1_PKT2_SA_S7_PKT4_PKT5_S5_PT6_21rocsparse_index_base_b,@function
_ZN9rocsparseL18bsrxmvn_4x4_kernelILj128ELj32EfliDF16_DF16_fEEvT3_20rocsparse_direction_NS_24const_host_device_scalarIT1_EES1_PKS1_PKT2_SA_S7_PKT4_PKT5_S5_PT6_21rocsparse_index_base_b: ; @_ZN9rocsparseL18bsrxmvn_4x4_kernelILj128ELj32EfliDF16_DF16_fEEvT3_20rocsparse_direction_NS_24const_host_device_scalarIT1_EES1_PKS1_PKT2_SA_S7_PKT4_PKT5_S5_PT6_21rocsparse_index_base_b
; %bb.0:
	s_load_dwordx2 s[20:21], s[4:5], 0x58
	s_load_dwordx2 s[18:19], s[4:5], 0x8
	;; [unrolled: 1-line block ×3, first 2 shown]
	s_waitcnt lgkmcnt(0)
	s_bitcmp1_b32 s21, 0
	s_cselect_b64 s[2:3], -1, 0
	s_xor_b64 s[0:1], s[2:3], -1
	s_and_b64 vcc, exec, s[2:3]
	s_cbranch_vccnz .LBB98_2
; %bb.1:
	s_load_dword s18, s[18:19], 0x0
.LBB98_2:
	s_andn2_b64 vcc, exec, s[0:1]
	s_cbranch_vccnz .LBB98_4
; %bb.3:
	s_load_dword s16, s[16:17], 0x0
.LBB98_4:
	s_waitcnt lgkmcnt(0)
	v_cmp_neq_f32_e64 s[0:1], s18, 0
	v_cmp_neq_f32_e64 s[2:3], s16, 1.0
	s_or_b64 s[0:1], s[0:1], s[2:3]
	s_andn2_b64 vcc, exec, s[0:1]
	s_cbranch_vccnz .LBB98_10
; %bb.5:
	s_load_dwordx2 s[8:9], s[4:5], 0x18
	s_load_dwordx2 s[0:1], s[4:5], 0x0
	v_lshrrev_b32_e32 v1, 5, v0
	v_lshl_or_b32 v4, s6, 2, v1
	s_mov_b64 s[2:3], 0
	s_waitcnt lgkmcnt(0)
	s_cmp_lg_u64 s[8:9], 0
	s_cbranch_scc0 .LBB98_11
; %bb.6:
	s_load_dword s6, s[4:5], 0x10
                                        ; implicit-def: $vgpr1
	s_waitcnt lgkmcnt(0)
	v_cmp_gt_i32_e32 vcc, s6, v4
	s_and_saveexec_b64 s[6:7], vcc
	s_xor_b64 s[6:7], exec, s[6:7]
	s_cbranch_execz .LBB98_8
; %bb.7:
	v_ashrrev_i32_e32 v5, 31, v4
	v_lshlrev_b64 v[1:2], 2, v[4:5]
	v_mov_b32_e32 v3, s9
	v_add_co_u32_e32 v1, vcc, s8, v1
	v_addc_co_u32_e32 v2, vcc, v3, v2, vcc
	global_load_dword v1, v[1:2], off
	s_mov_b64 s[2:3], exec
	s_waitcnt vmcnt(0)
	v_subrev_u32_e32 v1, s20, v1
.LBB98_8:
	s_or_b64 exec, exec, s[6:7]
	s_branch .LBB98_12
.LBB98_9:
	v_cmp_gt_i32_e32 vcc, s0, v4
	s_andn2_b64 s[2:3], s[2:3], exec
	s_and_b64 s[6:7], vcc, exec
	s_or_b64 s[2:3], s[2:3], s[6:7]
	s_and_saveexec_b64 s[6:7], s[2:3]
	s_cbranch_execnz .LBB98_13
.LBB98_10:
	s_endpgm
.LBB98_11:
                                        ; implicit-def: $vgpr1
	s_cbranch_execnz .LBB98_9
.LBB98_12:
	v_mov_b32_e32 v4, v1
	s_and_saveexec_b64 s[6:7], s[2:3]
	s_cbranch_execz .LBB98_10
.LBB98_13:
	s_load_dwordx8 s[8:15], s[4:5], 0x20
	v_ashrrev_i32_e32 v5, 31, v4
	v_lshlrev_b64 v[1:2], 3, v[4:5]
	v_and_b32_e32 v21, 31, v0
	v_mov_b32_e32 v7, 0
	s_waitcnt lgkmcnt(0)
	v_mov_b32_e32 v3, s9
	v_add_co_u32_e32 v5, vcc, s8, v1
	v_addc_co_u32_e32 v6, vcc, v3, v2, vcc
	v_add_co_u32_e32 v3, vcc, 8, v5
	global_load_dwordx2 v[9:10], v[5:6], off
	v_addc_co_u32_e32 v5, vcc, 0, v6, vcc
	v_mov_b32_e32 v6, s11
	v_add_co_u32_e32 v1, vcc, s10, v1
	s_cmp_eq_u64 s[10:11], 0
	v_addc_co_u32_e32 v2, vcc, v6, v2, vcc
	s_cselect_b64 vcc, -1, 0
	v_cndmask_b32_e32 v2, v2, v5, vcc
	v_cndmask_b32_e32 v1, v1, v3, vcc
	global_load_dwordx2 v[2:3], v[1:2], off
	s_load_dwordx2 s[8:9], s[4:5], 0x40
	v_mov_b32_e32 v8, s15
	s_cmp_eq_u32 s1, 1
	s_waitcnt vmcnt(1)
	v_subrev_co_u32_e32 v0, vcc, s20, v9
	v_subbrev_co_u32_e32 v1, vcc, 0, v10, vcc
	v_add_co_u32_e32 v0, vcc, v0, v21
	v_addc_co_u32_e32 v1, vcc, 0, v1, vcc
	v_lshlrev_b64 v[5:6], 5, v[0:1]
	s_waitcnt vmcnt(0)
	v_subrev_co_u32_e32 v2, vcc, s20, v2
	v_subbrev_co_u32_e32 v3, vcc, 0, v3, vcc
	v_cmp_lt_i64_e64 s[0:1], v[0:1], v[2:3]
	v_add_co_u32_e32 v5, vcc, s14, v5
	v_addc_co_u32_e32 v6, vcc, v8, v6, vcc
	s_cbranch_scc1 .LBB98_25
; %bb.14:
	v_mov_b32_e32 v22, 0
	v_mov_b32_e32 v23, 0
	;; [unrolled: 1-line block ×3, first 2 shown]
	s_and_saveexec_b64 s[10:11], s[0:1]
	s_cbranch_execz .LBB98_24
; %bb.15:
	v_or_b32_e32 v7, 32, v21
	v_subrev_co_u32_e32 v7, vcc, s20, v7
	v_subb_co_u32_e64 v8, s[2:3], 0, 0, vcc
	v_add_co_u32_e32 v7, vcc, v7, v9
	v_addc_co_u32_e32 v8, vcc, v8, v10, vcc
	v_cmp_gt_i64_e32 vcc, v[7:8], v[2:3]
	v_not_b32_e32 v12, v9
	v_cndmask_b32_e32 v8, v3, v8, vcc
	v_cndmask_b32_e32 v7, v2, v7, vcc
	v_sub_co_u32_e32 v13, vcc, s20, v21
	v_not_b32_e32 v11, v10
	v_subb_co_u32_e64 v14, s[2:3], 0, 0, vcc
	v_add_co_u32_e32 v12, vcc, v13, v12
	v_addc_co_u32_e32 v11, vcc, v14, v11, vcc
	v_add_co_u32_e32 v15, vcc, v12, v7
	v_addc_co_u32_e32 v16, vcc, v11, v8, vcc
	v_and_b32_e32 v7, 0x60, v15
	v_mov_b32_e32 v8, 0
	s_mov_b64 s[2:3], 0x60
	v_cmp_ne_u64_e32 vcc, s[2:3], v[7:8]
	v_mov_b32_e32 v12, v1
	v_mov_b32_e32 v14, v6
	;; [unrolled: 1-line block ×7, first 2 shown]
	s_and_saveexec_b64 s[6:7], vcc
	s_cbranch_execz .LBB98_19
; %bb.16:
	v_lshlrev_b64 v[11:12], 2, v[0:1]
	v_lshrrev_b32_e32 v7, 5, v15
	v_add_u32_e32 v7, 1, v7
	v_mov_b32_e32 v13, s13
	v_add_co_u32_e32 v17, vcc, s12, v11
	v_and_b32_e32 v8, 3, v7
	v_addc_co_u32_e32 v18, vcc, v13, v12, vcc
	v_sub_co_u32_e32 v19, vcc, 0, v8
	v_mov_b32_e32 v14, v6
	v_mov_b32_e32 v12, v1
	;; [unrolled: 1-line block ×3, first 2 shown]
	s_mov_b64 s[14:15], 0
	v_subb_co_u32_e64 v20, s[2:3], 0, 0, vcc
	s_movk_i32 s17, 0x400
	s_waitcnt lgkmcnt(0)
	v_mov_b32_e32 v24, s9
	v_mov_b32_e32 v13, v5
	;; [unrolled: 1-line block ×6, first 2 shown]
.LBB98_17:                              ; =>This Inner Loop Header: Depth=1
	global_load_dword v33, v[17:18], off
	global_load_dwordx4 v[25:28], v[13:14], off
	global_load_dwordx4 v[29:32], v[13:14], off offset:16
	v_add_co_u32_e64 v11, s[2:3], 32, v11
	v_addc_co_u32_e64 v12, s[2:3], 0, v12, s[2:3]
	v_add_co_u32_e64 v19, s[2:3], 1, v19
	v_addc_co_u32_e64 v20, s[2:3], 0, v20, s[2:3]
	v_cmp_eq_u64_e64 s[2:3], 0, v[19:20]
	s_or_b64 s[14:15], s[2:3], s[14:15]
	s_waitcnt vmcnt(2)
	v_subrev_u32_e32 v33, s20, v33
	v_lshlrev_b32_e32 v33, 2, v33
	v_ashrrev_i32_e32 v34, 31, v33
	v_lshlrev_b64 v[33:34], 1, v[33:34]
	v_add_co_u32_e32 v33, vcc, s8, v33
	v_addc_co_u32_e32 v34, vcc, v24, v34, vcc
	global_load_dwordx2 v[33:34], v[33:34], off
	v_add_co_u32_e32 v13, vcc, s17, v13
	v_addc_co_u32_e32 v14, vcc, 0, v14, vcc
	v_add_co_u32_e32 v17, vcc, 0x80, v17
	v_addc_co_u32_e32 v18, vcc, 0, v18, vcc
	s_waitcnt vmcnt(0)
	v_fma_mix_f32 v8, v25, v33, v8 op_sel_hi:[1,1,0]
	v_fma_mix_f32 v23, v27, v33, v23 op_sel_hi:[1,1,0]
	v_fma_mix_f32 v22, v29, v33, v22 op_sel_hi:[1,1,0]
	v_fma_mix_f32 v7, v31, v33, v7 op_sel_hi:[1,1,0]
	v_fma_mix_f32 v8, v25, v33, v8 op_sel:[1,1,0] op_sel_hi:[1,1,0]
	v_fma_mix_f32 v23, v27, v33, v23 op_sel:[1,1,0] op_sel_hi:[1,1,0]
	;; [unrolled: 1-line block ×4, first 2 shown]
	v_fma_mix_f32 v8, v26, v34, v8 op_sel_hi:[1,1,0]
	v_fma_mix_f32 v23, v28, v34, v23 op_sel_hi:[1,1,0]
	;; [unrolled: 1-line block ×4, first 2 shown]
	v_fma_mix_f32 v8, v26, v34, v8 op_sel:[1,1,0] op_sel_hi:[1,1,0]
	v_fma_mix_f32 v23, v28, v34, v23 op_sel:[1,1,0] op_sel_hi:[1,1,0]
	;; [unrolled: 1-line block ×4, first 2 shown]
	s_andn2_b64 exec, exec, s[14:15]
	s_cbranch_execnz .LBB98_17
; %bb.18:
	s_or_b64 exec, exec, s[14:15]
.LBB98_19:
	s_or_b64 exec, exec, s[6:7]
	s_mov_b64 s[2:3], 0x5f
	v_cmp_lt_u64_e32 vcc, s[2:3], v[15:16]
	s_and_saveexec_b64 s[14:15], vcc
	s_cbranch_execz .LBB98_23
; %bb.20:
	v_lshlrev_b64 v[15:16], 2, v[11:12]
	v_mov_b32_e32 v17, s13
	v_add_co_u32_e32 v15, vcc, s12, v15
	v_addc_co_u32_e32 v16, vcc, v17, v16, vcc
	v_add_co_u32_e32 v15, vcc, 0x100, v15
	v_addc_co_u32_e32 v16, vcc, 0, v16, vcc
	s_mov_b64 s[22:23], 0
	s_waitcnt lgkmcnt(0)
	v_mov_b32_e32 v17, s9
	s_movk_i32 s17, 0x1000
.LBB98_21:                              ; =>This Inner Loop Header: Depth=1
	global_load_dword v18, v[15:16], off offset:-256
	global_load_dword v19, v[15:16], off offset:-128
	global_load_dword v20, v[15:16], off
	global_load_dword v36, v[15:16], off offset:128
	global_load_dwordx4 v[24:27], v[13:14], off
	global_load_dwordx4 v[28:31], v[13:14], off offset:16
	global_load_dwordx4 v[32:35], v[13:14], off offset:1024
	s_waitcnt vmcnt(6)
	v_subrev_u32_e32 v18, s20, v18
	s_waitcnt vmcnt(5)
	v_subrev_u32_e32 v19, s20, v19
	v_lshlrev_b32_e32 v18, 2, v18
	s_waitcnt vmcnt(3)
	v_subrev_u32_e32 v37, s20, v36
	v_lshlrev_b32_e32 v36, 2, v19
	v_ashrrev_i32_e32 v19, 31, v18
	v_lshlrev_b64 v[18:19], 1, v[18:19]
	v_subrev_u32_e32 v20, s20, v20
	v_lshlrev_b32_e32 v40, 2, v37
	v_ashrrev_i32_e32 v37, 31, v36
	v_lshlrev_b32_e32 v38, 2, v20
	v_lshlrev_b64 v[36:37], 1, v[36:37]
	v_add_co_u32_e32 v18, vcc, s8, v18
	v_ashrrev_i32_e32 v39, 31, v38
	v_addc_co_u32_e32 v19, vcc, v17, v19, vcc
	v_lshlrev_b64 v[38:39], 1, v[38:39]
	v_add_co_u32_e32 v36, vcc, s8, v36
	v_ashrrev_i32_e32 v41, 31, v40
	v_addc_co_u32_e32 v37, vcc, v17, v37, vcc
	v_lshlrev_b64 v[40:41], 1, v[40:41]
	v_add_co_u32_e32 v38, vcc, s8, v38
	v_addc_co_u32_e32 v39, vcc, v17, v39, vcc
	v_add_co_u32_e32 v40, vcc, s8, v40
	v_addc_co_u32_e32 v41, vcc, v17, v41, vcc
	global_load_dwordx2 v[42:43], v[18:19], off
	global_load_dwordx2 v[44:45], v[36:37], off
	;; [unrolled: 1-line block ×4, first 2 shown]
	s_waitcnt vmcnt(3)
	v_fma_mix_f32 v8, v24, v42, v8 op_sel_hi:[1,1,0]
	v_fma_mix_f32 v8, v24, v42, v8 op_sel:[1,1,0] op_sel_hi:[1,1,0]
	v_fma_mix_f32 v18, v26, v42, v23 op_sel_hi:[1,1,0]
	v_fma_mix_f32 v8, v25, v43, v8 op_sel_hi:[1,1,0]
	v_fma_mix_f32 v18, v26, v42, v18 op_sel:[1,1,0] op_sel_hi:[1,1,0]
	v_fma_mix_f32 v8, v25, v43, v8 op_sel:[1,1,0] op_sel_hi:[1,1,0]
	global_load_dwordx4 v[23:26], v[13:14], off offset:1040
	v_fma_mix_f32 v19, v28, v42, v22 op_sel_hi:[1,1,0]
	v_fma_mix_f32 v7, v30, v42, v7 op_sel_hi:[1,1,0]
	v_fma_mix_f32 v19, v28, v42, v19 op_sel:[1,1,0] op_sel_hi:[1,1,0]
	v_fma_mix_f32 v7, v30, v42, v7 op_sel:[1,1,0] op_sel_hi:[1,1,0]
	v_fma_mix_f32 v18, v27, v43, v18 op_sel_hi:[1,1,0]
	v_fma_mix_f32 v19, v29, v43, v19 op_sel_hi:[1,1,0]
	;; [unrolled: 1-line block ×3, first 2 shown]
	v_fma_mix_f32 v18, v27, v43, v18 op_sel:[1,1,0] op_sel_hi:[1,1,0]
	v_fma_mix_f32 v19, v29, v43, v19 op_sel:[1,1,0] op_sel_hi:[1,1,0]
	;; [unrolled: 1-line block ×3, first 2 shown]
	global_load_dwordx4 v[27:30], v[13:14], off offset:2048
	global_load_dwordx4 v[36:39], v[13:14], off offset:2064
	s_waitcnt vmcnt(5)
	v_fma_mix_f32 v8, v32, v44, v8 op_sel_hi:[1,1,0]
	v_fma_mix_f32 v8, v32, v44, v8 op_sel:[1,1,0] op_sel_hi:[1,1,0]
	v_fma_mix_f32 v18, v34, v44, v18 op_sel_hi:[1,1,0]
	v_fma_mix_f32 v8, v33, v45, v8 op_sel_hi:[1,1,0]
	v_fma_mix_f32 v18, v34, v44, v18 op_sel:[1,1,0] op_sel_hi:[1,1,0]
	v_fma_mix_f32 v8, v33, v45, v8 op_sel:[1,1,0] op_sel_hi:[1,1,0]
	global_load_dwordx4 v[31:34], v[13:14], off offset:3072
	v_fma_mix_f32 v18, v35, v45, v18 op_sel_hi:[1,1,0]
	v_fma_mix_f32 v18, v35, v45, v18 op_sel:[1,1,0] op_sel_hi:[1,1,0]
	s_waitcnt vmcnt(3)
	v_fma_mix_f32 v19, v23, v44, v19 op_sel_hi:[1,1,0]
	v_fma_mix_f32 v7, v25, v44, v7 op_sel_hi:[1,1,0]
	v_fma_mix_f32 v19, v23, v44, v19 op_sel:[1,1,0] op_sel_hi:[1,1,0]
	v_fma_mix_f32 v7, v25, v44, v7 op_sel:[1,1,0] op_sel_hi:[1,1,0]
	v_fma_mix_f32 v19, v24, v45, v19 op_sel_hi:[1,1,0]
	v_fma_mix_f32 v7, v26, v45, v7 op_sel_hi:[1,1,0]
	v_fma_mix_f32 v19, v24, v45, v19 op_sel:[1,1,0] op_sel_hi:[1,1,0]
	v_fma_mix_f32 v7, v26, v45, v7 op_sel:[1,1,0] op_sel_hi:[1,1,0]
	global_load_dwordx4 v[23:26], v[13:14], off offset:3088
	v_add_co_u32_e32 v13, vcc, s17, v13
	s_waitcnt vmcnt(3)
	v_fma_mix_f32 v8, v27, v46, v8 op_sel_hi:[1,1,0]
	v_fma_mix_f32 v18, v29, v46, v18 op_sel_hi:[1,1,0]
	s_waitcnt vmcnt(2)
	v_fma_mix_f32 v19, v36, v46, v19 op_sel_hi:[1,1,0]
	v_fma_mix_f32 v7, v38, v46, v7 op_sel_hi:[1,1,0]
	v_fma_mix_f32 v8, v27, v46, v8 op_sel:[1,1,0] op_sel_hi:[1,1,0]
	v_fma_mix_f32 v18, v29, v46, v18 op_sel:[1,1,0] op_sel_hi:[1,1,0]
	v_fma_mix_f32 v19, v36, v46, v19 op_sel:[1,1,0] op_sel_hi:[1,1,0]
	v_fma_mix_f32 v7, v38, v46, v7 op_sel:[1,1,0] op_sel_hi:[1,1,0]
	s_mov_b64 s[2:3], vcc
	v_add_co_u32_e32 v11, vcc, 0x80, v11
	v_fma_mix_f32 v8, v28, v47, v8 op_sel_hi:[1,1,0]
	v_fma_mix_f32 v18, v30, v47, v18 op_sel_hi:[1,1,0]
	;; [unrolled: 1-line block ×4, first 2 shown]
	s_mov_b64 s[6:7], vcc
	v_fma_mix_f32 v8, v28, v47, v8 op_sel:[1,1,0] op_sel_hi:[1,1,0]
	v_fma_mix_f32 v18, v30, v47, v18 op_sel:[1,1,0] op_sel_hi:[1,1,0]
	;; [unrolled: 1-line block ×4, first 2 shown]
	v_addc_co_u32_e64 v14, vcc, 0, v14, s[2:3]
	v_addc_co_u32_e64 v12, s[2:3], 0, v12, s[6:7]
	s_waitcnt vmcnt(1)
	v_fma_mix_f32 v8, v31, v48, v8 op_sel_hi:[1,1,0]
	v_fma_mix_f32 v18, v33, v48, v18 op_sel_hi:[1,1,0]
	v_cmp_ge_i64_e64 s[2:3], v[11:12], v[2:3]
	v_fma_mix_f32 v8, v31, v48, v8 op_sel:[1,1,0] op_sel_hi:[1,1,0]
	v_fma_mix_f32 v18, v33, v48, v18 op_sel:[1,1,0] op_sel_hi:[1,1,0]
	v_add_co_u32_e32 v15, vcc, 0x200, v15
	v_fma_mix_f32 v8, v32, v49, v8 op_sel_hi:[1,1,0]
	v_fma_mix_f32 v18, v34, v49, v18 op_sel_hi:[1,1,0]
	v_addc_co_u32_e32 v16, vcc, 0, v16, vcc
	s_or_b64 s[22:23], s[2:3], s[22:23]
	v_fma_mix_f32 v8, v32, v49, v8 op_sel:[1,1,0] op_sel_hi:[1,1,0]
	s_waitcnt vmcnt(0)
	v_fma_mix_f32 v19, v23, v48, v19 op_sel_hi:[1,1,0]
	v_fma_mix_f32 v7, v25, v48, v7 op_sel_hi:[1,1,0]
	v_fma_mix_f32 v19, v23, v48, v19 op_sel:[1,1,0] op_sel_hi:[1,1,0]
	v_fma_mix_f32 v7, v25, v48, v7 op_sel:[1,1,0] op_sel_hi:[1,1,0]
	v_fma_mix_f32 v19, v24, v49, v19 op_sel_hi:[1,1,0]
	v_fma_mix_f32 v7, v26, v49, v7 op_sel_hi:[1,1,0]
	v_fma_mix_f32 v23, v34, v49, v18 op_sel:[1,1,0] op_sel_hi:[1,1,0]
	v_fma_mix_f32 v22, v24, v49, v19 op_sel:[1,1,0] op_sel_hi:[1,1,0]
	;; [unrolled: 1-line block ×3, first 2 shown]
	s_andn2_b64 exec, exec, s[22:23]
	s_cbranch_execnz .LBB98_21
; %bb.22:
	s_or_b64 exec, exec, s[22:23]
.LBB98_23:
	s_or_b64 exec, exec, s[14:15]
.LBB98_24:
	s_or_b64 exec, exec, s[10:11]
	s_cbranch_execz .LBB98_26
	s_branch .LBB98_37
.LBB98_25:
                                        ; implicit-def: $vgpr7
                                        ; implicit-def: $vgpr22
                                        ; implicit-def: $vgpr23
                                        ; implicit-def: $vgpr8
.LBB98_26:
	v_mov_b32_e32 v7, 0
	v_mov_b32_e32 v22, 0
	;; [unrolled: 1-line block ×4, first 2 shown]
	s_and_saveexec_b64 s[2:3], s[0:1]
	s_cbranch_execz .LBB98_36
; %bb.27:
	v_or_b32_e32 v7, 32, v21
	v_subrev_co_u32_e32 v7, vcc, s20, v7
	v_subb_co_u32_e64 v8, s[0:1], 0, 0, vcc
	v_add_co_u32_e32 v7, vcc, v7, v9
	v_addc_co_u32_e32 v8, vcc, v8, v10, vcc
	v_cmp_gt_i64_e32 vcc, v[7:8], v[2:3]
	v_not_b32_e32 v9, v9
	v_cndmask_b32_e32 v8, v3, v8, vcc
	v_cndmask_b32_e32 v7, v2, v7, vcc
	v_sub_co_u32_e32 v11, vcc, s20, v21
	v_not_b32_e32 v10, v10
	v_subb_co_u32_e64 v12, s[0:1], 0, 0, vcc
	v_add_co_u32_e32 v9, vcc, v11, v9
	v_addc_co_u32_e32 v10, vcc, v12, v10, vcc
	v_add_co_u32_e32 v9, vcc, v9, v7
	v_addc_co_u32_e32 v10, vcc, v10, v8, vcc
	v_and_b32_e32 v7, 0x60, v9
	v_mov_b32_e32 v8, 0
	s_mov_b64 s[0:1], 0x60
	v_cmp_ne_u64_e32 vcc, s[0:1], v[7:8]
	v_mov_b32_e32 v23, v8
	v_mov_b32_e32 v22, v8
	;; [unrolled: 1-line block ×3, first 2 shown]
	s_and_saveexec_b64 s[6:7], vcc
	s_cbranch_execz .LBB98_31
; %bb.28:
	v_lshlrev_b64 v[11:12], 2, v[0:1]
	v_lshrrev_b32_e32 v7, 5, v9
	v_add_u32_e32 v7, 1, v7
	v_mov_b32_e32 v13, s13
	v_add_co_u32_e32 v11, vcc, s12, v11
	v_and_b32_e32 v8, 3, v7
	v_addc_co_u32_e32 v12, vcc, v13, v12, vcc
	v_sub_co_u32_e32 v13, vcc, 0, v8
	v_mov_b32_e32 v7, 0
	s_mov_b64 s[10:11], 0
	v_subb_co_u32_e64 v14, s[0:1], 0, 0, vcc
	s_movk_i32 s14, 0x400
	s_waitcnt lgkmcnt(0)
	v_mov_b32_e32 v15, s9
	v_mov_b32_e32 v22, 0
	;; [unrolled: 1-line block ×4, first 2 shown]
.LBB98_29:                              ; =>This Inner Loop Header: Depth=1
	global_load_dword v20, v[11:12], off
	global_load_dwordx4 v[16:19], v[5:6], off
	v_add_co_u32_e64 v0, s[0:1], 32, v0
	v_addc_co_u32_e64 v1, s[0:1], 0, v1, s[0:1]
	v_add_co_u32_e64 v13, s[0:1], 1, v13
	v_addc_co_u32_e64 v14, s[0:1], 0, v14, s[0:1]
	v_cmp_eq_u64_e64 s[0:1], 0, v[13:14]
	s_or_b64 s[10:11], s[0:1], s[10:11]
	s_waitcnt vmcnt(1)
	v_subrev_u32_e32 v20, s20, v20
	v_lshlrev_b32_e32 v24, 2, v20
	v_ashrrev_i32_e32 v25, 31, v24
	v_lshlrev_b64 v[24:25], 1, v[24:25]
	v_add_co_u32_e32 v28, vcc, s8, v24
	v_addc_co_u32_e32 v29, vcc, v15, v25, vcc
	global_load_dwordx2 v[30:31], v[28:29], off
	global_load_dwordx4 v[24:27], v[5:6], off offset:16
	v_add_co_u32_e32 v5, vcc, s14, v5
	v_addc_co_u32_e32 v6, vcc, 0, v6, vcc
	v_add_co_u32_e32 v11, vcc, 0x80, v11
	v_addc_co_u32_e32 v12, vcc, 0, v12, vcc
	s_waitcnt vmcnt(1)
	v_fma_mix_f32 v8, v16, v30, v8 op_sel_hi:[1,1,0]
	v_fma_mix_f32 v16, v16, v30, v23 op_sel:[1,0,0] op_sel_hi:[1,1,0]
	v_fma_mix_f32 v20, v17, v30, v22 op_sel_hi:[1,1,0]
	v_fma_mix_f32 v7, v17, v30, v7 op_sel:[1,0,0] op_sel_hi:[1,1,0]
	v_fma_mix_f32 v8, v18, v30, v8 op_sel:[0,1,0] op_sel_hi:[1,1,0]
	;; [unrolled: 1-line block ×5, first 2 shown]
	s_waitcnt vmcnt(0)
	v_fma_mix_f32 v8, v24, v31, v8 op_sel_hi:[1,1,0]
	v_fma_mix_f32 v16, v24, v31, v16 op_sel:[1,0,0] op_sel_hi:[1,1,0]
	v_fma_mix_f32 v17, v25, v31, v17 op_sel_hi:[1,1,0]
	v_fma_mix_f32 v7, v25, v31, v7 op_sel:[1,0,0] op_sel_hi:[1,1,0]
	v_fma_mix_f32 v8, v26, v31, v8 op_sel:[0,1,0] op_sel_hi:[1,1,0]
	;; [unrolled: 1-line block ×5, first 2 shown]
	s_andn2_b64 exec, exec, s[10:11]
	s_cbranch_execnz .LBB98_29
; %bb.30:
	s_or_b64 exec, exec, s[10:11]
.LBB98_31:
	s_or_b64 exec, exec, s[6:7]
	s_mov_b64 s[0:1], 0x5f
	v_cmp_lt_u64_e32 vcc, s[0:1], v[9:10]
	s_and_saveexec_b64 s[6:7], vcc
	s_cbranch_execz .LBB98_35
; %bb.32:
	v_lshlrev_b64 v[9:10], 2, v[0:1]
	v_mov_b32_e32 v11, s13
	v_add_co_u32_e32 v9, vcc, s12, v9
	v_addc_co_u32_e32 v10, vcc, v11, v10, vcc
	v_add_co_u32_e32 v9, vcc, 0x100, v9
	v_addc_co_u32_e32 v10, vcc, 0, v10, vcc
	s_mov_b64 s[10:11], 0
	s_waitcnt lgkmcnt(0)
	v_mov_b32_e32 v11, s9
	s_movk_i32 s9, 0x1000
.LBB98_33:                              ; =>This Inner Loop Header: Depth=1
	global_load_dword v20, v[9:10], off offset:-256
	global_load_dword v28, v[9:10], off offset:-128
	global_load_dword v29, v[9:10], off
	global_load_dword v30, v[9:10], off offset:128
	global_load_dwordx4 v[12:15], v[5:6], off
	global_load_dwordx4 v[16:19], v[5:6], off offset:16
	global_load_dwordx4 v[24:27], v[5:6], off offset:1024
	s_waitcnt vmcnt(6)
	v_subrev_u32_e32 v20, s20, v20
	s_waitcnt vmcnt(5)
	v_subrev_u32_e32 v31, s20, v28
	;; [unrolled: 2-line block ×3, first 2 shown]
	v_lshlrev_b32_e32 v28, 2, v20
	v_lshlrev_b32_e32 v32, 2, v29
	v_ashrrev_i32_e32 v29, 31, v28
	s_waitcnt vmcnt(3)
	v_subrev_u32_e32 v33, s20, v30
	v_lshlrev_b32_e32 v30, 2, v31
	v_lshlrev_b64 v[28:29], 1, v[28:29]
	v_ashrrev_i32_e32 v31, 31, v30
	v_lshlrev_b64 v[30:31], 1, v[30:31]
	v_add_co_u32_e32 v28, vcc, s8, v28
	v_lshlrev_b32_e32 v34, 2, v33
	v_ashrrev_i32_e32 v33, 31, v32
	v_addc_co_u32_e32 v29, vcc, v11, v29, vcc
	v_lshlrev_b64 v[32:33], 1, v[32:33]
	v_add_co_u32_e32 v30, vcc, s8, v30
	v_ashrrev_i32_e32 v35, 31, v34
	v_addc_co_u32_e32 v31, vcc, v11, v31, vcc
	v_lshlrev_b64 v[34:35], 1, v[34:35]
	v_add_co_u32_e32 v32, vcc, s8, v32
	v_addc_co_u32_e32 v33, vcc, v11, v33, vcc
	v_add_co_u32_e32 v34, vcc, s8, v34
	v_addc_co_u32_e32 v35, vcc, v11, v35, vcc
	global_load_dwordx2 v[36:37], v[28:29], off
	global_load_dwordx2 v[38:39], v[30:31], off
	;; [unrolled: 1-line block ×4, first 2 shown]
	s_waitcnt vmcnt(3)
	v_fma_mix_f32 v8, v12, v36, v8 op_sel_hi:[1,1,0]
	v_fma_mix_f32 v12, v12, v36, v23 op_sel:[1,0,0] op_sel_hi:[1,1,0]
	v_fma_mix_f32 v20, v13, v36, v22 op_sel_hi:[1,1,0]
	v_fma_mix_f32 v7, v13, v36, v7 op_sel:[1,0,0] op_sel_hi:[1,1,0]
	v_fma_mix_f32 v8, v14, v36, v8 op_sel:[0,1,0] op_sel_hi:[1,1,0]
	;; [unrolled: 1-line block ×5, first 2 shown]
	global_load_dwordx4 v[12:15], v[5:6], off offset:1040
	v_fma_mix_f32 v8, v16, v37, v8 op_sel_hi:[1,1,0]
	v_fma_mix_f32 v16, v16, v37, v22 op_sel:[1,0,0] op_sel_hi:[1,1,0]
	v_fma_mix_f32 v20, v17, v37, v20 op_sel_hi:[1,1,0]
	v_fma_mix_f32 v7, v17, v37, v7 op_sel:[1,0,0] op_sel_hi:[1,1,0]
	v_fma_mix_f32 v8, v18, v37, v8 op_sel:[0,1,0] op_sel_hi:[1,1,0]
	;; [unrolled: 1-line block ×5, first 2 shown]
	global_load_dwordx4 v[16:19], v[5:6], off offset:2048
	global_load_dwordx4 v[28:31], v[5:6], off offset:2064
	s_waitcnt vmcnt(5)
	v_fma_mix_f32 v8, v24, v38, v8 op_sel_hi:[1,1,0]
	v_fma_mix_f32 v22, v24, v38, v22 op_sel:[1,0,0] op_sel_hi:[1,1,0]
	v_fma_mix_f32 v20, v25, v38, v20 op_sel_hi:[1,1,0]
	v_fma_mix_f32 v7, v25, v38, v7 op_sel:[1,0,0] op_sel_hi:[1,1,0]
	v_fma_mix_f32 v8, v26, v38, v8 op_sel:[0,1,0] op_sel_hi:[1,1,0]
	;; [unrolled: 1-line block ×5, first 2 shown]
	global_load_dwordx4 v[22:25], v[5:6], off offset:3072
	s_waitcnt vmcnt(3)
	v_fma_mix_f32 v8, v12, v39, v8 op_sel_hi:[1,1,0]
	v_fma_mix_f32 v12, v12, v39, v26 op_sel:[1,0,0] op_sel_hi:[1,1,0]
	v_fma_mix_f32 v20, v13, v39, v20 op_sel_hi:[1,1,0]
	v_fma_mix_f32 v7, v13, v39, v7 op_sel:[1,0,0] op_sel_hi:[1,1,0]
	v_fma_mix_f32 v8, v14, v39, v8 op_sel:[0,1,0] op_sel_hi:[1,1,0]
	;; [unrolled: 1-line block ×5, first 2 shown]
	global_load_dwordx4 v[12:15], v[5:6], off offset:3088
	s_waitcnt vmcnt(3)
	v_fma_mix_f32 v8, v16, v40, v8 op_sel_hi:[1,1,0]
	v_fma_mix_f32 v16, v16, v40, v26 op_sel:[1,0,0] op_sel_hi:[1,1,0]
	v_fma_mix_f32 v20, v17, v40, v20 op_sel_hi:[1,1,0]
	v_fma_mix_f32 v7, v17, v40, v7 op_sel:[1,0,0] op_sel_hi:[1,1,0]
	v_add_co_u32_e32 v5, vcc, s9, v5
	v_fma_mix_f32 v8, v18, v40, v8 op_sel:[0,1,0] op_sel_hi:[1,1,0]
	v_fma_mix_f32 v16, v18, v40, v16 op_sel:[1,1,0] op_sel_hi:[1,1,0]
	;; [unrolled: 1-line block ×4, first 2 shown]
	v_addc_co_u32_e32 v6, vcc, 0, v6, vcc
	s_waitcnt vmcnt(2)
	v_fma_mix_f32 v8, v28, v41, v8 op_sel_hi:[1,1,0]
	v_fma_mix_f32 v16, v28, v41, v16 op_sel:[1,0,0] op_sel_hi:[1,1,0]
	v_fma_mix_f32 v17, v29, v41, v17 op_sel_hi:[1,1,0]
	v_fma_mix_f32 v7, v29, v41, v7 op_sel:[1,0,0] op_sel_hi:[1,1,0]
	v_add_co_u32_e32 v0, vcc, 0x80, v0
	v_fma_mix_f32 v8, v30, v41, v8 op_sel:[0,1,0] op_sel_hi:[1,1,0]
	v_fma_mix_f32 v16, v30, v41, v16 op_sel:[1,1,0] op_sel_hi:[1,1,0]
	;; [unrolled: 1-line block ×4, first 2 shown]
	v_addc_co_u32_e32 v1, vcc, 0, v1, vcc
	s_waitcnt vmcnt(1)
	v_fma_mix_f32 v8, v22, v42, v8 op_sel_hi:[1,1,0]
	v_fma_mix_f32 v16, v22, v42, v16 op_sel:[1,0,0] op_sel_hi:[1,1,0]
	v_fma_mix_f32 v17, v23, v42, v17 op_sel_hi:[1,1,0]
	v_fma_mix_f32 v7, v23, v42, v7 op_sel:[1,0,0] op_sel_hi:[1,1,0]
	v_cmp_ge_i64_e64 s[0:1], v[0:1], v[2:3]
	v_fma_mix_f32 v8, v24, v42, v8 op_sel:[0,1,0] op_sel_hi:[1,1,0]
	v_fma_mix_f32 v16, v24, v42, v16 op_sel:[1,1,0] op_sel_hi:[1,1,0]
	;; [unrolled: 1-line block ×4, first 2 shown]
	v_add_co_u32_e32 v9, vcc, 0x200, v9
	v_addc_co_u32_e32 v10, vcc, 0, v10, vcc
	s_or_b64 s[10:11], s[0:1], s[10:11]
	s_waitcnt vmcnt(0)
	v_fma_mix_f32 v8, v12, v43, v8 op_sel_hi:[1,1,0]
	v_fma_mix_f32 v12, v12, v43, v16 op_sel:[1,0,0] op_sel_hi:[1,1,0]
	v_fma_mix_f32 v16, v13, v43, v17 op_sel_hi:[1,1,0]
	v_fma_mix_f32 v7, v13, v43, v7 op_sel:[1,0,0] op_sel_hi:[1,1,0]
	v_fma_mix_f32 v8, v14, v43, v8 op_sel:[0,1,0] op_sel_hi:[1,1,0]
	v_fma_mix_f32 v23, v14, v43, v12 op_sel:[1,1,0] op_sel_hi:[1,1,0]
	v_fma_mix_f32 v22, v15, v43, v16 op_sel:[0,1,0] op_sel_hi:[1,1,0]
	v_fma_mix_f32 v7, v15, v43, v7 op_sel:[1,1,0] op_sel_hi:[1,1,0]
	s_andn2_b64 exec, exec, s[10:11]
	s_cbranch_execnz .LBB98_33
; %bb.34:
	s_or_b64 exec, exec, s[10:11]
.LBB98_35:
	s_or_b64 exec, exec, s[6:7]
.LBB98_36:
	s_or_b64 exec, exec, s[2:3]
.LBB98_37:
	v_mov_b32_dpp v0, v8 row_shr:1 row_mask:0xf bank_mask:0xf
	v_add_f32_e32 v0, v8, v0
	v_mov_b32_dpp v2, v23 row_shr:1 row_mask:0xf bank_mask:0xf
	v_mov_b32_dpp v5, v22 row_shr:1 row_mask:0xf bank_mask:0xf
	;; [unrolled: 1-line block ×3, first 2 shown]
	v_add_f32_e32 v2, v23, v2
	v_add_f32_e32 v5, v22, v5
	v_add_f32_e32 v7, v7, v8
	v_mov_b32_dpp v1, v0 row_shr:2 row_mask:0xf bank_mask:0xf
	v_mov_b32_dpp v3, v2 row_shr:2 row_mask:0xf bank_mask:0xf
	v_mov_b32_dpp v6, v5 row_shr:2 row_mask:0xf bank_mask:0xf
	v_mov_b32_dpp v8, v7 row_shr:2 row_mask:0xf bank_mask:0xf
	v_add_f32_e32 v0, v0, v1
	v_add_f32_e32 v2, v2, v3
	v_add_f32_e32 v5, v5, v6
	v_add_f32_e32 v7, v7, v8
	v_mov_b32_dpp v1, v0 row_shr:4 row_mask:0xf bank_mask:0xe
	v_mov_b32_dpp v3, v2 row_shr:4 row_mask:0xf bank_mask:0xe
	v_mov_b32_dpp v6, v5 row_shr:4 row_mask:0xf bank_mask:0xe
	v_mov_b32_dpp v8, v7 row_shr:4 row_mask:0xf bank_mask:0xe
	v_add_f32_e32 v0, v0, v1
	;; [unrolled: 8-line block ×3, first 2 shown]
	v_add_f32_e32 v2, v2, v3
	v_add_f32_e32 v5, v5, v6
	v_add_f32_e32 v7, v7, v8
	v_mov_b32_dpp v1, v0 row_bcast:15 row_mask:0xa bank_mask:0xf
	v_mov_b32_dpp v3, v2 row_bcast:15 row_mask:0xa bank_mask:0xf
	;; [unrolled: 1-line block ×4, first 2 shown]
	v_cmp_eq_u32_e32 vcc, 31, v21
	s_and_b64 exec, exec, vcc
	s_cbranch_execz .LBB98_10
; %bb.38:
	s_load_dwordx2 s[0:1], s[4:5], 0x50
	v_add_f32_e32 v0, v0, v1
	v_add_f32_e32 v1, v2, v3
	;; [unrolled: 1-line block ×4, first 2 shown]
	v_cmp_eq_f32_e64 s[2:3], s16, 0
	s_and_b64 vcc, exec, s[2:3]
	v_mul_f32_e32 v0, s18, v0
	v_mul_f32_e32 v1, s18, v1
	v_mul_f32_e32 v2, s18, v2
	v_mul_f32_e32 v3, s18, v3
	v_lshlrev_b32_e32 v4, 2, v4
	s_cbranch_vccz .LBB98_40
; %bb.39:
	v_ashrrev_i32_e32 v5, 31, v4
	v_lshlrev_b64 v[5:6], 2, v[4:5]
	s_waitcnt lgkmcnt(0)
	v_mov_b32_e32 v7, s1
	v_add_co_u32_e32 v5, vcc, s0, v5
	v_addc_co_u32_e32 v6, vcc, v7, v6, vcc
	global_store_dwordx4 v[5:6], v[0:3], off
	s_cbranch_execnz .LBB98_10
	s_branch .LBB98_41
.LBB98_40:
.LBB98_41:
	v_ashrrev_i32_e32 v5, 31, v4
	v_lshlrev_b64 v[4:5], 2, v[4:5]
	s_waitcnt lgkmcnt(0)
	v_mov_b32_e32 v6, s1
	v_add_co_u32_e32 v8, vcc, s0, v4
	v_addc_co_u32_e32 v9, vcc, v6, v5, vcc
	global_load_dwordx4 v[4:7], v[8:9], off
	s_waitcnt vmcnt(0)
	v_fmac_f32_e32 v0, s16, v4
	v_fmac_f32_e32 v1, s16, v5
	;; [unrolled: 1-line block ×4, first 2 shown]
	global_store_dwordx4 v[8:9], v[0:3], off
	s_endpgm
	.section	.rodata,"a",@progbits
	.p2align	6, 0x0
	.amdhsa_kernel _ZN9rocsparseL18bsrxmvn_4x4_kernelILj128ELj32EfliDF16_DF16_fEEvT3_20rocsparse_direction_NS_24const_host_device_scalarIT1_EES1_PKS1_PKT2_SA_S7_PKT4_PKT5_S5_PT6_21rocsparse_index_base_b
		.amdhsa_group_segment_fixed_size 0
		.amdhsa_private_segment_fixed_size 0
		.amdhsa_kernarg_size 96
		.amdhsa_user_sgpr_count 6
		.amdhsa_user_sgpr_private_segment_buffer 1
		.amdhsa_user_sgpr_dispatch_ptr 0
		.amdhsa_user_sgpr_queue_ptr 0
		.amdhsa_user_sgpr_kernarg_segment_ptr 1
		.amdhsa_user_sgpr_dispatch_id 0
		.amdhsa_user_sgpr_flat_scratch_init 0
		.amdhsa_user_sgpr_private_segment_size 0
		.amdhsa_uses_dynamic_stack 0
		.amdhsa_system_sgpr_private_segment_wavefront_offset 0
		.amdhsa_system_sgpr_workgroup_id_x 1
		.amdhsa_system_sgpr_workgroup_id_y 0
		.amdhsa_system_sgpr_workgroup_id_z 0
		.amdhsa_system_sgpr_workgroup_info 0
		.amdhsa_system_vgpr_workitem_id 0
		.amdhsa_next_free_vgpr 50
		.amdhsa_next_free_sgpr 24
		.amdhsa_reserve_vcc 1
		.amdhsa_reserve_flat_scratch 0
		.amdhsa_float_round_mode_32 0
		.amdhsa_float_round_mode_16_64 0
		.amdhsa_float_denorm_mode_32 3
		.amdhsa_float_denorm_mode_16_64 3
		.amdhsa_dx10_clamp 1
		.amdhsa_ieee_mode 1
		.amdhsa_fp16_overflow 0
		.amdhsa_exception_fp_ieee_invalid_op 0
		.amdhsa_exception_fp_denorm_src 0
		.amdhsa_exception_fp_ieee_div_zero 0
		.amdhsa_exception_fp_ieee_overflow 0
		.amdhsa_exception_fp_ieee_underflow 0
		.amdhsa_exception_fp_ieee_inexact 0
		.amdhsa_exception_int_div_zero 0
	.end_amdhsa_kernel
	.section	.text._ZN9rocsparseL18bsrxmvn_4x4_kernelILj128ELj32EfliDF16_DF16_fEEvT3_20rocsparse_direction_NS_24const_host_device_scalarIT1_EES1_PKS1_PKT2_SA_S7_PKT4_PKT5_S5_PT6_21rocsparse_index_base_b,"axG",@progbits,_ZN9rocsparseL18bsrxmvn_4x4_kernelILj128ELj32EfliDF16_DF16_fEEvT3_20rocsparse_direction_NS_24const_host_device_scalarIT1_EES1_PKS1_PKT2_SA_S7_PKT4_PKT5_S5_PT6_21rocsparse_index_base_b,comdat
.Lfunc_end98:
	.size	_ZN9rocsparseL18bsrxmvn_4x4_kernelILj128ELj32EfliDF16_DF16_fEEvT3_20rocsparse_direction_NS_24const_host_device_scalarIT1_EES1_PKS1_PKT2_SA_S7_PKT4_PKT5_S5_PT6_21rocsparse_index_base_b, .Lfunc_end98-_ZN9rocsparseL18bsrxmvn_4x4_kernelILj128ELj32EfliDF16_DF16_fEEvT3_20rocsparse_direction_NS_24const_host_device_scalarIT1_EES1_PKS1_PKT2_SA_S7_PKT4_PKT5_S5_PT6_21rocsparse_index_base_b
                                        ; -- End function
	.set _ZN9rocsparseL18bsrxmvn_4x4_kernelILj128ELj32EfliDF16_DF16_fEEvT3_20rocsparse_direction_NS_24const_host_device_scalarIT1_EES1_PKS1_PKT2_SA_S7_PKT4_PKT5_S5_PT6_21rocsparse_index_base_b.num_vgpr, 50
	.set _ZN9rocsparseL18bsrxmvn_4x4_kernelILj128ELj32EfliDF16_DF16_fEEvT3_20rocsparse_direction_NS_24const_host_device_scalarIT1_EES1_PKS1_PKT2_SA_S7_PKT4_PKT5_S5_PT6_21rocsparse_index_base_b.num_agpr, 0
	.set _ZN9rocsparseL18bsrxmvn_4x4_kernelILj128ELj32EfliDF16_DF16_fEEvT3_20rocsparse_direction_NS_24const_host_device_scalarIT1_EES1_PKS1_PKT2_SA_S7_PKT4_PKT5_S5_PT6_21rocsparse_index_base_b.numbered_sgpr, 24
	.set _ZN9rocsparseL18bsrxmvn_4x4_kernelILj128ELj32EfliDF16_DF16_fEEvT3_20rocsparse_direction_NS_24const_host_device_scalarIT1_EES1_PKS1_PKT2_SA_S7_PKT4_PKT5_S5_PT6_21rocsparse_index_base_b.num_named_barrier, 0
	.set _ZN9rocsparseL18bsrxmvn_4x4_kernelILj128ELj32EfliDF16_DF16_fEEvT3_20rocsparse_direction_NS_24const_host_device_scalarIT1_EES1_PKS1_PKT2_SA_S7_PKT4_PKT5_S5_PT6_21rocsparse_index_base_b.private_seg_size, 0
	.set _ZN9rocsparseL18bsrxmvn_4x4_kernelILj128ELj32EfliDF16_DF16_fEEvT3_20rocsparse_direction_NS_24const_host_device_scalarIT1_EES1_PKS1_PKT2_SA_S7_PKT4_PKT5_S5_PT6_21rocsparse_index_base_b.uses_vcc, 1
	.set _ZN9rocsparseL18bsrxmvn_4x4_kernelILj128ELj32EfliDF16_DF16_fEEvT3_20rocsparse_direction_NS_24const_host_device_scalarIT1_EES1_PKS1_PKT2_SA_S7_PKT4_PKT5_S5_PT6_21rocsparse_index_base_b.uses_flat_scratch, 0
	.set _ZN9rocsparseL18bsrxmvn_4x4_kernelILj128ELj32EfliDF16_DF16_fEEvT3_20rocsparse_direction_NS_24const_host_device_scalarIT1_EES1_PKS1_PKT2_SA_S7_PKT4_PKT5_S5_PT6_21rocsparse_index_base_b.has_dyn_sized_stack, 0
	.set _ZN9rocsparseL18bsrxmvn_4x4_kernelILj128ELj32EfliDF16_DF16_fEEvT3_20rocsparse_direction_NS_24const_host_device_scalarIT1_EES1_PKS1_PKT2_SA_S7_PKT4_PKT5_S5_PT6_21rocsparse_index_base_b.has_recursion, 0
	.set _ZN9rocsparseL18bsrxmvn_4x4_kernelILj128ELj32EfliDF16_DF16_fEEvT3_20rocsparse_direction_NS_24const_host_device_scalarIT1_EES1_PKS1_PKT2_SA_S7_PKT4_PKT5_S5_PT6_21rocsparse_index_base_b.has_indirect_call, 0
	.section	.AMDGPU.csdata,"",@progbits
; Kernel info:
; codeLenInByte = 3744
; TotalNumSgprs: 28
; NumVgprs: 50
; ScratchSize: 0
; MemoryBound: 0
; FloatMode: 240
; IeeeMode: 1
; LDSByteSize: 0 bytes/workgroup (compile time only)
; SGPRBlocks: 3
; VGPRBlocks: 12
; NumSGPRsForWavesPerEU: 28
; NumVGPRsForWavesPerEU: 50
; Occupancy: 4
; WaveLimiterHint : 1
; COMPUTE_PGM_RSRC2:SCRATCH_EN: 0
; COMPUTE_PGM_RSRC2:USER_SGPR: 6
; COMPUTE_PGM_RSRC2:TRAP_HANDLER: 0
; COMPUTE_PGM_RSRC2:TGID_X_EN: 1
; COMPUTE_PGM_RSRC2:TGID_Y_EN: 0
; COMPUTE_PGM_RSRC2:TGID_Z_EN: 0
; COMPUTE_PGM_RSRC2:TIDIG_COMP_CNT: 0
	.section	.text._ZN9rocsparseL18bsrxmvn_4x4_kernelILj128ELj64EfliDF16_DF16_fEEvT3_20rocsparse_direction_NS_24const_host_device_scalarIT1_EES1_PKS1_PKT2_SA_S7_PKT4_PKT5_S5_PT6_21rocsparse_index_base_b,"axG",@progbits,_ZN9rocsparseL18bsrxmvn_4x4_kernelILj128ELj64EfliDF16_DF16_fEEvT3_20rocsparse_direction_NS_24const_host_device_scalarIT1_EES1_PKS1_PKT2_SA_S7_PKT4_PKT5_S5_PT6_21rocsparse_index_base_b,comdat
	.globl	_ZN9rocsparseL18bsrxmvn_4x4_kernelILj128ELj64EfliDF16_DF16_fEEvT3_20rocsparse_direction_NS_24const_host_device_scalarIT1_EES1_PKS1_PKT2_SA_S7_PKT4_PKT5_S5_PT6_21rocsparse_index_base_b ; -- Begin function _ZN9rocsparseL18bsrxmvn_4x4_kernelILj128ELj64EfliDF16_DF16_fEEvT3_20rocsparse_direction_NS_24const_host_device_scalarIT1_EES1_PKS1_PKT2_SA_S7_PKT4_PKT5_S5_PT6_21rocsparse_index_base_b
	.p2align	8
	.type	_ZN9rocsparseL18bsrxmvn_4x4_kernelILj128ELj64EfliDF16_DF16_fEEvT3_20rocsparse_direction_NS_24const_host_device_scalarIT1_EES1_PKS1_PKT2_SA_S7_PKT4_PKT5_S5_PT6_21rocsparse_index_base_b,@function
_ZN9rocsparseL18bsrxmvn_4x4_kernelILj128ELj64EfliDF16_DF16_fEEvT3_20rocsparse_direction_NS_24const_host_device_scalarIT1_EES1_PKS1_PKT2_SA_S7_PKT4_PKT5_S5_PT6_21rocsparse_index_base_b: ; @_ZN9rocsparseL18bsrxmvn_4x4_kernelILj128ELj64EfliDF16_DF16_fEEvT3_20rocsparse_direction_NS_24const_host_device_scalarIT1_EES1_PKS1_PKT2_SA_S7_PKT4_PKT5_S5_PT6_21rocsparse_index_base_b
; %bb.0:
	s_load_dwordx2 s[20:21], s[4:5], 0x58
	s_load_dwordx2 s[18:19], s[4:5], 0x8
	;; [unrolled: 1-line block ×3, first 2 shown]
	s_waitcnt lgkmcnt(0)
	s_bitcmp1_b32 s21, 0
	s_cselect_b64 s[2:3], -1, 0
	s_xor_b64 s[0:1], s[2:3], -1
	s_and_b64 vcc, exec, s[2:3]
	s_cbranch_vccnz .LBB99_2
; %bb.1:
	s_load_dword s18, s[18:19], 0x0
.LBB99_2:
	s_andn2_b64 vcc, exec, s[0:1]
	s_cbranch_vccnz .LBB99_4
; %bb.3:
	s_load_dword s16, s[16:17], 0x0
.LBB99_4:
	s_waitcnt lgkmcnt(0)
	v_cmp_neq_f32_e64 s[0:1], s18, 0
	v_cmp_neq_f32_e64 s[2:3], s16, 1.0
	s_or_b64 s[0:1], s[0:1], s[2:3]
	s_andn2_b64 vcc, exec, s[0:1]
	s_cbranch_vccnz .LBB99_10
; %bb.5:
	s_load_dwordx2 s[8:9], s[4:5], 0x18
	s_load_dwordx2 s[0:1], s[4:5], 0x0
	v_lshrrev_b32_e32 v1, 6, v0
	v_lshl_or_b32 v4, s6, 1, v1
	s_mov_b64 s[2:3], 0
	s_waitcnt lgkmcnt(0)
	s_cmp_lg_u64 s[8:9], 0
	s_cbranch_scc0 .LBB99_11
; %bb.6:
	s_load_dword s6, s[4:5], 0x10
                                        ; implicit-def: $vgpr1
	s_waitcnt lgkmcnt(0)
	v_cmp_gt_i32_e32 vcc, s6, v4
	s_and_saveexec_b64 s[6:7], vcc
	s_xor_b64 s[6:7], exec, s[6:7]
	s_cbranch_execz .LBB99_8
; %bb.7:
	v_ashrrev_i32_e32 v5, 31, v4
	v_lshlrev_b64 v[1:2], 2, v[4:5]
	v_mov_b32_e32 v3, s9
	v_add_co_u32_e32 v1, vcc, s8, v1
	v_addc_co_u32_e32 v2, vcc, v3, v2, vcc
	global_load_dword v1, v[1:2], off
	s_mov_b64 s[2:3], exec
	s_waitcnt vmcnt(0)
	v_subrev_u32_e32 v1, s20, v1
.LBB99_8:
	s_or_b64 exec, exec, s[6:7]
	s_branch .LBB99_12
.LBB99_9:
	v_cmp_gt_i32_e32 vcc, s0, v4
	s_andn2_b64 s[2:3], s[2:3], exec
	s_and_b64 s[6:7], vcc, exec
	s_or_b64 s[2:3], s[2:3], s[6:7]
	s_and_saveexec_b64 s[6:7], s[2:3]
	s_cbranch_execnz .LBB99_13
.LBB99_10:
	s_endpgm
.LBB99_11:
                                        ; implicit-def: $vgpr1
	s_cbranch_execnz .LBB99_9
.LBB99_12:
	v_mov_b32_e32 v4, v1
	s_and_saveexec_b64 s[6:7], s[2:3]
	s_cbranch_execz .LBB99_10
.LBB99_13:
	s_load_dwordx8 s[8:15], s[4:5], 0x20
	v_ashrrev_i32_e32 v5, 31, v4
	v_lshlrev_b64 v[1:2], 3, v[4:5]
	v_and_b32_e32 v21, 63, v0
	v_mov_b32_e32 v7, 0
	s_waitcnt lgkmcnt(0)
	v_mov_b32_e32 v3, s9
	v_add_co_u32_e32 v5, vcc, s8, v1
	v_addc_co_u32_e32 v6, vcc, v3, v2, vcc
	v_add_co_u32_e32 v3, vcc, 8, v5
	global_load_dwordx2 v[9:10], v[5:6], off
	v_addc_co_u32_e32 v5, vcc, 0, v6, vcc
	v_mov_b32_e32 v6, s11
	v_add_co_u32_e32 v1, vcc, s10, v1
	s_cmp_eq_u64 s[10:11], 0
	v_addc_co_u32_e32 v2, vcc, v6, v2, vcc
	s_cselect_b64 vcc, -1, 0
	v_cndmask_b32_e32 v2, v2, v5, vcc
	v_cndmask_b32_e32 v1, v1, v3, vcc
	global_load_dwordx2 v[2:3], v[1:2], off
	s_load_dwordx2 s[8:9], s[4:5], 0x40
	v_mov_b32_e32 v8, s15
	s_cmp_eq_u32 s1, 1
	s_waitcnt vmcnt(1)
	v_subrev_co_u32_e32 v0, vcc, s20, v9
	v_subbrev_co_u32_e32 v1, vcc, 0, v10, vcc
	v_add_co_u32_e32 v0, vcc, v0, v21
	v_addc_co_u32_e32 v1, vcc, 0, v1, vcc
	v_lshlrev_b64 v[5:6], 5, v[0:1]
	s_waitcnt vmcnt(0)
	v_subrev_co_u32_e32 v2, vcc, s20, v2
	v_subbrev_co_u32_e32 v3, vcc, 0, v3, vcc
	v_cmp_lt_i64_e64 s[0:1], v[0:1], v[2:3]
	v_add_co_u32_e32 v5, vcc, s14, v5
	v_addc_co_u32_e32 v6, vcc, v8, v6, vcc
	s_cbranch_scc1 .LBB99_25
; %bb.14:
	v_mov_b32_e32 v22, 0
	v_mov_b32_e32 v23, 0
	;; [unrolled: 1-line block ×3, first 2 shown]
	s_and_saveexec_b64 s[10:11], s[0:1]
	s_cbranch_execz .LBB99_24
; %bb.15:
	v_or_b32_e32 v7, 64, v21
	v_subrev_co_u32_e32 v7, vcc, s20, v7
	v_subb_co_u32_e64 v8, s[2:3], 0, 0, vcc
	v_add_co_u32_e32 v7, vcc, v7, v9
	v_addc_co_u32_e32 v8, vcc, v8, v10, vcc
	v_cmp_gt_i64_e32 vcc, v[7:8], v[2:3]
	v_not_b32_e32 v12, v9
	v_cndmask_b32_e32 v8, v3, v8, vcc
	v_cndmask_b32_e32 v7, v2, v7, vcc
	v_sub_co_u32_e32 v13, vcc, s20, v21
	v_not_b32_e32 v11, v10
	v_subb_co_u32_e64 v14, s[2:3], 0, 0, vcc
	v_add_co_u32_e32 v12, vcc, v13, v12
	v_addc_co_u32_e32 v11, vcc, v14, v11, vcc
	v_add_co_u32_e32 v15, vcc, v12, v7
	v_addc_co_u32_e32 v16, vcc, v11, v8, vcc
	v_and_b32_e32 v7, 0xc0, v15
	v_mov_b32_e32 v8, 0
	s_mov_b64 s[2:3], 0xc0
	v_cmp_ne_u64_e32 vcc, s[2:3], v[7:8]
	v_mov_b32_e32 v12, v1
	v_mov_b32_e32 v14, v6
	;; [unrolled: 1-line block ×7, first 2 shown]
	s_and_saveexec_b64 s[6:7], vcc
	s_cbranch_execz .LBB99_19
; %bb.16:
	v_lshlrev_b64 v[11:12], 2, v[0:1]
	v_lshrrev_b32_e32 v7, 6, v15
	v_add_u32_e32 v7, 1, v7
	v_mov_b32_e32 v13, s13
	v_add_co_u32_e32 v17, vcc, s12, v11
	v_and_b32_e32 v8, 3, v7
	v_addc_co_u32_e32 v18, vcc, v13, v12, vcc
	v_sub_co_u32_e32 v19, vcc, 0, v8
	v_mov_b32_e32 v14, v6
	v_mov_b32_e32 v12, v1
	;; [unrolled: 1-line block ×3, first 2 shown]
	s_mov_b64 s[14:15], 0
	v_subb_co_u32_e64 v20, s[2:3], 0, 0, vcc
	s_movk_i32 s17, 0x800
	s_waitcnt lgkmcnt(0)
	v_mov_b32_e32 v24, s9
	v_mov_b32_e32 v13, v5
	v_mov_b32_e32 v11, v0
	v_mov_b32_e32 v22, 0
	v_mov_b32_e32 v23, 0
	v_mov_b32_e32 v8, 0
.LBB99_17:                              ; =>This Inner Loop Header: Depth=1
	global_load_dword v33, v[17:18], off
	global_load_dwordx4 v[25:28], v[13:14], off
	global_load_dwordx4 v[29:32], v[13:14], off offset:16
	v_add_co_u32_e64 v11, s[2:3], 64, v11
	v_addc_co_u32_e64 v12, s[2:3], 0, v12, s[2:3]
	v_add_co_u32_e64 v19, s[2:3], 1, v19
	v_addc_co_u32_e64 v20, s[2:3], 0, v20, s[2:3]
	v_cmp_eq_u64_e64 s[2:3], 0, v[19:20]
	s_or_b64 s[14:15], s[2:3], s[14:15]
	s_waitcnt vmcnt(2)
	v_subrev_u32_e32 v33, s20, v33
	v_lshlrev_b32_e32 v33, 2, v33
	v_ashrrev_i32_e32 v34, 31, v33
	v_lshlrev_b64 v[33:34], 1, v[33:34]
	v_add_co_u32_e32 v33, vcc, s8, v33
	v_addc_co_u32_e32 v34, vcc, v24, v34, vcc
	global_load_dwordx2 v[33:34], v[33:34], off
	v_add_co_u32_e32 v13, vcc, s17, v13
	v_addc_co_u32_e32 v14, vcc, 0, v14, vcc
	v_add_co_u32_e32 v17, vcc, 0x100, v17
	v_addc_co_u32_e32 v18, vcc, 0, v18, vcc
	s_waitcnt vmcnt(0)
	v_fma_mix_f32 v8, v25, v33, v8 op_sel_hi:[1,1,0]
	v_fma_mix_f32 v23, v27, v33, v23 op_sel_hi:[1,1,0]
	;; [unrolled: 1-line block ×4, first 2 shown]
	v_fma_mix_f32 v8, v25, v33, v8 op_sel:[1,1,0] op_sel_hi:[1,1,0]
	v_fma_mix_f32 v23, v27, v33, v23 op_sel:[1,1,0] op_sel_hi:[1,1,0]
	;; [unrolled: 1-line block ×4, first 2 shown]
	v_fma_mix_f32 v8, v26, v34, v8 op_sel_hi:[1,1,0]
	v_fma_mix_f32 v23, v28, v34, v23 op_sel_hi:[1,1,0]
	;; [unrolled: 1-line block ×4, first 2 shown]
	v_fma_mix_f32 v8, v26, v34, v8 op_sel:[1,1,0] op_sel_hi:[1,1,0]
	v_fma_mix_f32 v23, v28, v34, v23 op_sel:[1,1,0] op_sel_hi:[1,1,0]
	;; [unrolled: 1-line block ×4, first 2 shown]
	s_andn2_b64 exec, exec, s[14:15]
	s_cbranch_execnz .LBB99_17
; %bb.18:
	s_or_b64 exec, exec, s[14:15]
.LBB99_19:
	s_or_b64 exec, exec, s[6:7]
	s_mov_b64 s[2:3], 0xbf
	v_cmp_lt_u64_e32 vcc, s[2:3], v[15:16]
	s_and_saveexec_b64 s[14:15], vcc
	s_cbranch_execz .LBB99_23
; %bb.20:
	v_lshlrev_b64 v[15:16], 2, v[11:12]
	v_mov_b32_e32 v17, s13
	v_add_co_u32_e32 v15, vcc, s12, v15
	v_addc_co_u32_e32 v16, vcc, v17, v16, vcc
	v_add_co_u32_e32 v15, vcc, 0x200, v15
	v_addc_co_u32_e32 v16, vcc, 0, v16, vcc
	s_mov_b64 s[22:23], 0
	s_waitcnt lgkmcnt(0)
	v_mov_b32_e32 v17, s9
	s_movk_i32 s17, 0x1000
.LBB99_21:                              ; =>This Inner Loop Header: Depth=1
	global_load_dword v18, v[15:16], off offset:-512
	global_load_dword v19, v[15:16], off offset:-256
	global_load_dwordx4 v[24:27], v[13:14], off
	global_load_dwordx4 v[28:31], v[13:14], off offset:16
	global_load_dwordx4 v[32:35], v[13:14], off offset:2048
	global_load_dword v20, v[15:16], off
	global_load_dword v46, v[15:16], off offset:256
	s_waitcnt vmcnt(6)
	v_subrev_u32_e32 v18, s20, v18
	s_waitcnt vmcnt(5)
	v_subrev_u32_e32 v19, s20, v19
	v_lshlrev_b32_e32 v18, 2, v18
	v_lshlrev_b32_e32 v36, 2, v19
	v_ashrrev_i32_e32 v19, 31, v18
	v_lshlrev_b64 v[18:19], 1, v[18:19]
	v_ashrrev_i32_e32 v37, 31, v36
	v_lshlrev_b64 v[36:37], 1, v[36:37]
	v_add_co_u32_e32 v18, vcc, s8, v18
	v_addc_co_u32_e32 v19, vcc, v17, v19, vcc
	v_add_co_u32_e32 v40, vcc, s8, v36
	v_addc_co_u32_e32 v41, vcc, v17, v37, vcc
	global_load_dwordx4 v[36:39], v[13:14], off offset:2064
	global_load_dwordx2 v[42:43], v[18:19], off
	global_load_dwordx2 v[44:45], v[40:41], off
	s_waitcnt vmcnt(1)
	v_fma_mix_f32 v8, v24, v42, v8 op_sel_hi:[1,1,0]
	v_fma_mix_f32 v8, v24, v42, v8 op_sel:[1,1,0] op_sel_hi:[1,1,0]
	v_fma_mix_f32 v8, v25, v43, v8 op_sel_hi:[1,1,0]
	v_fma_mix_f32 v18, v26, v42, v23 op_sel_hi:[1,1,0]
	v_fma_mix_f32 v8, v25, v43, v8 op_sel:[1,1,0] op_sel_hi:[1,1,0]
	v_fma_mix_f32 v22, v28, v42, v22 op_sel_hi:[1,1,0]
	v_fma_mix_f32 v7, v30, v42, v7 op_sel_hi:[1,1,0]
	v_fma_mix_f32 v18, v26, v42, v18 op_sel:[1,1,0] op_sel_hi:[1,1,0]
	v_fma_mix_f32 v22, v28, v42, v22 op_sel:[1,1,0] op_sel_hi:[1,1,0]
	;; [unrolled: 1-line block ×3, first 2 shown]
	s_waitcnt vmcnt(0)
	v_fma_mix_f32 v8, v32, v44, v8 op_sel_hi:[1,1,0]
	v_fma_mix_f32 v18, v27, v43, v18 op_sel_hi:[1,1,0]
	v_fma_mix_f32 v22, v29, v43, v22 op_sel_hi:[1,1,0]
	v_fma_mix_f32 v7, v31, v43, v7 op_sel_hi:[1,1,0]
	v_fma_mix_f32 v8, v32, v44, v8 op_sel:[1,1,0] op_sel_hi:[1,1,0]
	v_fma_mix_f32 v40, v27, v43, v18 op_sel:[1,1,0] op_sel_hi:[1,1,0]
	;; [unrolled: 1-line block ×4, first 2 shown]
	v_fma_mix_f32 v8, v33, v45, v8 op_sel_hi:[1,1,0]
	v_fma_mix_f32 v30, v34, v44, v40 op_sel_hi:[1,1,0]
	v_fma_mix_f32 v42, v33, v45, v8 op_sel:[1,1,0] op_sel_hi:[1,1,0]
	v_fma_mix_f32 v8, v36, v44, v41 op_sel_hi:[1,1,0]
	v_fma_mix_f32 v7, v38, v44, v7 op_sel_hi:[1,1,0]
	v_fma_mix_f32 v30, v34, v44, v30 op_sel:[1,1,0] op_sel_hi:[1,1,0]
	v_fma_mix_f32 v8, v36, v44, v8 op_sel:[1,1,0] op_sel_hi:[1,1,0]
	;; [unrolled: 1-line block ×3, first 2 shown]
	v_fma_mix_f32 v30, v35, v45, v30 op_sel_hi:[1,1,0]
	v_fma_mix_f32 v8, v37, v45, v8 op_sel_hi:[1,1,0]
	v_fma_mix_f32 v7, v39, v45, v7 op_sel_hi:[1,1,0]
	v_add_co_u32_e32 v18, vcc, s17, v13
	v_fma_mix_f32 v43, v35, v45, v30 op_sel:[1,1,0] op_sel_hi:[1,1,0]
	v_fma_mix_f32 v44, v37, v45, v8 op_sel:[1,1,0] op_sel_hi:[1,1,0]
	v_fma_mix_f32 v45, v39, v45, v7 op_sel:[1,1,0] op_sel_hi:[1,1,0]
	v_subrev_u32_e32 v7, s20, v20
	v_addc_co_u32_e32 v19, vcc, 0, v14, vcc
	v_subrev_u32_e32 v8, s20, v46
	v_lshlrev_b32_e32 v7, 2, v7
	global_load_dwordx4 v[22:25], v[18:19], off
	global_load_dwordx4 v[26:29], v[18:19], off offset:16
	global_load_dwordx4 v[30:33], v[18:19], off offset:2048
	;; [unrolled: 1-line block ×3, first 2 shown]
	v_lshlrev_b32_e32 v18, 2, v8
	v_ashrrev_i32_e32 v8, 31, v7
	v_lshlrev_b64 v[7:8], 1, v[7:8]
	v_ashrrev_i32_e32 v19, 31, v18
	v_lshlrev_b64 v[18:19], 1, v[18:19]
	v_add_co_u32_e32 v7, vcc, s8, v7
	v_addc_co_u32_e32 v8, vcc, v17, v8, vcc
	v_add_co_u32_e32 v18, vcc, s8, v18
	v_addc_co_u32_e32 v19, vcc, v17, v19, vcc
	global_load_dwordx2 v[38:39], v[7:8], off
	global_load_dwordx2 v[40:41], v[18:19], off
	v_add_co_u32_e32 v11, vcc, 0x100, v11
	s_mov_b64 s[2:3], vcc
	v_add_co_u32_e32 v15, vcc, 0x400, v15
	s_mov_b64 s[6:7], vcc
	v_addc_co_u32_e64 v12, vcc, 0, v12, s[2:3]
	v_addc_co_u32_e64 v16, s[2:3], 0, v16, s[6:7]
	v_cmp_ge_i64_e64 s[2:3], v[11:12], v[2:3]
	v_add_co_u32_e32 v13, vcc, 0x2000, v13
	v_addc_co_u32_e32 v14, vcc, 0, v14, vcc
	s_or_b64 s[22:23], s[2:3], s[22:23]
	s_waitcnt vmcnt(1)
	v_fma_mix_f32 v7, v22, v38, v42 op_sel_hi:[1,1,0]
	v_fma_mix_f32 v8, v24, v38, v43 op_sel_hi:[1,1,0]
	;; [unrolled: 1-line block ×4, first 2 shown]
	v_fma_mix_f32 v7, v22, v38, v7 op_sel:[1,1,0] op_sel_hi:[1,1,0]
	v_fma_mix_f32 v8, v24, v38, v8 op_sel:[1,1,0] op_sel_hi:[1,1,0]
	;; [unrolled: 1-line block ×4, first 2 shown]
	v_fma_mix_f32 v7, v23, v39, v7 op_sel_hi:[1,1,0]
	v_fma_mix_f32 v8, v25, v39, v8 op_sel_hi:[1,1,0]
	;; [unrolled: 1-line block ×4, first 2 shown]
	v_fma_mix_f32 v7, v23, v39, v7 op_sel:[1,1,0] op_sel_hi:[1,1,0]
	v_fma_mix_f32 v8, v25, v39, v8 op_sel:[1,1,0] op_sel_hi:[1,1,0]
	;; [unrolled: 1-line block ×4, first 2 shown]
	s_waitcnt vmcnt(0)
	v_fma_mix_f32 v7, v30, v40, v7 op_sel_hi:[1,1,0]
	v_fma_mix_f32 v8, v32, v40, v8 op_sel_hi:[1,1,0]
	;; [unrolled: 1-line block ×4, first 2 shown]
	v_fma_mix_f32 v7, v30, v40, v7 op_sel:[1,1,0] op_sel_hi:[1,1,0]
	v_fma_mix_f32 v8, v32, v40, v8 op_sel:[1,1,0] op_sel_hi:[1,1,0]
	;; [unrolled: 1-line block ×4, first 2 shown]
	v_fma_mix_f32 v7, v31, v41, v7 op_sel_hi:[1,1,0]
	v_fma_mix_f32 v20, v33, v41, v8 op_sel_hi:[1,1,0]
	;; [unrolled: 1-line block ×4, first 2 shown]
	v_fma_mix_f32 v8, v31, v41, v7 op_sel:[1,1,0] op_sel_hi:[1,1,0]
	v_fma_mix_f32 v23, v33, v41, v20 op_sel:[1,1,0] op_sel_hi:[1,1,0]
	;; [unrolled: 1-line block ×4, first 2 shown]
	s_andn2_b64 exec, exec, s[22:23]
	s_cbranch_execnz .LBB99_21
; %bb.22:
	s_or_b64 exec, exec, s[22:23]
.LBB99_23:
	s_or_b64 exec, exec, s[14:15]
.LBB99_24:
	s_or_b64 exec, exec, s[10:11]
	s_cbranch_execz .LBB99_26
	s_branch .LBB99_37
.LBB99_25:
                                        ; implicit-def: $vgpr7
                                        ; implicit-def: $vgpr22
                                        ; implicit-def: $vgpr23
                                        ; implicit-def: $vgpr8
.LBB99_26:
	v_mov_b32_e32 v7, 0
	v_mov_b32_e32 v22, 0
	;; [unrolled: 1-line block ×4, first 2 shown]
	s_and_saveexec_b64 s[2:3], s[0:1]
	s_cbranch_execz .LBB99_36
; %bb.27:
	v_or_b32_e32 v7, 64, v21
	v_subrev_co_u32_e32 v7, vcc, s20, v7
	v_subb_co_u32_e64 v8, s[0:1], 0, 0, vcc
	v_add_co_u32_e32 v7, vcc, v7, v9
	v_addc_co_u32_e32 v8, vcc, v8, v10, vcc
	v_cmp_gt_i64_e32 vcc, v[7:8], v[2:3]
	v_not_b32_e32 v9, v9
	v_cndmask_b32_e32 v8, v3, v8, vcc
	v_cndmask_b32_e32 v7, v2, v7, vcc
	v_sub_co_u32_e32 v11, vcc, s20, v21
	v_not_b32_e32 v10, v10
	v_subb_co_u32_e64 v12, s[0:1], 0, 0, vcc
	v_add_co_u32_e32 v9, vcc, v11, v9
	v_addc_co_u32_e32 v10, vcc, v12, v10, vcc
	v_add_co_u32_e32 v9, vcc, v9, v7
	v_addc_co_u32_e32 v10, vcc, v10, v8, vcc
	v_and_b32_e32 v7, 0xc0, v9
	v_mov_b32_e32 v8, 0
	s_mov_b64 s[0:1], 0xc0
	v_cmp_ne_u64_e32 vcc, s[0:1], v[7:8]
	v_mov_b32_e32 v23, v8
	v_mov_b32_e32 v22, v8
	;; [unrolled: 1-line block ×3, first 2 shown]
	s_and_saveexec_b64 s[6:7], vcc
	s_cbranch_execz .LBB99_31
; %bb.28:
	v_lshlrev_b64 v[11:12], 2, v[0:1]
	v_lshrrev_b32_e32 v7, 6, v9
	v_add_u32_e32 v7, 1, v7
	v_mov_b32_e32 v13, s13
	v_add_co_u32_e32 v11, vcc, s12, v11
	v_and_b32_e32 v8, 3, v7
	v_addc_co_u32_e32 v12, vcc, v13, v12, vcc
	v_sub_co_u32_e32 v13, vcc, 0, v8
	v_mov_b32_e32 v7, 0
	s_mov_b64 s[10:11], 0
	v_subb_co_u32_e64 v14, s[0:1], 0, 0, vcc
	s_movk_i32 s14, 0x800
	s_waitcnt lgkmcnt(0)
	v_mov_b32_e32 v15, s9
	v_mov_b32_e32 v22, 0
	;; [unrolled: 1-line block ×4, first 2 shown]
.LBB99_29:                              ; =>This Inner Loop Header: Depth=1
	global_load_dword v20, v[11:12], off
	global_load_dwordx4 v[16:19], v[5:6], off
	v_add_co_u32_e64 v0, s[0:1], 64, v0
	v_addc_co_u32_e64 v1, s[0:1], 0, v1, s[0:1]
	v_add_co_u32_e64 v13, s[0:1], 1, v13
	v_addc_co_u32_e64 v14, s[0:1], 0, v14, s[0:1]
	v_cmp_eq_u64_e64 s[0:1], 0, v[13:14]
	s_or_b64 s[10:11], s[0:1], s[10:11]
	s_waitcnt vmcnt(1)
	v_subrev_u32_e32 v20, s20, v20
	v_lshlrev_b32_e32 v24, 2, v20
	v_ashrrev_i32_e32 v25, 31, v24
	v_lshlrev_b64 v[24:25], 1, v[24:25]
	v_add_co_u32_e32 v28, vcc, s8, v24
	v_addc_co_u32_e32 v29, vcc, v15, v25, vcc
	global_load_dwordx2 v[30:31], v[28:29], off
	global_load_dwordx4 v[24:27], v[5:6], off offset:16
	v_add_co_u32_e32 v5, vcc, s14, v5
	v_addc_co_u32_e32 v6, vcc, 0, v6, vcc
	v_add_co_u32_e32 v11, vcc, 0x100, v11
	v_addc_co_u32_e32 v12, vcc, 0, v12, vcc
	s_waitcnt vmcnt(1)
	v_fma_mix_f32 v8, v16, v30, v8 op_sel_hi:[1,1,0]
	v_fma_mix_f32 v16, v16, v30, v23 op_sel:[1,0,0] op_sel_hi:[1,1,0]
	v_fma_mix_f32 v20, v17, v30, v22 op_sel_hi:[1,1,0]
	v_fma_mix_f32 v7, v17, v30, v7 op_sel:[1,0,0] op_sel_hi:[1,1,0]
	v_fma_mix_f32 v8, v18, v30, v8 op_sel:[0,1,0] op_sel_hi:[1,1,0]
	;; [unrolled: 1-line block ×5, first 2 shown]
	s_waitcnt vmcnt(0)
	v_fma_mix_f32 v8, v24, v31, v8 op_sel_hi:[1,1,0]
	v_fma_mix_f32 v16, v24, v31, v16 op_sel:[1,0,0] op_sel_hi:[1,1,0]
	v_fma_mix_f32 v17, v25, v31, v17 op_sel_hi:[1,1,0]
	v_fma_mix_f32 v7, v25, v31, v7 op_sel:[1,0,0] op_sel_hi:[1,1,0]
	v_fma_mix_f32 v8, v26, v31, v8 op_sel:[0,1,0] op_sel_hi:[1,1,0]
	;; [unrolled: 1-line block ×5, first 2 shown]
	s_andn2_b64 exec, exec, s[10:11]
	s_cbranch_execnz .LBB99_29
; %bb.30:
	s_or_b64 exec, exec, s[10:11]
.LBB99_31:
	s_or_b64 exec, exec, s[6:7]
	s_mov_b64 s[0:1], 0xbf
	v_cmp_lt_u64_e32 vcc, s[0:1], v[9:10]
	s_and_saveexec_b64 s[6:7], vcc
	s_cbranch_execz .LBB99_35
; %bb.32:
	v_lshlrev_b64 v[9:10], 2, v[0:1]
	v_mov_b32_e32 v11, s13
	v_add_co_u32_e32 v9, vcc, s12, v9
	v_addc_co_u32_e32 v10, vcc, v11, v10, vcc
	v_add_co_u32_e32 v9, vcc, 0x200, v9
	v_addc_co_u32_e32 v10, vcc, 0, v10, vcc
	s_mov_b64 s[10:11], 0
	s_waitcnt lgkmcnt(0)
	v_mov_b32_e32 v11, s9
	s_movk_i32 s9, 0x1000
.LBB99_33:                              ; =>This Inner Loop Header: Depth=1
	global_load_dword v20, v[9:10], off offset:-512
	global_load_dword v28, v[9:10], off offset:-256
	global_load_dwordx4 v[12:15], v[5:6], off
	global_load_dwordx4 v[16:19], v[5:6], off offset:16
	global_load_dwordx4 v[24:27], v[5:6], off offset:2048
	global_load_dword v40, v[9:10], off
	global_load_dword v41, v[9:10], off offset:256
	s_waitcnt vmcnt(6)
	v_subrev_u32_e32 v20, s20, v20
	s_waitcnt vmcnt(5)
	v_subrev_u32_e32 v29, s20, v28
	v_lshlrev_b32_e32 v28, 2, v20
	v_lshlrev_b32_e32 v30, 2, v29
	v_ashrrev_i32_e32 v29, 31, v28
	v_lshlrev_b64 v[28:29], 1, v[28:29]
	v_ashrrev_i32_e32 v31, 31, v30
	v_lshlrev_b64 v[30:31], 1, v[30:31]
	v_add_co_u32_e32 v32, vcc, s8, v28
	v_addc_co_u32_e32 v33, vcc, v11, v29, vcc
	v_add_co_u32_e32 v34, vcc, s8, v30
	v_addc_co_u32_e32 v35, vcc, v11, v31, vcc
	global_load_dwordx4 v[28:31], v[5:6], off offset:2064
	global_load_dwordx2 v[36:37], v[32:33], off
	global_load_dwordx2 v[38:39], v[34:35], off
	s_waitcnt vmcnt(3)
	v_subrev_u32_e32 v34, s20, v41
	s_waitcnt vmcnt(1)
	v_fma_mix_f32 v8, v12, v36, v8 op_sel_hi:[1,1,0]
	v_fma_mix_f32 v12, v12, v36, v23 op_sel:[1,0,0] op_sel_hi:[1,1,0]
	v_fma_mix_f32 v20, v13, v36, v22 op_sel_hi:[1,1,0]
	v_fma_mix_f32 v7, v13, v36, v7 op_sel:[1,0,0] op_sel_hi:[1,1,0]
	v_fma_mix_f32 v13, v14, v36, v8 op_sel:[0,1,0] op_sel_hi:[1,1,0]
	;; [unrolled: 1-line block ×5, first 2 shown]
	v_fma_mix_f32 v13, v16, v37, v13 op_sel_hi:[1,1,0]
	v_fma_mix_f32 v12, v16, v37, v12 op_sel:[1,0,0] op_sel_hi:[1,1,0]
	v_fma_mix_f32 v14, v17, v37, v14 op_sel_hi:[1,1,0]
	v_fma_mix_f32 v15, v17, v37, v15 op_sel:[1,0,0] op_sel_hi:[1,1,0]
	v_fma_mix_f32 v20, v18, v37, v13 op_sel:[0,1,0] op_sel_hi:[1,1,0]
	;; [unrolled: 1-line block ×5, first 2 shown]
	s_waitcnt vmcnt(0)
	v_fma_mix_f32 v20, v24, v38, v20 op_sel_hi:[1,1,0]
	v_fma_mix_f32 v22, v24, v38, v22 op_sel:[1,0,0] op_sel_hi:[1,1,0]
	v_fma_mix_f32 v23, v25, v38, v23 op_sel_hi:[1,1,0]
	v_fma_mix_f32 v24, v25, v38, v32 op_sel:[1,0,0] op_sel_hi:[1,1,0]
	v_fma_mix_f32 v20, v26, v38, v20 op_sel:[0,1,0] op_sel_hi:[1,1,0]
	;; [unrolled: 1-line block ×5, first 2 shown]
	v_subrev_u32_e32 v26, s20, v40
	v_lshlrev_b32_e32 v26, 2, v26
	v_fma_mix_f32 v20, v28, v39, v20 op_sel_hi:[1,1,0]
	v_fma_mix_f32 v28, v28, v39, v32 op_sel:[1,0,0] op_sel_hi:[1,1,0]
	v_fma_mix_f32 v32, v29, v39, v33 op_sel_hi:[1,1,0]
	v_fma_mix_f32 v27, v29, v39, v27 op_sel:[1,0,0] op_sel_hi:[1,1,0]
	v_fma_mix_f32 v20, v30, v39, v20 op_sel:[0,1,0] op_sel_hi:[1,1,0]
	;; [unrolled: 1-line block ×5, first 2 shown]
	v_ashrrev_i32_e32 v27, 31, v26
	v_add_co_u32_e32 v7, vcc, s9, v5
	v_lshlrev_b32_e32 v28, 2, v34
	v_lshlrev_b64 v[26:27], 1, v[26:27]
	v_addc_co_u32_e32 v8, vcc, 0, v6, vcc
	v_ashrrev_i32_e32 v29, 31, v28
	v_lshlrev_b64 v[28:29], 1, v[28:29]
	v_add_co_u32_e32 v30, vcc, s8, v26
	v_addc_co_u32_e32 v31, vcc, v11, v27, vcc
	global_load_dwordx4 v[12:15], v[7:8], off
	global_load_dwordx4 v[16:19], v[7:8], off offset:16
	v_add_co_u32_e32 v32, vcc, s8, v28
	global_load_dwordx4 v[22:25], v[7:8], off offset:2048
	v_addc_co_u32_e32 v33, vcc, v11, v29, vcc
	global_load_dwordx2 v[34:35], v[30:31], off
	global_load_dwordx2 v[36:37], v[32:33], off
	global_load_dwordx4 v[26:29], v[7:8], off offset:2064
	v_add_co_u32_e32 v0, vcc, 0x100, v0
	v_addc_co_u32_e32 v1, vcc, 0, v1, vcc
	v_add_co_u32_e32 v9, vcc, 0x400, v9
	v_addc_co_u32_e32 v10, vcc, 0, v10, vcc
	v_cmp_ge_i64_e64 s[0:1], v[0:1], v[2:3]
	v_add_co_u32_e32 v5, vcc, 0x2000, v5
	v_addc_co_u32_e32 v6, vcc, 0, v6, vcc
	s_or_b64 s[10:11], s[0:1], s[10:11]
	s_waitcnt vmcnt(2)
	v_fma_mix_f32 v7, v12, v34, v20 op_sel_hi:[1,1,0]
	v_fma_mix_f32 v8, v12, v34, v38 op_sel:[1,0,0] op_sel_hi:[1,1,0]
	v_fma_mix_f32 v12, v13, v34, v40 op_sel_hi:[1,1,0]
	v_fma_mix_f32 v13, v13, v34, v39 op_sel:[1,0,0] op_sel_hi:[1,1,0]
	v_fma_mix_f32 v7, v14, v34, v7 op_sel:[0,1,0] op_sel_hi:[1,1,0]
	;; [unrolled: 1-line block ×5, first 2 shown]
	v_fma_mix_f32 v7, v16, v35, v7 op_sel_hi:[1,1,0]
	v_fma_mix_f32 v8, v16, v35, v8 op_sel:[1,0,0] op_sel_hi:[1,1,0]
	v_fma_mix_f32 v12, v17, v35, v12 op_sel_hi:[1,1,0]
	v_fma_mix_f32 v13, v17, v35, v13 op_sel:[1,0,0] op_sel_hi:[1,1,0]
	v_fma_mix_f32 v7, v18, v35, v7 op_sel:[0,1,0] op_sel_hi:[1,1,0]
	;; [unrolled: 1-line block ×5, first 2 shown]
	s_waitcnt vmcnt(1)
	v_fma_mix_f32 v7, v22, v36, v7 op_sel_hi:[1,1,0]
	v_fma_mix_f32 v8, v22, v36, v8 op_sel:[1,0,0] op_sel_hi:[1,1,0]
	v_fma_mix_f32 v12, v23, v36, v12 op_sel_hi:[1,1,0]
	v_fma_mix_f32 v13, v23, v36, v13 op_sel:[1,0,0] op_sel_hi:[1,1,0]
	v_fma_mix_f32 v7, v24, v36, v7 op_sel:[0,1,0] op_sel_hi:[1,1,0]
	v_fma_mix_f32 v8, v24, v36, v8 op_sel:[1,1,0] op_sel_hi:[1,1,0]
	v_fma_mix_f32 v12, v25, v36, v12 op_sel:[0,1,0] op_sel_hi:[1,1,0]
	v_fma_mix_f32 v13, v25, v36, v13 op_sel:[1,1,0] op_sel_hi:[1,1,0]
	s_waitcnt vmcnt(0)
	v_fma_mix_f32 v7, v26, v37, v7 op_sel_hi:[1,1,0]
	v_fma_mix_f32 v14, v26, v37, v8 op_sel:[1,0,0] op_sel_hi:[1,1,0]
	v_fma_mix_f32 v12, v27, v37, v12 op_sel_hi:[1,1,0]
	v_fma_mix_f32 v13, v27, v37, v13 op_sel:[1,0,0] op_sel_hi:[1,1,0]
	v_fma_mix_f32 v8, v28, v37, v7 op_sel:[0,1,0] op_sel_hi:[1,1,0]
	;; [unrolled: 1-line block ×5, first 2 shown]
	s_andn2_b64 exec, exec, s[10:11]
	s_cbranch_execnz .LBB99_33
; %bb.34:
	s_or_b64 exec, exec, s[10:11]
.LBB99_35:
	s_or_b64 exec, exec, s[6:7]
.LBB99_36:
	s_or_b64 exec, exec, s[2:3]
.LBB99_37:
	v_mov_b32_dpp v0, v8 row_shr:1 row_mask:0xf bank_mask:0xf
	v_add_f32_e32 v0, v8, v0
	v_mov_b32_dpp v2, v23 row_shr:1 row_mask:0xf bank_mask:0xf
	v_mov_b32_dpp v5, v22 row_shr:1 row_mask:0xf bank_mask:0xf
	;; [unrolled: 1-line block ×3, first 2 shown]
	v_add_f32_e32 v2, v23, v2
	v_add_f32_e32 v5, v22, v5
	v_add_f32_e32 v7, v7, v8
	v_mov_b32_dpp v1, v0 row_shr:2 row_mask:0xf bank_mask:0xf
	v_mov_b32_dpp v3, v2 row_shr:2 row_mask:0xf bank_mask:0xf
	v_mov_b32_dpp v6, v5 row_shr:2 row_mask:0xf bank_mask:0xf
	v_mov_b32_dpp v8, v7 row_shr:2 row_mask:0xf bank_mask:0xf
	v_add_f32_e32 v0, v0, v1
	v_add_f32_e32 v2, v2, v3
	v_add_f32_e32 v5, v5, v6
	v_add_f32_e32 v7, v7, v8
	v_mov_b32_dpp v1, v0 row_shr:4 row_mask:0xf bank_mask:0xe
	v_mov_b32_dpp v3, v2 row_shr:4 row_mask:0xf bank_mask:0xe
	v_mov_b32_dpp v6, v5 row_shr:4 row_mask:0xf bank_mask:0xe
	v_mov_b32_dpp v8, v7 row_shr:4 row_mask:0xf bank_mask:0xe
	v_add_f32_e32 v0, v0, v1
	v_add_f32_e32 v2, v2, v3
	v_add_f32_e32 v5, v5, v6
	v_add_f32_e32 v7, v7, v8
	v_mov_b32_dpp v1, v0 row_shr:8 row_mask:0xf bank_mask:0xc
	v_mov_b32_dpp v3, v2 row_shr:8 row_mask:0xf bank_mask:0xc
	v_mov_b32_dpp v6, v5 row_shr:8 row_mask:0xf bank_mask:0xc
	v_mov_b32_dpp v8, v7 row_shr:8 row_mask:0xf bank_mask:0xc
	v_add_f32_e32 v0, v0, v1
	v_add_f32_e32 v2, v2, v3
	v_add_f32_e32 v5, v5, v6
	;; [unrolled: 1-line block ×3, first 2 shown]
	v_mov_b32_dpp v1, v0 row_bcast:15 row_mask:0xa bank_mask:0xf
	v_mov_b32_dpp v3, v2 row_bcast:15 row_mask:0xa bank_mask:0xf
	;; [unrolled: 1-line block ×4, first 2 shown]
	v_add_f32_e32 v0, v0, v1
	v_add_f32_e32 v2, v2, v3
	;; [unrolled: 1-line block ×4, first 2 shown]
	v_mov_b32_dpp v1, v0 row_bcast:31 row_mask:0xc bank_mask:0xf
	v_mov_b32_dpp v3, v2 row_bcast:31 row_mask:0xc bank_mask:0xf
	;; [unrolled: 1-line block ×4, first 2 shown]
	v_cmp_eq_u32_e32 vcc, 63, v21
	s_and_b64 exec, exec, vcc
	s_cbranch_execz .LBB99_10
; %bb.38:
	s_load_dwordx2 s[0:1], s[4:5], 0x50
	v_add_f32_e32 v0, v0, v1
	v_add_f32_e32 v1, v2, v3
	;; [unrolled: 1-line block ×4, first 2 shown]
	v_cmp_eq_f32_e64 s[2:3], s16, 0
	s_and_b64 vcc, exec, s[2:3]
	v_mul_f32_e32 v0, s18, v0
	v_mul_f32_e32 v1, s18, v1
	;; [unrolled: 1-line block ×4, first 2 shown]
	v_lshlrev_b32_e32 v4, 2, v4
	s_cbranch_vccz .LBB99_40
; %bb.39:
	v_ashrrev_i32_e32 v5, 31, v4
	v_lshlrev_b64 v[5:6], 2, v[4:5]
	s_waitcnt lgkmcnt(0)
	v_mov_b32_e32 v7, s1
	v_add_co_u32_e32 v5, vcc, s0, v5
	v_addc_co_u32_e32 v6, vcc, v7, v6, vcc
	global_store_dwordx4 v[5:6], v[0:3], off
	s_cbranch_execnz .LBB99_10
	s_branch .LBB99_41
.LBB99_40:
.LBB99_41:
	v_ashrrev_i32_e32 v5, 31, v4
	v_lshlrev_b64 v[4:5], 2, v[4:5]
	s_waitcnt lgkmcnt(0)
	v_mov_b32_e32 v6, s1
	v_add_co_u32_e32 v8, vcc, s0, v4
	v_addc_co_u32_e32 v9, vcc, v6, v5, vcc
	global_load_dwordx4 v[4:7], v[8:9], off
	s_waitcnt vmcnt(0)
	v_fmac_f32_e32 v0, s16, v4
	v_fmac_f32_e32 v1, s16, v5
	;; [unrolled: 1-line block ×4, first 2 shown]
	global_store_dwordx4 v[8:9], v[0:3], off
	s_endpgm
	.section	.rodata,"a",@progbits
	.p2align	6, 0x0
	.amdhsa_kernel _ZN9rocsparseL18bsrxmvn_4x4_kernelILj128ELj64EfliDF16_DF16_fEEvT3_20rocsparse_direction_NS_24const_host_device_scalarIT1_EES1_PKS1_PKT2_SA_S7_PKT4_PKT5_S5_PT6_21rocsparse_index_base_b
		.amdhsa_group_segment_fixed_size 0
		.amdhsa_private_segment_fixed_size 0
		.amdhsa_kernarg_size 96
		.amdhsa_user_sgpr_count 6
		.amdhsa_user_sgpr_private_segment_buffer 1
		.amdhsa_user_sgpr_dispatch_ptr 0
		.amdhsa_user_sgpr_queue_ptr 0
		.amdhsa_user_sgpr_kernarg_segment_ptr 1
		.amdhsa_user_sgpr_dispatch_id 0
		.amdhsa_user_sgpr_flat_scratch_init 0
		.amdhsa_user_sgpr_private_segment_size 0
		.amdhsa_uses_dynamic_stack 0
		.amdhsa_system_sgpr_private_segment_wavefront_offset 0
		.amdhsa_system_sgpr_workgroup_id_x 1
		.amdhsa_system_sgpr_workgroup_id_y 0
		.amdhsa_system_sgpr_workgroup_id_z 0
		.amdhsa_system_sgpr_workgroup_info 0
		.amdhsa_system_vgpr_workitem_id 0
		.amdhsa_next_free_vgpr 47
		.amdhsa_next_free_sgpr 24
		.amdhsa_reserve_vcc 1
		.amdhsa_reserve_flat_scratch 0
		.amdhsa_float_round_mode_32 0
		.amdhsa_float_round_mode_16_64 0
		.amdhsa_float_denorm_mode_32 3
		.amdhsa_float_denorm_mode_16_64 3
		.amdhsa_dx10_clamp 1
		.amdhsa_ieee_mode 1
		.amdhsa_fp16_overflow 0
		.amdhsa_exception_fp_ieee_invalid_op 0
		.amdhsa_exception_fp_denorm_src 0
		.amdhsa_exception_fp_ieee_div_zero 0
		.amdhsa_exception_fp_ieee_overflow 0
		.amdhsa_exception_fp_ieee_underflow 0
		.amdhsa_exception_fp_ieee_inexact 0
		.amdhsa_exception_int_div_zero 0
	.end_amdhsa_kernel
	.section	.text._ZN9rocsparseL18bsrxmvn_4x4_kernelILj128ELj64EfliDF16_DF16_fEEvT3_20rocsparse_direction_NS_24const_host_device_scalarIT1_EES1_PKS1_PKT2_SA_S7_PKT4_PKT5_S5_PT6_21rocsparse_index_base_b,"axG",@progbits,_ZN9rocsparseL18bsrxmvn_4x4_kernelILj128ELj64EfliDF16_DF16_fEEvT3_20rocsparse_direction_NS_24const_host_device_scalarIT1_EES1_PKS1_PKT2_SA_S7_PKT4_PKT5_S5_PT6_21rocsparse_index_base_b,comdat
.Lfunc_end99:
	.size	_ZN9rocsparseL18bsrxmvn_4x4_kernelILj128ELj64EfliDF16_DF16_fEEvT3_20rocsparse_direction_NS_24const_host_device_scalarIT1_EES1_PKS1_PKT2_SA_S7_PKT4_PKT5_S5_PT6_21rocsparse_index_base_b, .Lfunc_end99-_ZN9rocsparseL18bsrxmvn_4x4_kernelILj128ELj64EfliDF16_DF16_fEEvT3_20rocsparse_direction_NS_24const_host_device_scalarIT1_EES1_PKS1_PKT2_SA_S7_PKT4_PKT5_S5_PT6_21rocsparse_index_base_b
                                        ; -- End function
	.set _ZN9rocsparseL18bsrxmvn_4x4_kernelILj128ELj64EfliDF16_DF16_fEEvT3_20rocsparse_direction_NS_24const_host_device_scalarIT1_EES1_PKS1_PKT2_SA_S7_PKT4_PKT5_S5_PT6_21rocsparse_index_base_b.num_vgpr, 47
	.set _ZN9rocsparseL18bsrxmvn_4x4_kernelILj128ELj64EfliDF16_DF16_fEEvT3_20rocsparse_direction_NS_24const_host_device_scalarIT1_EES1_PKS1_PKT2_SA_S7_PKT4_PKT5_S5_PT6_21rocsparse_index_base_b.num_agpr, 0
	.set _ZN9rocsparseL18bsrxmvn_4x4_kernelILj128ELj64EfliDF16_DF16_fEEvT3_20rocsparse_direction_NS_24const_host_device_scalarIT1_EES1_PKS1_PKT2_SA_S7_PKT4_PKT5_S5_PT6_21rocsparse_index_base_b.numbered_sgpr, 24
	.set _ZN9rocsparseL18bsrxmvn_4x4_kernelILj128ELj64EfliDF16_DF16_fEEvT3_20rocsparse_direction_NS_24const_host_device_scalarIT1_EES1_PKS1_PKT2_SA_S7_PKT4_PKT5_S5_PT6_21rocsparse_index_base_b.num_named_barrier, 0
	.set _ZN9rocsparseL18bsrxmvn_4x4_kernelILj128ELj64EfliDF16_DF16_fEEvT3_20rocsparse_direction_NS_24const_host_device_scalarIT1_EES1_PKS1_PKT2_SA_S7_PKT4_PKT5_S5_PT6_21rocsparse_index_base_b.private_seg_size, 0
	.set _ZN9rocsparseL18bsrxmvn_4x4_kernelILj128ELj64EfliDF16_DF16_fEEvT3_20rocsparse_direction_NS_24const_host_device_scalarIT1_EES1_PKS1_PKT2_SA_S7_PKT4_PKT5_S5_PT6_21rocsparse_index_base_b.uses_vcc, 1
	.set _ZN9rocsparseL18bsrxmvn_4x4_kernelILj128ELj64EfliDF16_DF16_fEEvT3_20rocsparse_direction_NS_24const_host_device_scalarIT1_EES1_PKS1_PKT2_SA_S7_PKT4_PKT5_S5_PT6_21rocsparse_index_base_b.uses_flat_scratch, 0
	.set _ZN9rocsparseL18bsrxmvn_4x4_kernelILj128ELj64EfliDF16_DF16_fEEvT3_20rocsparse_direction_NS_24const_host_device_scalarIT1_EES1_PKS1_PKT2_SA_S7_PKT4_PKT5_S5_PT6_21rocsparse_index_base_b.has_dyn_sized_stack, 0
	.set _ZN9rocsparseL18bsrxmvn_4x4_kernelILj128ELj64EfliDF16_DF16_fEEvT3_20rocsparse_direction_NS_24const_host_device_scalarIT1_EES1_PKS1_PKT2_SA_S7_PKT4_PKT5_S5_PT6_21rocsparse_index_base_b.has_recursion, 0
	.set _ZN9rocsparseL18bsrxmvn_4x4_kernelILj128ELj64EfliDF16_DF16_fEEvT3_20rocsparse_direction_NS_24const_host_device_scalarIT1_EES1_PKS1_PKT2_SA_S7_PKT4_PKT5_S5_PT6_21rocsparse_index_base_b.has_indirect_call, 0
	.section	.AMDGPU.csdata,"",@progbits
; Kernel info:
; codeLenInByte = 3788
; TotalNumSgprs: 28
; NumVgprs: 47
; ScratchSize: 0
; MemoryBound: 0
; FloatMode: 240
; IeeeMode: 1
; LDSByteSize: 0 bytes/workgroup (compile time only)
; SGPRBlocks: 3
; VGPRBlocks: 11
; NumSGPRsForWavesPerEU: 28
; NumVGPRsForWavesPerEU: 47
; Occupancy: 5
; WaveLimiterHint : 1
; COMPUTE_PGM_RSRC2:SCRATCH_EN: 0
; COMPUTE_PGM_RSRC2:USER_SGPR: 6
; COMPUTE_PGM_RSRC2:TRAP_HANDLER: 0
; COMPUTE_PGM_RSRC2:TGID_X_EN: 1
; COMPUTE_PGM_RSRC2:TGID_Y_EN: 0
; COMPUTE_PGM_RSRC2:TGID_Z_EN: 0
; COMPUTE_PGM_RSRC2:TIDIG_COMP_CNT: 0
	.section	.text._ZN9rocsparseL18bsrxmvn_4x4_kernelILj128ELj4EfllDF16_DF16_fEEvT3_20rocsparse_direction_NS_24const_host_device_scalarIT1_EES1_PKS1_PKT2_SA_S7_PKT4_PKT5_S5_PT6_21rocsparse_index_base_b,"axG",@progbits,_ZN9rocsparseL18bsrxmvn_4x4_kernelILj128ELj4EfllDF16_DF16_fEEvT3_20rocsparse_direction_NS_24const_host_device_scalarIT1_EES1_PKS1_PKT2_SA_S7_PKT4_PKT5_S5_PT6_21rocsparse_index_base_b,comdat
	.globl	_ZN9rocsparseL18bsrxmvn_4x4_kernelILj128ELj4EfllDF16_DF16_fEEvT3_20rocsparse_direction_NS_24const_host_device_scalarIT1_EES1_PKS1_PKT2_SA_S7_PKT4_PKT5_S5_PT6_21rocsparse_index_base_b ; -- Begin function _ZN9rocsparseL18bsrxmvn_4x4_kernelILj128ELj4EfllDF16_DF16_fEEvT3_20rocsparse_direction_NS_24const_host_device_scalarIT1_EES1_PKS1_PKT2_SA_S7_PKT4_PKT5_S5_PT6_21rocsparse_index_base_b
	.p2align	8
	.type	_ZN9rocsparseL18bsrxmvn_4x4_kernelILj128ELj4EfllDF16_DF16_fEEvT3_20rocsparse_direction_NS_24const_host_device_scalarIT1_EES1_PKS1_PKT2_SA_S7_PKT4_PKT5_S5_PT6_21rocsparse_index_base_b,@function
_ZN9rocsparseL18bsrxmvn_4x4_kernelILj128ELj4EfllDF16_DF16_fEEvT3_20rocsparse_direction_NS_24const_host_device_scalarIT1_EES1_PKS1_PKT2_SA_S7_PKT4_PKT5_S5_PT6_21rocsparse_index_base_b: ; @_ZN9rocsparseL18bsrxmvn_4x4_kernelILj128ELj4EfllDF16_DF16_fEEvT3_20rocsparse_direction_NS_24const_host_device_scalarIT1_EES1_PKS1_PKT2_SA_S7_PKT4_PKT5_S5_PT6_21rocsparse_index_base_b
; %bb.0:
	s_load_dwordx2 s[0:1], s[4:5], 0x60
	s_load_dwordx4 s[16:19], s[4:5], 0x10
	s_load_dwordx2 s[20:21], s[4:5], 0x50
	s_waitcnt lgkmcnt(0)
	s_bitcmp1_b32 s1, 0
	s_cselect_b64 s[8:9], -1, 0
	s_xor_b64 s[2:3], s[8:9], -1
	s_and_b64 vcc, exec, s[8:9]
	s_cbranch_vccnz .LBB100_2
; %bb.1:
	s_load_dword s16, s[16:17], 0x0
.LBB100_2:
	s_andn2_b64 vcc, exec, s[2:3]
	s_cbranch_vccnz .LBB100_4
; %bb.3:
	s_load_dword s20, s[20:21], 0x0
.LBB100_4:
	s_waitcnt lgkmcnt(0)
	v_cmp_neq_f32_e64 s[2:3], s16, 0
	v_cmp_neq_f32_e64 s[8:9], s20, 1.0
	s_or_b64 s[2:3], s[2:3], s[8:9]
	s_andn2_b64 vcc, exec, s[2:3]
	s_cbranch_vccnz .LBB100_10
; %bb.5:
	s_load_dwordx2 s[8:9], s[4:5], 0x20
	v_lshrrev_b32_e32 v1, 2, v0
	v_lshl_or_b32 v6, s6, 5, v1
	v_mov_b32_e32 v7, 0
	s_mov_b64 s[2:3], 0
	s_waitcnt lgkmcnt(0)
	s_cmp_lg_u64 s[8:9], 0
	s_cbranch_scc0 .LBB100_11
; %bb.6:
	v_cmp_gt_i64_e32 vcc, s[18:19], v[6:7]
                                        ; implicit-def: $vgpr4_vgpr5
                                        ; implicit-def: $vgpr1_vgpr2
	s_and_saveexec_b64 s[6:7], vcc
	s_xor_b64 s[6:7], exec, s[6:7]
	s_cbranch_execz .LBB100_8
; %bb.7:
	v_lshlrev_b64 v[1:2], 3, v[6:7]
	v_mov_b32_e32 v3, s9
	v_add_co_u32_e32 v1, vcc, s8, v1
	v_addc_co_u32_e32 v2, vcc, v3, v2, vcc
	global_load_dwordx2 v[1:2], v[1:2], off
	s_mov_b32 s1, 0
	s_mov_b64 s[2:3], exec
	s_waitcnt vmcnt(0)
	v_subrev_co_u32_e32 v4, vcc, s0, v1
	v_subbrev_co_u32_e32 v5, vcc, 0, v2, vcc
	v_mov_b32_e32 v2, s1
	v_mov_b32_e32 v1, s0
.LBB100_8:
	s_or_b64 exec, exec, s[6:7]
.LBB100_9:
	s_and_saveexec_b64 s[0:1], s[2:3]
	s_cbranch_execnz .LBB100_15
.LBB100_10:
	s_endpgm
.LBB100_11:
                                        ; implicit-def: $vgpr4_vgpr5
                                        ; implicit-def: $vgpr1_vgpr2
	s_cbranch_execz .LBB100_9
; %bb.12:
	s_load_dwordx2 s[6:7], s[4:5], 0x0
	s_waitcnt lgkmcnt(0)
	v_cmp_gt_i64_e32 vcc, s[6:7], v[6:7]
	s_and_saveexec_b64 s[6:7], vcc
; %bb.13:
	s_mov_b32 s1, 0
	s_or_b64 s[2:3], s[2:3], exec
; %bb.14:
	s_or_b64 exec, exec, s[6:7]
	v_mov_b32_e32 v2, s1
	v_mov_b32_e32 v4, v6
	;; [unrolled: 1-line block ×4, first 2 shown]
	s_and_saveexec_b64 s[0:1], s[2:3]
	s_cbranch_execz .LBB100_10
.LBB100_15:
	s_load_dwordx8 s[8:15], s[4:5], 0x28
	v_lshlrev_b64 v[6:7], 3, v[4:5]
	v_and_b32_e32 v0, 3, v0
	s_waitcnt lgkmcnt(0)
	v_mov_b32_e32 v3, s9
	v_add_co_u32_e32 v8, vcc, s8, v6
	v_addc_co_u32_e32 v9, vcc, v3, v7, vcc
	v_add_co_u32_e32 v3, vcc, 8, v8
	global_load_dwordx2 v[14:15], v[8:9], off
	v_addc_co_u32_e32 v8, vcc, 0, v9, vcc
	v_mov_b32_e32 v9, s11
	v_add_co_u32_e32 v6, vcc, s10, v6
	s_cmp_eq_u64 s[10:11], 0
	v_addc_co_u32_e32 v7, vcc, v9, v7, vcc
	s_cselect_b64 vcc, -1, 0
	v_cndmask_b32_e32 v7, v7, v8, vcc
	v_cndmask_b32_e32 v6, v6, v3, vcc
	global_load_dwordx2 v[8:9], v[6:7], off
	s_load_dword s0, s[4:5], 0x8
	s_load_dwordx2 s[6:7], s[4:5], 0x48
	v_mov_b32_e32 v12, s15
	v_mov_b32_e32 v3, 0
	s_waitcnt lgkmcnt(0)
	s_cmp_eq_u32 s0, 1
	s_waitcnt vmcnt(1)
	v_sub_co_u32_e32 v6, vcc, v14, v1
	v_subb_co_u32_e32 v7, vcc, v15, v2, vcc
	v_add_co_u32_e32 v6, vcc, v6, v0
	v_addc_co_u32_e32 v7, vcc, 0, v7, vcc
	v_lshlrev_b64 v[10:11], 5, v[6:7]
	s_waitcnt vmcnt(0)
	v_sub_co_u32_e32 v8, vcc, v8, v1
	v_subb_co_u32_e32 v9, vcc, v9, v2, vcc
	v_cmp_lt_i64_e64 s[0:1], v[6:7], v[8:9]
	v_add_co_u32_e32 v10, vcc, s14, v10
	v_addc_co_u32_e32 v11, vcc, v12, v11, vcc
	s_cbranch_scc1 .LBB100_27
; %bb.16:
	v_mov_b32_e32 v12, 0
	v_mov_b32_e32 v26, 0
	;; [unrolled: 1-line block ×3, first 2 shown]
	s_and_saveexec_b64 s[8:9], s[0:1]
	s_cbranch_execz .LBB100_26
; %bb.17:
	v_or_b32_e32 v3, 4, v0
	v_sub_co_u32_e32 v3, vcc, v3, v1
	v_subb_co_u32_e32 v13, vcc, 0, v2, vcc
	v_add_co_u32_e32 v12, vcc, v3, v14
	v_addc_co_u32_e32 v13, vcc, v13, v15, vcc
	v_cmp_gt_i64_e32 vcc, v[12:13], v[8:9]
	v_not_b32_e32 v16, v14
	v_cndmask_b32_e32 v3, v9, v13, vcc
	v_cndmask_b32_e32 v12, v8, v12, vcc
	v_sub_co_u32_e32 v17, vcc, v1, v0
	v_subbrev_co_u32_e32 v18, vcc, 0, v2, vcc
	v_not_b32_e32 v13, v15
	v_add_co_u32_e32 v16, vcc, v17, v16
	v_addc_co_u32_e32 v13, vcc, v18, v13, vcc
	v_add_co_u32_e32 v20, vcc, v16, v12
	v_addc_co_u32_e32 v21, vcc, v13, v3, vcc
	v_and_b32_e32 v12, 12, v20
	v_mov_b32_e32 v13, 0
	v_cmp_ne_u64_e32 vcc, 12, v[12:13]
	v_mov_b32_e32 v17, v7
	v_mov_b32_e32 v19, v11
	;; [unrolled: 1-line block ×7, first 2 shown]
	s_and_saveexec_b64 s[10:11], vcc
	s_cbranch_execz .LBB100_21
; %bb.18:
	v_lshlrev_b64 v[12:13], 3, v[6:7]
	v_lshrrev_b32_e32 v3, 2, v20
	v_add_u32_e32 v3, 1, v3
	v_mov_b32_e32 v17, s13
	v_add_co_u32_e32 v22, vcc, s12, v12
	v_and_b32_e32 v16, 3, v3
	v_addc_co_u32_e32 v23, vcc, v17, v13, vcc
	v_sub_co_u32_e32 v24, vcc, 0, v16
	v_mov_b32_e32 v19, v11
	v_mov_b32_e32 v17, v7
	;; [unrolled: 1-line block ×3, first 2 shown]
	s_mov_b64 s[14:15], 0
	v_subb_co_u32_e64 v25, s[2:3], 0, 0, vcc
	s_movk_i32 s17, 0x80
	v_mov_b32_e32 v27, s7
	v_mov_b32_e32 v18, v10
	;; [unrolled: 1-line block ×6, first 2 shown]
.LBB100_19:                             ; =>This Inner Loop Header: Depth=1
	global_load_dwordx2 v[36:37], v[22:23], off
	global_load_dwordx4 v[28:31], v[18:19], off
	global_load_dwordx4 v[32:35], v[18:19], off offset:16
	v_add_co_u32_e64 v16, s[2:3], 4, v16
	v_addc_co_u32_e64 v17, s[2:3], 0, v17, s[2:3]
	v_add_co_u32_e64 v22, s[2:3], 32, v22
	v_addc_co_u32_e64 v23, s[2:3], 0, v23, s[2:3]
	v_add_co_u32_e64 v24, s[2:3], 1, v24
	v_addc_co_u32_e64 v25, s[2:3], 0, v25, s[2:3]
	v_cmp_eq_u64_e64 s[2:3], 0, v[24:25]
	s_or_b64 s[14:15], s[2:3], s[14:15]
	s_waitcnt vmcnt(2)
	v_sub_co_u32_e32 v36, vcc, v36, v1
	v_subb_co_u32_e32 v37, vcc, v37, v2, vcc
	v_lshlrev_b64 v[36:37], 3, v[36:37]
	v_add_co_u32_e32 v36, vcc, s6, v36
	v_addc_co_u32_e32 v37, vcc, v27, v37, vcc
	global_load_dwordx2 v[36:37], v[36:37], off
	v_add_co_u32_e32 v18, vcc, s17, v18
	v_addc_co_u32_e32 v19, vcc, 0, v19, vcc
	s_waitcnt vmcnt(0)
	v_fma_mix_f32 v13, v28, v36, v13 op_sel_hi:[1,1,0]
	v_fma_mix_f32 v26, v30, v36, v26 op_sel_hi:[1,1,0]
	;; [unrolled: 1-line block ×4, first 2 shown]
	v_fma_mix_f32 v13, v28, v36, v13 op_sel:[1,1,0] op_sel_hi:[1,1,0]
	v_fma_mix_f32 v26, v30, v36, v26 op_sel:[1,1,0] op_sel_hi:[1,1,0]
	;; [unrolled: 1-line block ×4, first 2 shown]
	v_fma_mix_f32 v13, v29, v37, v13 op_sel_hi:[1,1,0]
	v_fma_mix_f32 v26, v31, v37, v26 op_sel_hi:[1,1,0]
	;; [unrolled: 1-line block ×4, first 2 shown]
	v_fma_mix_f32 v26, v31, v37, v26 op_sel:[1,1,0] op_sel_hi:[1,1,0]
	v_fma_mix_f32 v13, v29, v37, v13 op_sel:[1,1,0] op_sel_hi:[1,1,0]
	;; [unrolled: 1-line block ×4, first 2 shown]
	s_andn2_b64 exec, exec, s[14:15]
	s_cbranch_execnz .LBB100_19
; %bb.20:
	s_or_b64 exec, exec, s[14:15]
.LBB100_21:
	s_or_b64 exec, exec, s[10:11]
	v_cmp_lt_u64_e32 vcc, 11, v[20:21]
	s_and_saveexec_b64 s[10:11], vcc
	s_cbranch_execz .LBB100_25
; %bb.22:
	v_lshlrev_b64 v[20:21], 3, v[16:17]
	v_mov_b32_e32 v22, s13
	v_add_co_u32_e32 v20, vcc, s12, v20
	v_addc_co_u32_e32 v21, vcc, v22, v21, vcc
	v_add_co_u32_e32 v20, vcc, 64, v20
	v_addc_co_u32_e32 v21, vcc, 0, v21, vcc
	s_mov_b64 s[14:15], 0
	v_mov_b32_e32 v22, s7
	s_movk_i32 s17, 0x200
.LBB100_23:                             ; =>This Inner Loop Header: Depth=1
	global_load_dwordx2 v[23:24], v[20:21], off offset:-64
	global_load_dwordx2 v[35:36], v[20:21], off offset:-32
	global_load_dwordx2 v[37:38], v[20:21], off
	global_load_dwordx2 v[39:40], v[20:21], off offset:32
	global_load_dwordx4 v[27:30], v[18:19], off
	global_load_dwordx4 v[31:34], v[18:19], off offset:16
	s_waitcnt vmcnt(5)
	v_sub_co_u32_e32 v23, vcc, v23, v1
	v_subb_co_u32_e32 v24, vcc, v24, v2, vcc
	s_waitcnt vmcnt(4)
	v_sub_co_u32_e32 v35, vcc, v35, v1
	v_subb_co_u32_e32 v36, vcc, v36, v2, vcc
	;; [unrolled: 3-line block ×3, first 2 shown]
	s_waitcnt vmcnt(2)
	v_sub_co_u32_e32 v39, vcc, v39, v1
	v_lshlrev_b64 v[23:24], 3, v[23:24]
	v_subb_co_u32_e32 v40, vcc, v40, v2, vcc
	v_lshlrev_b64 v[35:36], 3, v[35:36]
	v_add_co_u32_e32 v23, vcc, s6, v23
	v_addc_co_u32_e32 v24, vcc, v22, v24, vcc
	v_lshlrev_b64 v[37:38], 3, v[37:38]
	v_add_co_u32_e32 v41, vcc, s6, v35
	v_addc_co_u32_e32 v42, vcc, v22, v36, vcc
	;; [unrolled: 3-line block ×3, first 2 shown]
	v_add_co_u32_e32 v39, vcc, s6, v39
	v_addc_co_u32_e32 v40, vcc, v22, v40, vcc
	global_load_dwordx4 v[35:38], v[18:19], off offset:128
	global_load_dwordx2 v[45:46], v[23:24], off
	global_load_dwordx2 v[47:48], v[41:42], off
	;; [unrolled: 1-line block ×4, first 2 shown]
	s_waitcnt vmcnt(3)
	v_fma_mix_f32 v23, v29, v45, v26 op_sel_hi:[1,1,0]
	v_fma_mix_f32 v23, v29, v45, v23 op_sel:[1,1,0] op_sel_hi:[1,1,0]
	v_fma_mix_f32 v23, v30, v46, v23 op_sel_hi:[1,1,0]
	v_fma_mix_f32 v39, v30, v46, v23 op_sel:[1,1,0] op_sel_hi:[1,1,0]
	global_load_dwordx4 v[23:26], v[18:19], off offset:144
	v_fma_mix_f32 v12, v31, v45, v12 op_sel_hi:[1,1,0]
	v_fma_mix_f32 v13, v27, v45, v13 op_sel_hi:[1,1,0]
	;; [unrolled: 1-line block ×3, first 2 shown]
	v_fma_mix_f32 v12, v31, v45, v12 op_sel:[1,1,0] op_sel_hi:[1,1,0]
	s_waitcnt vmcnt(3)
	v_fma_mix_f32 v31, v37, v47, v39 op_sel_hi:[1,1,0]
	v_fma_mix_f32 v13, v27, v45, v13 op_sel:[1,1,0] op_sel_hi:[1,1,0]
	v_fma_mix_f32 v3, v33, v45, v3 op_sel:[1,1,0] op_sel_hi:[1,1,0]
	v_fma_mix_f32 v31, v37, v47, v31 op_sel:[1,1,0] op_sel_hi:[1,1,0]
	v_fma_mix_f32 v13, v28, v46, v13 op_sel_hi:[1,1,0]
	v_fma_mix_f32 v12, v32, v46, v12 op_sel_hi:[1,1,0]
	;; [unrolled: 1-line block ×4, first 2 shown]
	v_fma_mix_f32 v13, v28, v46, v13 op_sel:[1,1,0] op_sel_hi:[1,1,0]
	v_fma_mix_f32 v12, v32, v46, v12 op_sel:[1,1,0] op_sel_hi:[1,1,0]
	;; [unrolled: 1-line block ×3, first 2 shown]
	global_load_dwordx4 v[27:30], v[18:19], off offset:256
	v_fma_mix_f32 v39, v38, v48, v31 op_sel:[1,1,0] op_sel_hi:[1,1,0]
	global_load_dwordx4 v[31:34], v[18:19], off offset:272
	v_fma_mix_f32 v13, v35, v47, v13 op_sel_hi:[1,1,0]
	v_fma_mix_f32 v13, v35, v47, v13 op_sel:[1,1,0] op_sel_hi:[1,1,0]
	v_fma_mix_f32 v13, v36, v48, v13 op_sel_hi:[1,1,0]
	v_fma_mix_f32 v13, v36, v48, v13 op_sel:[1,1,0] op_sel_hi:[1,1,0]
	s_waitcnt vmcnt(2)
	v_fma_mix_f32 v12, v23, v47, v12 op_sel_hi:[1,1,0]
	v_fma_mix_f32 v3, v25, v47, v3 op_sel_hi:[1,1,0]
	v_fma_mix_f32 v12, v23, v47, v12 op_sel:[1,1,0] op_sel_hi:[1,1,0]
	v_fma_mix_f32 v3, v25, v47, v3 op_sel:[1,1,0] op_sel_hi:[1,1,0]
	v_fma_mix_f32 v12, v24, v48, v12 op_sel_hi:[1,1,0]
	v_fma_mix_f32 v3, v26, v48, v3 op_sel_hi:[1,1,0]
	v_fma_mix_f32 v12, v24, v48, v12 op_sel:[1,1,0] op_sel_hi:[1,1,0]
	v_fma_mix_f32 v3, v26, v48, v3 op_sel:[1,1,0] op_sel_hi:[1,1,0]
	global_load_dwordx4 v[23:26], v[18:19], off offset:384
	global_load_dwordx4 v[35:38], v[18:19], off offset:400
	v_add_co_u32_e32 v18, vcc, s17, v18
	s_mov_b64 s[2:3], vcc
	v_add_co_u32_e32 v16, vcc, 16, v16
	v_addc_co_u32_e32 v17, vcc, 0, v17, vcc
	s_waitcnt vmcnt(3)
	v_fma_mix_f32 v13, v27, v49, v13 op_sel_hi:[1,1,0]
	v_fma_mix_f32 v39, v29, v49, v39 op_sel_hi:[1,1,0]
	s_waitcnt vmcnt(2)
	v_fma_mix_f32 v12, v31, v49, v12 op_sel_hi:[1,1,0]
	v_fma_mix_f32 v3, v33, v49, v3 op_sel_hi:[1,1,0]
	v_fma_mix_f32 v13, v27, v49, v13 op_sel:[1,1,0] op_sel_hi:[1,1,0]
	v_fma_mix_f32 v27, v29, v49, v39 op_sel:[1,1,0] op_sel_hi:[1,1,0]
	;; [unrolled: 1-line block ×4, first 2 shown]
	v_fma_mix_f32 v13, v28, v50, v13 op_sel_hi:[1,1,0]
	v_fma_mix_f32 v27, v30, v50, v27 op_sel_hi:[1,1,0]
	;; [unrolled: 1-line block ×4, first 2 shown]
	v_fma_mix_f32 v13, v28, v50, v13 op_sel:[1,1,0] op_sel_hi:[1,1,0]
	v_fma_mix_f32 v27, v30, v50, v27 op_sel:[1,1,0] op_sel_hi:[1,1,0]
	;; [unrolled: 1-line block ×4, first 2 shown]
	v_addc_co_u32_e64 v19, s[2:3], 0, v19, s[2:3]
	v_cmp_ge_i64_e64 s[2:3], v[16:17], v[8:9]
	v_add_co_u32_e32 v20, vcc, 0x80, v20
	v_addc_co_u32_e32 v21, vcc, 0, v21, vcc
	s_or_b64 s[14:15], s[2:3], s[14:15]
	s_waitcnt vmcnt(1)
	v_fma_mix_f32 v13, v23, v51, v13 op_sel_hi:[1,1,0]
	v_fma_mix_f32 v27, v25, v51, v27 op_sel_hi:[1,1,0]
	s_waitcnt vmcnt(0)
	v_fma_mix_f32 v12, v35, v51, v12 op_sel_hi:[1,1,0]
	v_fma_mix_f32 v3, v37, v51, v3 op_sel_hi:[1,1,0]
	v_fma_mix_f32 v13, v23, v51, v13 op_sel:[1,1,0] op_sel_hi:[1,1,0]
	v_fma_mix_f32 v23, v25, v51, v27 op_sel:[1,1,0] op_sel_hi:[1,1,0]
	;; [unrolled: 1-line block ×4, first 2 shown]
	v_fma_mix_f32 v13, v24, v52, v13 op_sel_hi:[1,1,0]
	v_fma_mix_f32 v23, v26, v52, v23 op_sel_hi:[1,1,0]
	;; [unrolled: 1-line block ×4, first 2 shown]
	v_fma_mix_f32 v13, v24, v52, v13 op_sel:[1,1,0] op_sel_hi:[1,1,0]
	v_fma_mix_f32 v26, v26, v52, v23 op_sel:[1,1,0] op_sel_hi:[1,1,0]
	;; [unrolled: 1-line block ×4, first 2 shown]
	s_andn2_b64 exec, exec, s[14:15]
	s_cbranch_execnz .LBB100_23
; %bb.24:
	s_or_b64 exec, exec, s[14:15]
.LBB100_25:
	s_or_b64 exec, exec, s[10:11]
.LBB100_26:
	s_or_b64 exec, exec, s[8:9]
	s_cbranch_execz .LBB100_28
	s_branch .LBB100_39
.LBB100_27:
                                        ; implicit-def: $vgpr3
                                        ; implicit-def: $vgpr12
                                        ; implicit-def: $vgpr26
                                        ; implicit-def: $vgpr13
.LBB100_28:
	v_mov_b32_e32 v3, 0
	v_mov_b32_e32 v12, 0
	;; [unrolled: 1-line block ×4, first 2 shown]
	s_and_saveexec_b64 s[2:3], s[0:1]
	s_cbranch_execz .LBB100_38
; %bb.29:
	v_or_b32_e32 v3, 4, v0
	v_sub_co_u32_e32 v3, vcc, v3, v1
	v_subb_co_u32_e32 v13, vcc, 0, v2, vcc
	v_add_co_u32_e32 v12, vcc, v3, v14
	v_addc_co_u32_e32 v13, vcc, v13, v15, vcc
	v_cmp_gt_i64_e32 vcc, v[12:13], v[8:9]
	v_not_b32_e32 v14, v14
	v_cndmask_b32_e32 v3, v9, v13, vcc
	v_cndmask_b32_e32 v12, v8, v12, vcc
	v_not_b32_e32 v13, v15
	v_sub_co_u32_e32 v15, vcc, v1, v0
	v_subbrev_co_u32_e32 v16, vcc, 0, v2, vcc
	v_add_co_u32_e32 v14, vcc, v15, v14
	v_addc_co_u32_e32 v13, vcc, v16, v13, vcc
	v_add_co_u32_e32 v14, vcc, v14, v12
	v_addc_co_u32_e32 v15, vcc, v13, v3, vcc
	v_and_b32_e32 v12, 12, v14
	v_mov_b32_e32 v13, 0
	v_cmp_ne_u64_e32 vcc, 12, v[12:13]
	v_mov_b32_e32 v26, v13
	v_mov_b32_e32 v12, v13
	;; [unrolled: 1-line block ×3, first 2 shown]
	s_and_saveexec_b64 s[8:9], vcc
	s_cbranch_execz .LBB100_33
; %bb.30:
	v_lshlrev_b64 v[12:13], 3, v[6:7]
	v_lshrrev_b32_e32 v3, 2, v14
	v_add_u32_e32 v3, 1, v3
	v_mov_b32_e32 v17, s13
	v_add_co_u32_e32 v16, vcc, s12, v12
	v_and_b32_e32 v18, 3, v3
	v_addc_co_u32_e32 v17, vcc, v17, v13, vcc
	v_sub_co_u32_e32 v18, vcc, 0, v18
	v_mov_b32_e32 v3, 0
	s_mov_b64 s[10:11], 0
	v_subb_co_u32_e64 v19, s[0:1], 0, 0, vcc
	s_movk_i32 s14, 0x80
	v_mov_b32_e32 v20, s7
	v_mov_b32_e32 v12, 0
	;; [unrolled: 1-line block ×4, first 2 shown]
.LBB100_31:                             ; =>This Inner Loop Header: Depth=1
	global_load_dwordx2 v[27:28], v[16:17], off
	global_load_dwordx4 v[21:24], v[10:11], off
	v_add_co_u32_e64 v6, s[0:1], 4, v6
	v_addc_co_u32_e64 v7, s[0:1], 0, v7, s[0:1]
	v_add_co_u32_e64 v16, s[0:1], 32, v16
	v_addc_co_u32_e64 v17, s[0:1], 0, v17, s[0:1]
	;; [unrolled: 2-line block ×3, first 2 shown]
	v_cmp_eq_u64_e64 s[0:1], 0, v[18:19]
	s_or_b64 s[10:11], s[0:1], s[10:11]
	s_waitcnt vmcnt(1)
	v_sub_co_u32_e32 v27, vcc, v27, v1
	v_subb_co_u32_e32 v28, vcc, v28, v2, vcc
	v_lshlrev_b64 v[27:28], 3, v[27:28]
	v_add_co_u32_e32 v31, vcc, s6, v27
	v_addc_co_u32_e32 v32, vcc, v20, v28, vcc
	global_load_dwordx2 v[33:34], v[31:32], off
	global_load_dwordx4 v[27:30], v[10:11], off offset:16
	v_add_co_u32_e32 v10, vcc, s14, v10
	v_addc_co_u32_e32 v11, vcc, 0, v11, vcc
	s_waitcnt vmcnt(1)
	v_fma_mix_f32 v13, v21, v33, v13 op_sel_hi:[1,1,0]
	v_fma_mix_f32 v21, v21, v33, v26 op_sel:[1,0,0] op_sel_hi:[1,1,0]
	v_fma_mix_f32 v12, v22, v33, v12 op_sel_hi:[1,1,0]
	v_fma_mix_f32 v3, v22, v33, v3 op_sel:[1,0,0] op_sel_hi:[1,1,0]
	v_fma_mix_f32 v13, v23, v33, v13 op_sel:[0,1,0] op_sel_hi:[1,1,0]
	v_fma_mix_f32 v21, v23, v33, v21 op_sel:[1,1,0] op_sel_hi:[1,1,0]
	v_fma_mix_f32 v12, v24, v33, v12 op_sel:[0,1,0] op_sel_hi:[1,1,0]
	v_fma_mix_f32 v3, v24, v33, v3 op_sel:[1,1,0] op_sel_hi:[1,1,0]
	s_waitcnt vmcnt(0)
	v_fma_mix_f32 v13, v27, v34, v13 op_sel_hi:[1,1,0]
	v_fma_mix_f32 v21, v27, v34, v21 op_sel:[1,0,0] op_sel_hi:[1,1,0]
	v_fma_mix_f32 v12, v28, v34, v12 op_sel_hi:[1,1,0]
	v_fma_mix_f32 v3, v28, v34, v3 op_sel:[1,0,0] op_sel_hi:[1,1,0]
	v_fma_mix_f32 v13, v29, v34, v13 op_sel:[0,1,0] op_sel_hi:[1,1,0]
	;; [unrolled: 1-line block ×5, first 2 shown]
	s_andn2_b64 exec, exec, s[10:11]
	s_cbranch_execnz .LBB100_31
; %bb.32:
	s_or_b64 exec, exec, s[10:11]
.LBB100_33:
	s_or_b64 exec, exec, s[8:9]
	v_cmp_lt_u64_e32 vcc, 11, v[14:15]
	s_and_saveexec_b64 s[8:9], vcc
	s_cbranch_execz .LBB100_37
; %bb.34:
	v_lshlrev_b64 v[14:15], 3, v[6:7]
	v_mov_b32_e32 v16, s13
	v_add_co_u32_e32 v14, vcc, s12, v14
	v_addc_co_u32_e32 v15, vcc, v16, v15, vcc
	v_add_co_u32_e32 v14, vcc, 64, v14
	v_addc_co_u32_e32 v15, vcc, 0, v15, vcc
	s_mov_b64 s[10:11], 0
	v_mov_b32_e32 v16, s7
	s_movk_i32 s7, 0x200
.LBB100_35:                             ; =>This Inner Loop Header: Depth=1
	global_load_dwordx2 v[27:28], v[14:15], off offset:-64
	global_load_dwordx2 v[29:30], v[14:15], off offset:-32
	global_load_dwordx2 v[31:32], v[14:15], off
	global_load_dwordx2 v[33:34], v[14:15], off offset:32
	global_load_dwordx4 v[17:20], v[10:11], off
	global_load_dwordx4 v[21:24], v[10:11], off offset:16
	v_add_co_u32_e64 v6, s[0:1], 16, v6
	v_addc_co_u32_e64 v7, s[0:1], 0, v7, s[0:1]
	v_cmp_ge_i64_e64 s[0:1], v[6:7], v[8:9]
	s_or_b64 s[10:11], s[0:1], s[10:11]
	s_waitcnt vmcnt(5)
	v_sub_co_u32_e32 v27, vcc, v27, v1
	v_subb_co_u32_e32 v28, vcc, v28, v2, vcc
	s_waitcnt vmcnt(4)
	v_sub_co_u32_e32 v29, vcc, v29, v1
	v_subb_co_u32_e32 v30, vcc, v30, v2, vcc
	;; [unrolled: 3-line block ×3, first 2 shown]
	s_waitcnt vmcnt(2)
	v_sub_co_u32_e32 v33, vcc, v33, v1
	v_lshlrev_b64 v[27:28], 3, v[27:28]
	v_subb_co_u32_e32 v34, vcc, v34, v2, vcc
	v_lshlrev_b64 v[29:30], 3, v[29:30]
	v_add_co_u32_e32 v35, vcc, s6, v27
	v_addc_co_u32_e32 v36, vcc, v16, v28, vcc
	v_lshlrev_b64 v[31:32], 3, v[31:32]
	v_add_co_u32_e32 v37, vcc, s6, v29
	v_addc_co_u32_e32 v38, vcc, v16, v30, vcc
	;; [unrolled: 3-line block ×3, first 2 shown]
	v_add_co_u32_e32 v33, vcc, s6, v33
	v_addc_co_u32_e32 v34, vcc, v16, v34, vcc
	global_load_dwordx4 v[27:30], v[10:11], off offset:128
	global_load_dwordx2 v[39:40], v[35:36], off
	global_load_dwordx2 v[41:42], v[37:38], off
	;; [unrolled: 1-line block ×4, first 2 shown]
	s_waitcnt vmcnt(3)
	v_fma_mix_f32 v13, v17, v39, v13 op_sel_hi:[1,1,0]
	v_fma_mix_f32 v17, v17, v39, v26 op_sel:[1,0,0] op_sel_hi:[1,1,0]
	v_fma_mix_f32 v12, v18, v39, v12 op_sel_hi:[1,1,0]
	v_fma_mix_f32 v3, v18, v39, v3 op_sel:[1,0,0] op_sel_hi:[1,1,0]
	v_fma_mix_f32 v13, v19, v39, v13 op_sel:[0,1,0] op_sel_hi:[1,1,0]
	;; [unrolled: 1-line block ×5, first 2 shown]
	global_load_dwordx4 v[17:20], v[10:11], off offset:144
	v_fma_mix_f32 v13, v21, v40, v13 op_sel_hi:[1,1,0]
	v_fma_mix_f32 v21, v21, v40, v25 op_sel:[1,0,0] op_sel_hi:[1,1,0]
	v_fma_mix_f32 v12, v22, v40, v12 op_sel_hi:[1,1,0]
	v_fma_mix_f32 v3, v22, v40, v3 op_sel:[1,0,0] op_sel_hi:[1,1,0]
	v_fma_mix_f32 v13, v23, v40, v13 op_sel:[0,1,0] op_sel_hi:[1,1,0]
	;; [unrolled: 1-line block ×5, first 2 shown]
	global_load_dwordx4 v[21:24], v[10:11], off offset:256
	s_waitcnt vmcnt(4)
	v_fma_mix_f32 v13, v27, v41, v13 op_sel_hi:[1,1,0]
	v_fma_mix_f32 v25, v27, v41, v25 op_sel:[1,0,0] op_sel_hi:[1,1,0]
	v_fma_mix_f32 v12, v28, v41, v12 op_sel_hi:[1,1,0]
	v_fma_mix_f32 v3, v28, v41, v3 op_sel:[1,0,0] op_sel_hi:[1,1,0]
	v_fma_mix_f32 v13, v29, v41, v13 op_sel:[0,1,0] op_sel_hi:[1,1,0]
	;; [unrolled: 1-line block ×3, first 2 shown]
	global_load_dwordx4 v[25:28], v[10:11], off offset:272
	v_fma_mix_f32 v12, v30, v41, v12 op_sel:[0,1,0] op_sel_hi:[1,1,0]
	v_fma_mix_f32 v3, v30, v41, v3 op_sel:[1,1,0] op_sel_hi:[1,1,0]
	s_waitcnt vmcnt(2)
	v_fma_mix_f32 v13, v17, v42, v13 op_sel_hi:[1,1,0]
	v_fma_mix_f32 v17, v17, v42, v29 op_sel:[1,0,0] op_sel_hi:[1,1,0]
	v_fma_mix_f32 v12, v18, v42, v12 op_sel_hi:[1,1,0]
	v_fma_mix_f32 v3, v18, v42, v3 op_sel:[1,0,0] op_sel_hi:[1,1,0]
	v_fma_mix_f32 v13, v19, v42, v13 op_sel:[0,1,0] op_sel_hi:[1,1,0]
	;; [unrolled: 1-line block ×5, first 2 shown]
	global_load_dwordx4 v[17:20], v[10:11], off offset:384
	global_load_dwordx4 v[29:32], v[10:11], off offset:400
	s_waitcnt vmcnt(3)
	v_fma_mix_f32 v13, v21, v43, v13 op_sel_hi:[1,1,0]
	v_fma_mix_f32 v21, v21, v43, v33 op_sel:[1,0,0] op_sel_hi:[1,1,0]
	v_fma_mix_f32 v12, v22, v43, v12 op_sel_hi:[1,1,0]
	v_fma_mix_f32 v3, v22, v43, v3 op_sel:[1,0,0] op_sel_hi:[1,1,0]
	v_fma_mix_f32 v13, v23, v43, v13 op_sel:[0,1,0] op_sel_hi:[1,1,0]
	;; [unrolled: 1-line block ×5, first 2 shown]
	s_waitcnt vmcnt(2)
	v_fma_mix_f32 v13, v25, v44, v13 op_sel_hi:[1,1,0]
	v_fma_mix_f32 v21, v25, v44, v21 op_sel:[1,0,0] op_sel_hi:[1,1,0]
	v_fma_mix_f32 v12, v26, v44, v12 op_sel_hi:[1,1,0]
	v_fma_mix_f32 v3, v26, v44, v3 op_sel:[1,0,0] op_sel_hi:[1,1,0]
	v_fma_mix_f32 v13, v27, v44, v13 op_sel:[0,1,0] op_sel_hi:[1,1,0]
	;; [unrolled: 1-line block ×5, first 2 shown]
	v_add_co_u32_e32 v10, vcc, s7, v10
	v_addc_co_u32_e32 v11, vcc, 0, v11, vcc
	v_add_co_u32_e32 v14, vcc, 0x80, v14
	v_addc_co_u32_e32 v15, vcc, 0, v15, vcc
	s_waitcnt vmcnt(1)
	v_fma_mix_f32 v13, v17, v45, v13 op_sel_hi:[1,1,0]
	v_fma_mix_f32 v17, v17, v45, v21 op_sel:[1,0,0] op_sel_hi:[1,1,0]
	v_fma_mix_f32 v12, v18, v45, v12 op_sel_hi:[1,1,0]
	v_fma_mix_f32 v3, v18, v45, v3 op_sel:[1,0,0] op_sel_hi:[1,1,0]
	v_fma_mix_f32 v13, v19, v45, v13 op_sel:[0,1,0] op_sel_hi:[1,1,0]
	;; [unrolled: 1-line block ×5, first 2 shown]
	s_waitcnt vmcnt(0)
	v_fma_mix_f32 v13, v29, v46, v13 op_sel_hi:[1,1,0]
	v_fma_mix_f32 v17, v29, v46, v17 op_sel:[1,0,0] op_sel_hi:[1,1,0]
	v_fma_mix_f32 v12, v30, v46, v12 op_sel_hi:[1,1,0]
	v_fma_mix_f32 v3, v30, v46, v3 op_sel:[1,0,0] op_sel_hi:[1,1,0]
	v_fma_mix_f32 v13, v31, v46, v13 op_sel:[0,1,0] op_sel_hi:[1,1,0]
	;; [unrolled: 1-line block ×5, first 2 shown]
	s_andn2_b64 exec, exec, s[10:11]
	s_cbranch_execnz .LBB100_35
; %bb.36:
	s_or_b64 exec, exec, s[10:11]
.LBB100_37:
	s_or_b64 exec, exec, s[8:9]
.LBB100_38:
	s_or_b64 exec, exec, s[2:3]
.LBB100_39:
	v_mov_b32_dpp v1, v13 row_shr:1 row_mask:0xf bank_mask:0xf
	v_mov_b32_dpp v6, v26 row_shr:1 row_mask:0xf bank_mask:0xf
	;; [unrolled: 1-line block ×4, first 2 shown]
	v_add_f32_e32 v1, v13, v1
	v_add_f32_e32 v6, v26, v6
	;; [unrolled: 1-line block ×4, first 2 shown]
	v_mov_b32_dpp v2, v1 row_shr:2 row_mask:0xf bank_mask:0xf
	v_mov_b32_dpp v7, v6 row_shr:2 row_mask:0xf bank_mask:0xf
	;; [unrolled: 1-line block ×4, first 2 shown]
	v_cmp_eq_u32_e32 vcc, 3, v0
	s_and_b64 exec, exec, vcc
	s_cbranch_execz .LBB100_10
; %bb.40:
	s_load_dwordx2 s[0:1], s[4:5], 0x58
	v_add_f32_e32 v0, v1, v2
	v_add_f32_e32 v1, v6, v7
	;; [unrolled: 1-line block ×4, first 2 shown]
	v_cmp_eq_f32_e64 s[2:3], s20, 0
	v_lshlrev_b64 v[4:5], 4, v[4:5]
	s_and_b64 vcc, exec, s[2:3]
	v_mul_f32_e32 v0, s16, v0
	v_mul_f32_e32 v1, s16, v1
	;; [unrolled: 1-line block ×4, first 2 shown]
	s_cbranch_vccz .LBB100_42
; %bb.41:
	s_waitcnt lgkmcnt(0)
	v_mov_b32_e32 v7, s1
	v_add_co_u32_e32 v6, vcc, s0, v4
	v_addc_co_u32_e32 v7, vcc, v7, v5, vcc
	global_store_dwordx4 v[6:7], v[0:3], off
	s_cbranch_execnz .LBB100_10
	s_branch .LBB100_43
.LBB100_42:
.LBB100_43:
	s_waitcnt lgkmcnt(0)
	v_mov_b32_e32 v6, s1
	v_add_co_u32_e32 v8, vcc, s0, v4
	v_addc_co_u32_e32 v9, vcc, v6, v5, vcc
	global_load_dwordx4 v[4:7], v[8:9], off
	s_waitcnt vmcnt(0)
	v_fmac_f32_e32 v0, s20, v4
	v_fmac_f32_e32 v1, s20, v5
	v_fmac_f32_e32 v2, s20, v6
	v_fmac_f32_e32 v3, s20, v7
	global_store_dwordx4 v[8:9], v[0:3], off
	s_endpgm
	.section	.rodata,"a",@progbits
	.p2align	6, 0x0
	.amdhsa_kernel _ZN9rocsparseL18bsrxmvn_4x4_kernelILj128ELj4EfllDF16_DF16_fEEvT3_20rocsparse_direction_NS_24const_host_device_scalarIT1_EES1_PKS1_PKT2_SA_S7_PKT4_PKT5_S5_PT6_21rocsparse_index_base_b
		.amdhsa_group_segment_fixed_size 0
		.amdhsa_private_segment_fixed_size 0
		.amdhsa_kernarg_size 104
		.amdhsa_user_sgpr_count 6
		.amdhsa_user_sgpr_private_segment_buffer 1
		.amdhsa_user_sgpr_dispatch_ptr 0
		.amdhsa_user_sgpr_queue_ptr 0
		.amdhsa_user_sgpr_kernarg_segment_ptr 1
		.amdhsa_user_sgpr_dispatch_id 0
		.amdhsa_user_sgpr_flat_scratch_init 0
		.amdhsa_user_sgpr_private_segment_size 0
		.amdhsa_uses_dynamic_stack 0
		.amdhsa_system_sgpr_private_segment_wavefront_offset 0
		.amdhsa_system_sgpr_workgroup_id_x 1
		.amdhsa_system_sgpr_workgroup_id_y 0
		.amdhsa_system_sgpr_workgroup_id_z 0
		.amdhsa_system_sgpr_workgroup_info 0
		.amdhsa_system_vgpr_workitem_id 0
		.amdhsa_next_free_vgpr 53
		.amdhsa_next_free_sgpr 22
		.amdhsa_reserve_vcc 1
		.amdhsa_reserve_flat_scratch 0
		.amdhsa_float_round_mode_32 0
		.amdhsa_float_round_mode_16_64 0
		.amdhsa_float_denorm_mode_32 3
		.amdhsa_float_denorm_mode_16_64 3
		.amdhsa_dx10_clamp 1
		.amdhsa_ieee_mode 1
		.amdhsa_fp16_overflow 0
		.amdhsa_exception_fp_ieee_invalid_op 0
		.amdhsa_exception_fp_denorm_src 0
		.amdhsa_exception_fp_ieee_div_zero 0
		.amdhsa_exception_fp_ieee_overflow 0
		.amdhsa_exception_fp_ieee_underflow 0
		.amdhsa_exception_fp_ieee_inexact 0
		.amdhsa_exception_int_div_zero 0
	.end_amdhsa_kernel
	.section	.text._ZN9rocsparseL18bsrxmvn_4x4_kernelILj128ELj4EfllDF16_DF16_fEEvT3_20rocsparse_direction_NS_24const_host_device_scalarIT1_EES1_PKS1_PKT2_SA_S7_PKT4_PKT5_S5_PT6_21rocsparse_index_base_b,"axG",@progbits,_ZN9rocsparseL18bsrxmvn_4x4_kernelILj128ELj4EfllDF16_DF16_fEEvT3_20rocsparse_direction_NS_24const_host_device_scalarIT1_EES1_PKS1_PKT2_SA_S7_PKT4_PKT5_S5_PT6_21rocsparse_index_base_b,comdat
.Lfunc_end100:
	.size	_ZN9rocsparseL18bsrxmvn_4x4_kernelILj128ELj4EfllDF16_DF16_fEEvT3_20rocsparse_direction_NS_24const_host_device_scalarIT1_EES1_PKS1_PKT2_SA_S7_PKT4_PKT5_S5_PT6_21rocsparse_index_base_b, .Lfunc_end100-_ZN9rocsparseL18bsrxmvn_4x4_kernelILj128ELj4EfllDF16_DF16_fEEvT3_20rocsparse_direction_NS_24const_host_device_scalarIT1_EES1_PKS1_PKT2_SA_S7_PKT4_PKT5_S5_PT6_21rocsparse_index_base_b
                                        ; -- End function
	.set _ZN9rocsparseL18bsrxmvn_4x4_kernelILj128ELj4EfllDF16_DF16_fEEvT3_20rocsparse_direction_NS_24const_host_device_scalarIT1_EES1_PKS1_PKT2_SA_S7_PKT4_PKT5_S5_PT6_21rocsparse_index_base_b.num_vgpr, 53
	.set _ZN9rocsparseL18bsrxmvn_4x4_kernelILj128ELj4EfllDF16_DF16_fEEvT3_20rocsparse_direction_NS_24const_host_device_scalarIT1_EES1_PKS1_PKT2_SA_S7_PKT4_PKT5_S5_PT6_21rocsparse_index_base_b.num_agpr, 0
	.set _ZN9rocsparseL18bsrxmvn_4x4_kernelILj128ELj4EfllDF16_DF16_fEEvT3_20rocsparse_direction_NS_24const_host_device_scalarIT1_EES1_PKS1_PKT2_SA_S7_PKT4_PKT5_S5_PT6_21rocsparse_index_base_b.numbered_sgpr, 22
	.set _ZN9rocsparseL18bsrxmvn_4x4_kernelILj128ELj4EfllDF16_DF16_fEEvT3_20rocsparse_direction_NS_24const_host_device_scalarIT1_EES1_PKS1_PKT2_SA_S7_PKT4_PKT5_S5_PT6_21rocsparse_index_base_b.num_named_barrier, 0
	.set _ZN9rocsparseL18bsrxmvn_4x4_kernelILj128ELj4EfllDF16_DF16_fEEvT3_20rocsparse_direction_NS_24const_host_device_scalarIT1_EES1_PKS1_PKT2_SA_S7_PKT4_PKT5_S5_PT6_21rocsparse_index_base_b.private_seg_size, 0
	.set _ZN9rocsparseL18bsrxmvn_4x4_kernelILj128ELj4EfllDF16_DF16_fEEvT3_20rocsparse_direction_NS_24const_host_device_scalarIT1_EES1_PKS1_PKT2_SA_S7_PKT4_PKT5_S5_PT6_21rocsparse_index_base_b.uses_vcc, 1
	.set _ZN9rocsparseL18bsrxmvn_4x4_kernelILj128ELj4EfllDF16_DF16_fEEvT3_20rocsparse_direction_NS_24const_host_device_scalarIT1_EES1_PKS1_PKT2_SA_S7_PKT4_PKT5_S5_PT6_21rocsparse_index_base_b.uses_flat_scratch, 0
	.set _ZN9rocsparseL18bsrxmvn_4x4_kernelILj128ELj4EfllDF16_DF16_fEEvT3_20rocsparse_direction_NS_24const_host_device_scalarIT1_EES1_PKS1_PKT2_SA_S7_PKT4_PKT5_S5_PT6_21rocsparse_index_base_b.has_dyn_sized_stack, 0
	.set _ZN9rocsparseL18bsrxmvn_4x4_kernelILj128ELj4EfllDF16_DF16_fEEvT3_20rocsparse_direction_NS_24const_host_device_scalarIT1_EES1_PKS1_PKT2_SA_S7_PKT4_PKT5_S5_PT6_21rocsparse_index_base_b.has_recursion, 0
	.set _ZN9rocsparseL18bsrxmvn_4x4_kernelILj128ELj4EfllDF16_DF16_fEEvT3_20rocsparse_direction_NS_24const_host_device_scalarIT1_EES1_PKS1_PKT2_SA_S7_PKT4_PKT5_S5_PT6_21rocsparse_index_base_b.has_indirect_call, 0
	.section	.AMDGPU.csdata,"",@progbits
; Kernel info:
; codeLenInByte = 3492
; TotalNumSgprs: 26
; NumVgprs: 53
; ScratchSize: 0
; MemoryBound: 0
; FloatMode: 240
; IeeeMode: 1
; LDSByteSize: 0 bytes/workgroup (compile time only)
; SGPRBlocks: 3
; VGPRBlocks: 13
; NumSGPRsForWavesPerEU: 26
; NumVGPRsForWavesPerEU: 53
; Occupancy: 4
; WaveLimiterHint : 1
; COMPUTE_PGM_RSRC2:SCRATCH_EN: 0
; COMPUTE_PGM_RSRC2:USER_SGPR: 6
; COMPUTE_PGM_RSRC2:TRAP_HANDLER: 0
; COMPUTE_PGM_RSRC2:TGID_X_EN: 1
; COMPUTE_PGM_RSRC2:TGID_Y_EN: 0
; COMPUTE_PGM_RSRC2:TGID_Z_EN: 0
; COMPUTE_PGM_RSRC2:TIDIG_COMP_CNT: 0
	.section	.text._ZN9rocsparseL18bsrxmvn_4x4_kernelILj128ELj8EfllDF16_DF16_fEEvT3_20rocsparse_direction_NS_24const_host_device_scalarIT1_EES1_PKS1_PKT2_SA_S7_PKT4_PKT5_S5_PT6_21rocsparse_index_base_b,"axG",@progbits,_ZN9rocsparseL18bsrxmvn_4x4_kernelILj128ELj8EfllDF16_DF16_fEEvT3_20rocsparse_direction_NS_24const_host_device_scalarIT1_EES1_PKS1_PKT2_SA_S7_PKT4_PKT5_S5_PT6_21rocsparse_index_base_b,comdat
	.globl	_ZN9rocsparseL18bsrxmvn_4x4_kernelILj128ELj8EfllDF16_DF16_fEEvT3_20rocsparse_direction_NS_24const_host_device_scalarIT1_EES1_PKS1_PKT2_SA_S7_PKT4_PKT5_S5_PT6_21rocsparse_index_base_b ; -- Begin function _ZN9rocsparseL18bsrxmvn_4x4_kernelILj128ELj8EfllDF16_DF16_fEEvT3_20rocsparse_direction_NS_24const_host_device_scalarIT1_EES1_PKS1_PKT2_SA_S7_PKT4_PKT5_S5_PT6_21rocsparse_index_base_b
	.p2align	8
	.type	_ZN9rocsparseL18bsrxmvn_4x4_kernelILj128ELj8EfllDF16_DF16_fEEvT3_20rocsparse_direction_NS_24const_host_device_scalarIT1_EES1_PKS1_PKT2_SA_S7_PKT4_PKT5_S5_PT6_21rocsparse_index_base_b,@function
_ZN9rocsparseL18bsrxmvn_4x4_kernelILj128ELj8EfllDF16_DF16_fEEvT3_20rocsparse_direction_NS_24const_host_device_scalarIT1_EES1_PKS1_PKT2_SA_S7_PKT4_PKT5_S5_PT6_21rocsparse_index_base_b: ; @_ZN9rocsparseL18bsrxmvn_4x4_kernelILj128ELj8EfllDF16_DF16_fEEvT3_20rocsparse_direction_NS_24const_host_device_scalarIT1_EES1_PKS1_PKT2_SA_S7_PKT4_PKT5_S5_PT6_21rocsparse_index_base_b
; %bb.0:
	s_load_dwordx2 s[0:1], s[4:5], 0x60
	s_load_dwordx4 s[16:19], s[4:5], 0x10
	s_load_dwordx2 s[20:21], s[4:5], 0x50
	s_waitcnt lgkmcnt(0)
	s_bitcmp1_b32 s1, 0
	s_cselect_b64 s[8:9], -1, 0
	s_xor_b64 s[2:3], s[8:9], -1
	s_and_b64 vcc, exec, s[8:9]
	s_cbranch_vccnz .LBB101_2
; %bb.1:
	s_load_dword s16, s[16:17], 0x0
.LBB101_2:
	s_andn2_b64 vcc, exec, s[2:3]
	s_cbranch_vccnz .LBB101_4
; %bb.3:
	s_load_dword s20, s[20:21], 0x0
.LBB101_4:
	s_waitcnt lgkmcnt(0)
	v_cmp_neq_f32_e64 s[2:3], s16, 0
	v_cmp_neq_f32_e64 s[8:9], s20, 1.0
	s_or_b64 s[2:3], s[2:3], s[8:9]
	s_andn2_b64 vcc, exec, s[2:3]
	s_cbranch_vccnz .LBB101_10
; %bb.5:
	s_load_dwordx2 s[8:9], s[4:5], 0x20
	v_lshrrev_b32_e32 v1, 3, v0
	v_lshl_or_b32 v6, s6, 4, v1
	v_mov_b32_e32 v7, 0
	s_mov_b64 s[2:3], 0
	s_waitcnt lgkmcnt(0)
	s_cmp_lg_u64 s[8:9], 0
	s_cbranch_scc0 .LBB101_11
; %bb.6:
	v_cmp_gt_i64_e32 vcc, s[18:19], v[6:7]
                                        ; implicit-def: $vgpr4_vgpr5
                                        ; implicit-def: $vgpr1_vgpr2
	s_and_saveexec_b64 s[6:7], vcc
	s_xor_b64 s[6:7], exec, s[6:7]
	s_cbranch_execz .LBB101_8
; %bb.7:
	v_lshlrev_b64 v[1:2], 3, v[6:7]
	v_mov_b32_e32 v3, s9
	v_add_co_u32_e32 v1, vcc, s8, v1
	v_addc_co_u32_e32 v2, vcc, v3, v2, vcc
	global_load_dwordx2 v[1:2], v[1:2], off
	s_mov_b32 s1, 0
	s_mov_b64 s[2:3], exec
	s_waitcnt vmcnt(0)
	v_subrev_co_u32_e32 v4, vcc, s0, v1
	v_subbrev_co_u32_e32 v5, vcc, 0, v2, vcc
	v_mov_b32_e32 v2, s1
	v_mov_b32_e32 v1, s0
.LBB101_8:
	s_or_b64 exec, exec, s[6:7]
.LBB101_9:
	s_and_saveexec_b64 s[0:1], s[2:3]
	s_cbranch_execnz .LBB101_15
.LBB101_10:
	s_endpgm
.LBB101_11:
                                        ; implicit-def: $vgpr4_vgpr5
                                        ; implicit-def: $vgpr1_vgpr2
	s_cbranch_execz .LBB101_9
; %bb.12:
	s_load_dwordx2 s[6:7], s[4:5], 0x0
	s_waitcnt lgkmcnt(0)
	v_cmp_gt_i64_e32 vcc, s[6:7], v[6:7]
	s_and_saveexec_b64 s[6:7], vcc
; %bb.13:
	s_mov_b32 s1, 0
	s_or_b64 s[2:3], s[2:3], exec
; %bb.14:
	s_or_b64 exec, exec, s[6:7]
	v_mov_b32_e32 v2, s1
	v_mov_b32_e32 v4, v6
	v_mov_b32_e32 v1, s0
	v_mov_b32_e32 v5, v7
	s_and_saveexec_b64 s[0:1], s[2:3]
	s_cbranch_execz .LBB101_10
.LBB101_15:
	s_load_dwordx8 s[8:15], s[4:5], 0x28
	v_lshlrev_b64 v[6:7], 3, v[4:5]
	v_and_b32_e32 v0, 7, v0
	s_waitcnt lgkmcnt(0)
	v_mov_b32_e32 v3, s9
	v_add_co_u32_e32 v8, vcc, s8, v6
	v_addc_co_u32_e32 v9, vcc, v3, v7, vcc
	v_add_co_u32_e32 v3, vcc, 8, v8
	global_load_dwordx2 v[14:15], v[8:9], off
	v_addc_co_u32_e32 v8, vcc, 0, v9, vcc
	v_mov_b32_e32 v9, s11
	v_add_co_u32_e32 v6, vcc, s10, v6
	s_cmp_eq_u64 s[10:11], 0
	v_addc_co_u32_e32 v7, vcc, v9, v7, vcc
	s_cselect_b64 vcc, -1, 0
	v_cndmask_b32_e32 v7, v7, v8, vcc
	v_cndmask_b32_e32 v6, v6, v3, vcc
	global_load_dwordx2 v[8:9], v[6:7], off
	s_load_dword s0, s[4:5], 0x8
	s_load_dwordx2 s[6:7], s[4:5], 0x48
	v_mov_b32_e32 v12, s15
	v_mov_b32_e32 v3, 0
	s_waitcnt lgkmcnt(0)
	s_cmp_eq_u32 s0, 1
	s_waitcnt vmcnt(1)
	v_sub_co_u32_e32 v6, vcc, v14, v1
	v_subb_co_u32_e32 v7, vcc, v15, v2, vcc
	v_add_co_u32_e32 v6, vcc, v6, v0
	v_addc_co_u32_e32 v7, vcc, 0, v7, vcc
	v_lshlrev_b64 v[10:11], 5, v[6:7]
	s_waitcnt vmcnt(0)
	v_sub_co_u32_e32 v8, vcc, v8, v1
	v_subb_co_u32_e32 v9, vcc, v9, v2, vcc
	v_cmp_lt_i64_e64 s[0:1], v[6:7], v[8:9]
	v_add_co_u32_e32 v10, vcc, s14, v10
	v_addc_co_u32_e32 v11, vcc, v12, v11, vcc
	s_cbranch_scc1 .LBB101_27
; %bb.16:
	v_mov_b32_e32 v12, 0
	v_mov_b32_e32 v26, 0
	;; [unrolled: 1-line block ×3, first 2 shown]
	s_and_saveexec_b64 s[8:9], s[0:1]
	s_cbranch_execz .LBB101_26
; %bb.17:
	v_or_b32_e32 v3, 8, v0
	v_sub_co_u32_e32 v3, vcc, v3, v1
	v_subb_co_u32_e32 v13, vcc, 0, v2, vcc
	v_add_co_u32_e32 v12, vcc, v3, v14
	v_addc_co_u32_e32 v13, vcc, v13, v15, vcc
	v_cmp_gt_i64_e32 vcc, v[12:13], v[8:9]
	v_not_b32_e32 v16, v14
	v_cndmask_b32_e32 v3, v9, v13, vcc
	v_cndmask_b32_e32 v12, v8, v12, vcc
	v_sub_co_u32_e32 v17, vcc, v1, v0
	v_subbrev_co_u32_e32 v18, vcc, 0, v2, vcc
	v_not_b32_e32 v13, v15
	v_add_co_u32_e32 v16, vcc, v17, v16
	v_addc_co_u32_e32 v13, vcc, v18, v13, vcc
	v_add_co_u32_e32 v20, vcc, v16, v12
	v_addc_co_u32_e32 v21, vcc, v13, v3, vcc
	v_and_b32_e32 v12, 24, v20
	v_mov_b32_e32 v13, 0
	v_cmp_ne_u64_e32 vcc, 24, v[12:13]
	v_mov_b32_e32 v17, v7
	v_mov_b32_e32 v19, v11
	;; [unrolled: 1-line block ×7, first 2 shown]
	s_and_saveexec_b64 s[10:11], vcc
	s_cbranch_execz .LBB101_21
; %bb.18:
	v_lshlrev_b64 v[12:13], 3, v[6:7]
	v_lshrrev_b32_e32 v3, 3, v20
	v_add_u32_e32 v3, 1, v3
	v_mov_b32_e32 v17, s13
	v_add_co_u32_e32 v22, vcc, s12, v12
	v_and_b32_e32 v16, 3, v3
	v_addc_co_u32_e32 v23, vcc, v17, v13, vcc
	v_sub_co_u32_e32 v24, vcc, 0, v16
	v_mov_b32_e32 v19, v11
	v_mov_b32_e32 v17, v7
	;; [unrolled: 1-line block ×3, first 2 shown]
	s_mov_b64 s[14:15], 0
	v_subb_co_u32_e64 v25, s[2:3], 0, 0, vcc
	s_movk_i32 s17, 0x100
	v_mov_b32_e32 v27, s7
	v_mov_b32_e32 v18, v10
	;; [unrolled: 1-line block ×6, first 2 shown]
.LBB101_19:                             ; =>This Inner Loop Header: Depth=1
	global_load_dwordx2 v[36:37], v[22:23], off
	global_load_dwordx4 v[28:31], v[18:19], off
	global_load_dwordx4 v[32:35], v[18:19], off offset:16
	v_add_co_u32_e64 v16, s[2:3], 8, v16
	v_addc_co_u32_e64 v17, s[2:3], 0, v17, s[2:3]
	v_add_co_u32_e64 v22, s[2:3], 64, v22
	v_addc_co_u32_e64 v23, s[2:3], 0, v23, s[2:3]
	;; [unrolled: 2-line block ×3, first 2 shown]
	v_cmp_eq_u64_e64 s[2:3], 0, v[24:25]
	s_or_b64 s[14:15], s[2:3], s[14:15]
	s_waitcnt vmcnt(2)
	v_sub_co_u32_e32 v36, vcc, v36, v1
	v_subb_co_u32_e32 v37, vcc, v37, v2, vcc
	v_lshlrev_b64 v[36:37], 3, v[36:37]
	v_add_co_u32_e32 v36, vcc, s6, v36
	v_addc_co_u32_e32 v37, vcc, v27, v37, vcc
	global_load_dwordx2 v[36:37], v[36:37], off
	v_add_co_u32_e32 v18, vcc, s17, v18
	v_addc_co_u32_e32 v19, vcc, 0, v19, vcc
	s_waitcnt vmcnt(0)
	v_fma_mix_f32 v13, v28, v36, v13 op_sel_hi:[1,1,0]
	v_fma_mix_f32 v26, v30, v36, v26 op_sel_hi:[1,1,0]
	;; [unrolled: 1-line block ×4, first 2 shown]
	v_fma_mix_f32 v13, v28, v36, v13 op_sel:[1,1,0] op_sel_hi:[1,1,0]
	v_fma_mix_f32 v26, v30, v36, v26 op_sel:[1,1,0] op_sel_hi:[1,1,0]
	;; [unrolled: 1-line block ×4, first 2 shown]
	v_fma_mix_f32 v13, v29, v37, v13 op_sel_hi:[1,1,0]
	v_fma_mix_f32 v26, v31, v37, v26 op_sel_hi:[1,1,0]
	;; [unrolled: 1-line block ×4, first 2 shown]
	v_fma_mix_f32 v26, v31, v37, v26 op_sel:[1,1,0] op_sel_hi:[1,1,0]
	v_fma_mix_f32 v13, v29, v37, v13 op_sel:[1,1,0] op_sel_hi:[1,1,0]
	;; [unrolled: 1-line block ×4, first 2 shown]
	s_andn2_b64 exec, exec, s[14:15]
	s_cbranch_execnz .LBB101_19
; %bb.20:
	s_or_b64 exec, exec, s[14:15]
.LBB101_21:
	s_or_b64 exec, exec, s[10:11]
	v_cmp_lt_u64_e32 vcc, 23, v[20:21]
	s_and_saveexec_b64 s[10:11], vcc
	s_cbranch_execz .LBB101_25
; %bb.22:
	v_lshlrev_b64 v[20:21], 3, v[16:17]
	v_mov_b32_e32 v22, s13
	v_add_co_u32_e32 v20, vcc, s12, v20
	v_addc_co_u32_e32 v21, vcc, v22, v21, vcc
	v_add_co_u32_e32 v20, vcc, 0x80, v20
	v_addc_co_u32_e32 v21, vcc, 0, v21, vcc
	s_mov_b64 s[14:15], 0
	v_mov_b32_e32 v22, s7
	s_movk_i32 s17, 0x400
.LBB101_23:                             ; =>This Inner Loop Header: Depth=1
	global_load_dwordx2 v[23:24], v[20:21], off offset:-128
	global_load_dwordx2 v[35:36], v[20:21], off offset:-64
	global_load_dwordx2 v[37:38], v[20:21], off
	global_load_dwordx2 v[39:40], v[20:21], off offset:64
	global_load_dwordx4 v[27:30], v[18:19], off
	global_load_dwordx4 v[31:34], v[18:19], off offset:16
	s_waitcnt vmcnt(5)
	v_sub_co_u32_e32 v23, vcc, v23, v1
	v_subb_co_u32_e32 v24, vcc, v24, v2, vcc
	s_waitcnt vmcnt(4)
	v_sub_co_u32_e32 v35, vcc, v35, v1
	v_subb_co_u32_e32 v36, vcc, v36, v2, vcc
	;; [unrolled: 3-line block ×3, first 2 shown]
	s_waitcnt vmcnt(2)
	v_sub_co_u32_e32 v39, vcc, v39, v1
	v_lshlrev_b64 v[23:24], 3, v[23:24]
	v_subb_co_u32_e32 v40, vcc, v40, v2, vcc
	v_lshlrev_b64 v[35:36], 3, v[35:36]
	v_add_co_u32_e32 v23, vcc, s6, v23
	v_addc_co_u32_e32 v24, vcc, v22, v24, vcc
	v_lshlrev_b64 v[37:38], 3, v[37:38]
	v_add_co_u32_e32 v41, vcc, s6, v35
	v_addc_co_u32_e32 v42, vcc, v22, v36, vcc
	;; [unrolled: 3-line block ×3, first 2 shown]
	v_add_co_u32_e32 v39, vcc, s6, v39
	v_addc_co_u32_e32 v40, vcc, v22, v40, vcc
	global_load_dwordx4 v[35:38], v[18:19], off offset:256
	global_load_dwordx2 v[45:46], v[23:24], off
	global_load_dwordx2 v[47:48], v[41:42], off
	;; [unrolled: 1-line block ×4, first 2 shown]
	s_waitcnt vmcnt(3)
	v_fma_mix_f32 v23, v29, v45, v26 op_sel_hi:[1,1,0]
	v_fma_mix_f32 v23, v29, v45, v23 op_sel:[1,1,0] op_sel_hi:[1,1,0]
	v_fma_mix_f32 v23, v30, v46, v23 op_sel_hi:[1,1,0]
	v_fma_mix_f32 v39, v30, v46, v23 op_sel:[1,1,0] op_sel_hi:[1,1,0]
	global_load_dwordx4 v[23:26], v[18:19], off offset:272
	v_fma_mix_f32 v12, v31, v45, v12 op_sel_hi:[1,1,0]
	v_fma_mix_f32 v13, v27, v45, v13 op_sel_hi:[1,1,0]
	;; [unrolled: 1-line block ×3, first 2 shown]
	v_fma_mix_f32 v12, v31, v45, v12 op_sel:[1,1,0] op_sel_hi:[1,1,0]
	s_waitcnt vmcnt(3)
	v_fma_mix_f32 v31, v37, v47, v39 op_sel_hi:[1,1,0]
	v_fma_mix_f32 v13, v27, v45, v13 op_sel:[1,1,0] op_sel_hi:[1,1,0]
	v_fma_mix_f32 v3, v33, v45, v3 op_sel:[1,1,0] op_sel_hi:[1,1,0]
	;; [unrolled: 1-line block ×3, first 2 shown]
	v_fma_mix_f32 v13, v28, v46, v13 op_sel_hi:[1,1,0]
	v_fma_mix_f32 v12, v32, v46, v12 op_sel_hi:[1,1,0]
	;; [unrolled: 1-line block ×4, first 2 shown]
	v_fma_mix_f32 v13, v28, v46, v13 op_sel:[1,1,0] op_sel_hi:[1,1,0]
	v_fma_mix_f32 v12, v32, v46, v12 op_sel:[1,1,0] op_sel_hi:[1,1,0]
	;; [unrolled: 1-line block ×3, first 2 shown]
	global_load_dwordx4 v[27:30], v[18:19], off offset:512
	v_fma_mix_f32 v39, v38, v48, v31 op_sel:[1,1,0] op_sel_hi:[1,1,0]
	global_load_dwordx4 v[31:34], v[18:19], off offset:528
	v_fma_mix_f32 v13, v35, v47, v13 op_sel_hi:[1,1,0]
	v_fma_mix_f32 v13, v35, v47, v13 op_sel:[1,1,0] op_sel_hi:[1,1,0]
	v_fma_mix_f32 v13, v36, v48, v13 op_sel_hi:[1,1,0]
	v_fma_mix_f32 v13, v36, v48, v13 op_sel:[1,1,0] op_sel_hi:[1,1,0]
	s_waitcnt vmcnt(2)
	v_fma_mix_f32 v12, v23, v47, v12 op_sel_hi:[1,1,0]
	v_fma_mix_f32 v3, v25, v47, v3 op_sel_hi:[1,1,0]
	v_fma_mix_f32 v12, v23, v47, v12 op_sel:[1,1,0] op_sel_hi:[1,1,0]
	v_fma_mix_f32 v3, v25, v47, v3 op_sel:[1,1,0] op_sel_hi:[1,1,0]
	v_fma_mix_f32 v12, v24, v48, v12 op_sel_hi:[1,1,0]
	v_fma_mix_f32 v3, v26, v48, v3 op_sel_hi:[1,1,0]
	v_fma_mix_f32 v12, v24, v48, v12 op_sel:[1,1,0] op_sel_hi:[1,1,0]
	v_fma_mix_f32 v3, v26, v48, v3 op_sel:[1,1,0] op_sel_hi:[1,1,0]
	global_load_dwordx4 v[23:26], v[18:19], off offset:768
	global_load_dwordx4 v[35:38], v[18:19], off offset:784
	v_add_co_u32_e32 v18, vcc, s17, v18
	s_mov_b64 s[2:3], vcc
	v_add_co_u32_e32 v16, vcc, 32, v16
	v_addc_co_u32_e32 v17, vcc, 0, v17, vcc
	s_waitcnt vmcnt(3)
	v_fma_mix_f32 v13, v27, v49, v13 op_sel_hi:[1,1,0]
	v_fma_mix_f32 v39, v29, v49, v39 op_sel_hi:[1,1,0]
	s_waitcnt vmcnt(2)
	v_fma_mix_f32 v12, v31, v49, v12 op_sel_hi:[1,1,0]
	v_fma_mix_f32 v3, v33, v49, v3 op_sel_hi:[1,1,0]
	v_fma_mix_f32 v13, v27, v49, v13 op_sel:[1,1,0] op_sel_hi:[1,1,0]
	v_fma_mix_f32 v27, v29, v49, v39 op_sel:[1,1,0] op_sel_hi:[1,1,0]
	;; [unrolled: 1-line block ×4, first 2 shown]
	v_fma_mix_f32 v13, v28, v50, v13 op_sel_hi:[1,1,0]
	v_fma_mix_f32 v27, v30, v50, v27 op_sel_hi:[1,1,0]
	;; [unrolled: 1-line block ×4, first 2 shown]
	v_fma_mix_f32 v13, v28, v50, v13 op_sel:[1,1,0] op_sel_hi:[1,1,0]
	v_fma_mix_f32 v27, v30, v50, v27 op_sel:[1,1,0] op_sel_hi:[1,1,0]
	;; [unrolled: 1-line block ×4, first 2 shown]
	v_addc_co_u32_e64 v19, s[2:3], 0, v19, s[2:3]
	v_cmp_ge_i64_e64 s[2:3], v[16:17], v[8:9]
	v_add_co_u32_e32 v20, vcc, 0x100, v20
	v_addc_co_u32_e32 v21, vcc, 0, v21, vcc
	s_or_b64 s[14:15], s[2:3], s[14:15]
	s_waitcnt vmcnt(1)
	v_fma_mix_f32 v13, v23, v51, v13 op_sel_hi:[1,1,0]
	v_fma_mix_f32 v27, v25, v51, v27 op_sel_hi:[1,1,0]
	s_waitcnt vmcnt(0)
	v_fma_mix_f32 v12, v35, v51, v12 op_sel_hi:[1,1,0]
	v_fma_mix_f32 v3, v37, v51, v3 op_sel_hi:[1,1,0]
	v_fma_mix_f32 v13, v23, v51, v13 op_sel:[1,1,0] op_sel_hi:[1,1,0]
	v_fma_mix_f32 v23, v25, v51, v27 op_sel:[1,1,0] op_sel_hi:[1,1,0]
	;; [unrolled: 1-line block ×4, first 2 shown]
	v_fma_mix_f32 v13, v24, v52, v13 op_sel_hi:[1,1,0]
	v_fma_mix_f32 v23, v26, v52, v23 op_sel_hi:[1,1,0]
	;; [unrolled: 1-line block ×4, first 2 shown]
	v_fma_mix_f32 v13, v24, v52, v13 op_sel:[1,1,0] op_sel_hi:[1,1,0]
	v_fma_mix_f32 v26, v26, v52, v23 op_sel:[1,1,0] op_sel_hi:[1,1,0]
	;; [unrolled: 1-line block ×4, first 2 shown]
	s_andn2_b64 exec, exec, s[14:15]
	s_cbranch_execnz .LBB101_23
; %bb.24:
	s_or_b64 exec, exec, s[14:15]
.LBB101_25:
	s_or_b64 exec, exec, s[10:11]
.LBB101_26:
	s_or_b64 exec, exec, s[8:9]
	s_cbranch_execz .LBB101_28
	s_branch .LBB101_39
.LBB101_27:
                                        ; implicit-def: $vgpr3
                                        ; implicit-def: $vgpr12
                                        ; implicit-def: $vgpr26
                                        ; implicit-def: $vgpr13
.LBB101_28:
	v_mov_b32_e32 v3, 0
	v_mov_b32_e32 v12, 0
	;; [unrolled: 1-line block ×4, first 2 shown]
	s_and_saveexec_b64 s[2:3], s[0:1]
	s_cbranch_execz .LBB101_38
; %bb.29:
	v_or_b32_e32 v3, 8, v0
	v_sub_co_u32_e32 v3, vcc, v3, v1
	v_subb_co_u32_e32 v13, vcc, 0, v2, vcc
	v_add_co_u32_e32 v12, vcc, v3, v14
	v_addc_co_u32_e32 v13, vcc, v13, v15, vcc
	v_cmp_gt_i64_e32 vcc, v[12:13], v[8:9]
	v_not_b32_e32 v14, v14
	v_cndmask_b32_e32 v3, v9, v13, vcc
	v_cndmask_b32_e32 v12, v8, v12, vcc
	v_not_b32_e32 v13, v15
	v_sub_co_u32_e32 v15, vcc, v1, v0
	v_subbrev_co_u32_e32 v16, vcc, 0, v2, vcc
	v_add_co_u32_e32 v14, vcc, v15, v14
	v_addc_co_u32_e32 v13, vcc, v16, v13, vcc
	v_add_co_u32_e32 v14, vcc, v14, v12
	v_addc_co_u32_e32 v15, vcc, v13, v3, vcc
	v_and_b32_e32 v12, 24, v14
	v_mov_b32_e32 v13, 0
	v_cmp_ne_u64_e32 vcc, 24, v[12:13]
	v_mov_b32_e32 v26, v13
	v_mov_b32_e32 v12, v13
	;; [unrolled: 1-line block ×3, first 2 shown]
	s_and_saveexec_b64 s[8:9], vcc
	s_cbranch_execz .LBB101_33
; %bb.30:
	v_lshlrev_b64 v[12:13], 3, v[6:7]
	v_lshrrev_b32_e32 v3, 3, v14
	v_add_u32_e32 v3, 1, v3
	v_mov_b32_e32 v17, s13
	v_add_co_u32_e32 v16, vcc, s12, v12
	v_and_b32_e32 v18, 3, v3
	v_addc_co_u32_e32 v17, vcc, v17, v13, vcc
	v_sub_co_u32_e32 v18, vcc, 0, v18
	v_mov_b32_e32 v3, 0
	s_mov_b64 s[10:11], 0
	v_subb_co_u32_e64 v19, s[0:1], 0, 0, vcc
	s_movk_i32 s14, 0x100
	v_mov_b32_e32 v20, s7
	v_mov_b32_e32 v12, 0
	;; [unrolled: 1-line block ×4, first 2 shown]
.LBB101_31:                             ; =>This Inner Loop Header: Depth=1
	global_load_dwordx2 v[27:28], v[16:17], off
	global_load_dwordx4 v[21:24], v[10:11], off
	v_add_co_u32_e64 v6, s[0:1], 8, v6
	v_addc_co_u32_e64 v7, s[0:1], 0, v7, s[0:1]
	v_add_co_u32_e64 v16, s[0:1], 64, v16
	v_addc_co_u32_e64 v17, s[0:1], 0, v17, s[0:1]
	;; [unrolled: 2-line block ×3, first 2 shown]
	v_cmp_eq_u64_e64 s[0:1], 0, v[18:19]
	s_or_b64 s[10:11], s[0:1], s[10:11]
	s_waitcnt vmcnt(1)
	v_sub_co_u32_e32 v27, vcc, v27, v1
	v_subb_co_u32_e32 v28, vcc, v28, v2, vcc
	v_lshlrev_b64 v[27:28], 3, v[27:28]
	v_add_co_u32_e32 v31, vcc, s6, v27
	v_addc_co_u32_e32 v32, vcc, v20, v28, vcc
	global_load_dwordx2 v[33:34], v[31:32], off
	global_load_dwordx4 v[27:30], v[10:11], off offset:16
	v_add_co_u32_e32 v10, vcc, s14, v10
	v_addc_co_u32_e32 v11, vcc, 0, v11, vcc
	s_waitcnt vmcnt(1)
	v_fma_mix_f32 v13, v21, v33, v13 op_sel_hi:[1,1,0]
	v_fma_mix_f32 v21, v21, v33, v26 op_sel:[1,0,0] op_sel_hi:[1,1,0]
	v_fma_mix_f32 v12, v22, v33, v12 op_sel_hi:[1,1,0]
	v_fma_mix_f32 v3, v22, v33, v3 op_sel:[1,0,0] op_sel_hi:[1,1,0]
	v_fma_mix_f32 v13, v23, v33, v13 op_sel:[0,1,0] op_sel_hi:[1,1,0]
	;; [unrolled: 1-line block ×5, first 2 shown]
	s_waitcnt vmcnt(0)
	v_fma_mix_f32 v13, v27, v34, v13 op_sel_hi:[1,1,0]
	v_fma_mix_f32 v21, v27, v34, v21 op_sel:[1,0,0] op_sel_hi:[1,1,0]
	v_fma_mix_f32 v12, v28, v34, v12 op_sel_hi:[1,1,0]
	v_fma_mix_f32 v3, v28, v34, v3 op_sel:[1,0,0] op_sel_hi:[1,1,0]
	v_fma_mix_f32 v13, v29, v34, v13 op_sel:[0,1,0] op_sel_hi:[1,1,0]
	;; [unrolled: 1-line block ×5, first 2 shown]
	s_andn2_b64 exec, exec, s[10:11]
	s_cbranch_execnz .LBB101_31
; %bb.32:
	s_or_b64 exec, exec, s[10:11]
.LBB101_33:
	s_or_b64 exec, exec, s[8:9]
	v_cmp_lt_u64_e32 vcc, 23, v[14:15]
	s_and_saveexec_b64 s[8:9], vcc
	s_cbranch_execz .LBB101_37
; %bb.34:
	v_lshlrev_b64 v[14:15], 3, v[6:7]
	v_mov_b32_e32 v16, s13
	v_add_co_u32_e32 v14, vcc, s12, v14
	v_addc_co_u32_e32 v15, vcc, v16, v15, vcc
	v_add_co_u32_e32 v14, vcc, 0x80, v14
	v_addc_co_u32_e32 v15, vcc, 0, v15, vcc
	s_mov_b64 s[10:11], 0
	v_mov_b32_e32 v16, s7
	s_movk_i32 s7, 0x400
.LBB101_35:                             ; =>This Inner Loop Header: Depth=1
	global_load_dwordx2 v[27:28], v[14:15], off offset:-128
	global_load_dwordx2 v[29:30], v[14:15], off offset:-64
	global_load_dwordx2 v[31:32], v[14:15], off
	global_load_dwordx2 v[33:34], v[14:15], off offset:64
	global_load_dwordx4 v[17:20], v[10:11], off
	global_load_dwordx4 v[21:24], v[10:11], off offset:16
	v_add_co_u32_e64 v6, s[0:1], 32, v6
	v_addc_co_u32_e64 v7, s[0:1], 0, v7, s[0:1]
	v_cmp_ge_i64_e64 s[0:1], v[6:7], v[8:9]
	s_or_b64 s[10:11], s[0:1], s[10:11]
	s_waitcnt vmcnt(5)
	v_sub_co_u32_e32 v27, vcc, v27, v1
	v_subb_co_u32_e32 v28, vcc, v28, v2, vcc
	s_waitcnt vmcnt(4)
	v_sub_co_u32_e32 v29, vcc, v29, v1
	v_subb_co_u32_e32 v30, vcc, v30, v2, vcc
	;; [unrolled: 3-line block ×3, first 2 shown]
	s_waitcnt vmcnt(2)
	v_sub_co_u32_e32 v33, vcc, v33, v1
	v_lshlrev_b64 v[27:28], 3, v[27:28]
	v_subb_co_u32_e32 v34, vcc, v34, v2, vcc
	v_lshlrev_b64 v[29:30], 3, v[29:30]
	v_add_co_u32_e32 v35, vcc, s6, v27
	v_addc_co_u32_e32 v36, vcc, v16, v28, vcc
	v_lshlrev_b64 v[31:32], 3, v[31:32]
	v_add_co_u32_e32 v37, vcc, s6, v29
	v_addc_co_u32_e32 v38, vcc, v16, v30, vcc
	;; [unrolled: 3-line block ×3, first 2 shown]
	v_add_co_u32_e32 v33, vcc, s6, v33
	v_addc_co_u32_e32 v34, vcc, v16, v34, vcc
	global_load_dwordx4 v[27:30], v[10:11], off offset:256
	global_load_dwordx2 v[39:40], v[35:36], off
	global_load_dwordx2 v[41:42], v[37:38], off
	global_load_dwordx2 v[43:44], v[31:32], off
	global_load_dwordx2 v[45:46], v[33:34], off
	s_waitcnt vmcnt(3)
	v_fma_mix_f32 v13, v17, v39, v13 op_sel_hi:[1,1,0]
	v_fma_mix_f32 v17, v17, v39, v26 op_sel:[1,0,0] op_sel_hi:[1,1,0]
	v_fma_mix_f32 v12, v18, v39, v12 op_sel_hi:[1,1,0]
	v_fma_mix_f32 v3, v18, v39, v3 op_sel:[1,0,0] op_sel_hi:[1,1,0]
	v_fma_mix_f32 v13, v19, v39, v13 op_sel:[0,1,0] op_sel_hi:[1,1,0]
	;; [unrolled: 1-line block ×5, first 2 shown]
	global_load_dwordx4 v[17:20], v[10:11], off offset:272
	v_fma_mix_f32 v13, v21, v40, v13 op_sel_hi:[1,1,0]
	v_fma_mix_f32 v21, v21, v40, v25 op_sel:[1,0,0] op_sel_hi:[1,1,0]
	v_fma_mix_f32 v12, v22, v40, v12 op_sel_hi:[1,1,0]
	v_fma_mix_f32 v3, v22, v40, v3 op_sel:[1,0,0] op_sel_hi:[1,1,0]
	v_fma_mix_f32 v13, v23, v40, v13 op_sel:[0,1,0] op_sel_hi:[1,1,0]
	;; [unrolled: 1-line block ×5, first 2 shown]
	global_load_dwordx4 v[21:24], v[10:11], off offset:512
	s_waitcnt vmcnt(4)
	v_fma_mix_f32 v13, v27, v41, v13 op_sel_hi:[1,1,0]
	v_fma_mix_f32 v25, v27, v41, v25 op_sel:[1,0,0] op_sel_hi:[1,1,0]
	v_fma_mix_f32 v12, v28, v41, v12 op_sel_hi:[1,1,0]
	v_fma_mix_f32 v3, v28, v41, v3 op_sel:[1,0,0] op_sel_hi:[1,1,0]
	v_fma_mix_f32 v13, v29, v41, v13 op_sel:[0,1,0] op_sel_hi:[1,1,0]
	;; [unrolled: 1-line block ×3, first 2 shown]
	global_load_dwordx4 v[25:28], v[10:11], off offset:528
	v_fma_mix_f32 v12, v30, v41, v12 op_sel:[0,1,0] op_sel_hi:[1,1,0]
	v_fma_mix_f32 v3, v30, v41, v3 op_sel:[1,1,0] op_sel_hi:[1,1,0]
	s_waitcnt vmcnt(2)
	v_fma_mix_f32 v13, v17, v42, v13 op_sel_hi:[1,1,0]
	v_fma_mix_f32 v17, v17, v42, v29 op_sel:[1,0,0] op_sel_hi:[1,1,0]
	v_fma_mix_f32 v12, v18, v42, v12 op_sel_hi:[1,1,0]
	v_fma_mix_f32 v3, v18, v42, v3 op_sel:[1,0,0] op_sel_hi:[1,1,0]
	v_fma_mix_f32 v13, v19, v42, v13 op_sel:[0,1,0] op_sel_hi:[1,1,0]
	;; [unrolled: 1-line block ×5, first 2 shown]
	global_load_dwordx4 v[17:20], v[10:11], off offset:768
	global_load_dwordx4 v[29:32], v[10:11], off offset:784
	s_waitcnt vmcnt(3)
	v_fma_mix_f32 v13, v21, v43, v13 op_sel_hi:[1,1,0]
	v_fma_mix_f32 v21, v21, v43, v33 op_sel:[1,0,0] op_sel_hi:[1,1,0]
	v_fma_mix_f32 v12, v22, v43, v12 op_sel_hi:[1,1,0]
	v_fma_mix_f32 v3, v22, v43, v3 op_sel:[1,0,0] op_sel_hi:[1,1,0]
	v_fma_mix_f32 v13, v23, v43, v13 op_sel:[0,1,0] op_sel_hi:[1,1,0]
	v_fma_mix_f32 v21, v23, v43, v21 op_sel:[1,1,0] op_sel_hi:[1,1,0]
	v_fma_mix_f32 v12, v24, v43, v12 op_sel:[0,1,0] op_sel_hi:[1,1,0]
	v_fma_mix_f32 v3, v24, v43, v3 op_sel:[1,1,0] op_sel_hi:[1,1,0]
	s_waitcnt vmcnt(2)
	v_fma_mix_f32 v13, v25, v44, v13 op_sel_hi:[1,1,0]
	v_fma_mix_f32 v21, v25, v44, v21 op_sel:[1,0,0] op_sel_hi:[1,1,0]
	v_fma_mix_f32 v12, v26, v44, v12 op_sel_hi:[1,1,0]
	v_fma_mix_f32 v3, v26, v44, v3 op_sel:[1,0,0] op_sel_hi:[1,1,0]
	v_fma_mix_f32 v13, v27, v44, v13 op_sel:[0,1,0] op_sel_hi:[1,1,0]
	;; [unrolled: 1-line block ×5, first 2 shown]
	v_add_co_u32_e32 v10, vcc, s7, v10
	v_addc_co_u32_e32 v11, vcc, 0, v11, vcc
	v_add_co_u32_e32 v14, vcc, 0x100, v14
	v_addc_co_u32_e32 v15, vcc, 0, v15, vcc
	s_waitcnt vmcnt(1)
	v_fma_mix_f32 v13, v17, v45, v13 op_sel_hi:[1,1,0]
	v_fma_mix_f32 v17, v17, v45, v21 op_sel:[1,0,0] op_sel_hi:[1,1,0]
	v_fma_mix_f32 v12, v18, v45, v12 op_sel_hi:[1,1,0]
	v_fma_mix_f32 v3, v18, v45, v3 op_sel:[1,0,0] op_sel_hi:[1,1,0]
	v_fma_mix_f32 v13, v19, v45, v13 op_sel:[0,1,0] op_sel_hi:[1,1,0]
	;; [unrolled: 1-line block ×5, first 2 shown]
	s_waitcnt vmcnt(0)
	v_fma_mix_f32 v13, v29, v46, v13 op_sel_hi:[1,1,0]
	v_fma_mix_f32 v17, v29, v46, v17 op_sel:[1,0,0] op_sel_hi:[1,1,0]
	v_fma_mix_f32 v12, v30, v46, v12 op_sel_hi:[1,1,0]
	v_fma_mix_f32 v3, v30, v46, v3 op_sel:[1,0,0] op_sel_hi:[1,1,0]
	v_fma_mix_f32 v13, v31, v46, v13 op_sel:[0,1,0] op_sel_hi:[1,1,0]
	;; [unrolled: 1-line block ×5, first 2 shown]
	s_andn2_b64 exec, exec, s[10:11]
	s_cbranch_execnz .LBB101_35
; %bb.36:
	s_or_b64 exec, exec, s[10:11]
.LBB101_37:
	s_or_b64 exec, exec, s[8:9]
.LBB101_38:
	s_or_b64 exec, exec, s[2:3]
.LBB101_39:
	v_mov_b32_dpp v1, v13 row_shr:1 row_mask:0xf bank_mask:0xf
	v_mov_b32_dpp v6, v26 row_shr:1 row_mask:0xf bank_mask:0xf
	v_mov_b32_dpp v8, v12 row_shr:1 row_mask:0xf bank_mask:0xf
	v_mov_b32_dpp v10, v3 row_shr:1 row_mask:0xf bank_mask:0xf
	v_add_f32_e32 v1, v13, v1
	v_add_f32_e32 v6, v26, v6
	;; [unrolled: 1-line block ×4, first 2 shown]
	v_mov_b32_dpp v2, v1 row_shr:2 row_mask:0xf bank_mask:0xf
	v_mov_b32_dpp v7, v6 row_shr:2 row_mask:0xf bank_mask:0xf
	;; [unrolled: 1-line block ×4, first 2 shown]
	v_add_f32_e32 v1, v1, v2
	v_add_f32_e32 v6, v6, v7
	;; [unrolled: 1-line block ×4, first 2 shown]
	v_mov_b32_dpp v2, v1 row_shr:4 row_mask:0xf bank_mask:0xe
	v_mov_b32_dpp v7, v6 row_shr:4 row_mask:0xf bank_mask:0xe
	;; [unrolled: 1-line block ×4, first 2 shown]
	v_cmp_eq_u32_e32 vcc, 7, v0
	s_and_b64 exec, exec, vcc
	s_cbranch_execz .LBB101_10
; %bb.40:
	s_load_dwordx2 s[0:1], s[4:5], 0x58
	v_add_f32_e32 v0, v1, v2
	v_add_f32_e32 v1, v6, v7
	;; [unrolled: 1-line block ×4, first 2 shown]
	v_cmp_eq_f32_e64 s[2:3], s20, 0
	v_lshlrev_b64 v[4:5], 4, v[4:5]
	s_and_b64 vcc, exec, s[2:3]
	v_mul_f32_e32 v0, s16, v0
	v_mul_f32_e32 v1, s16, v1
	;; [unrolled: 1-line block ×4, first 2 shown]
	s_cbranch_vccz .LBB101_42
; %bb.41:
	s_waitcnt lgkmcnt(0)
	v_mov_b32_e32 v7, s1
	v_add_co_u32_e32 v6, vcc, s0, v4
	v_addc_co_u32_e32 v7, vcc, v7, v5, vcc
	global_store_dwordx4 v[6:7], v[0:3], off
	s_cbranch_execnz .LBB101_10
	s_branch .LBB101_43
.LBB101_42:
.LBB101_43:
	s_waitcnt lgkmcnt(0)
	v_mov_b32_e32 v6, s1
	v_add_co_u32_e32 v8, vcc, s0, v4
	v_addc_co_u32_e32 v9, vcc, v6, v5, vcc
	global_load_dwordx4 v[4:7], v[8:9], off
	s_waitcnt vmcnt(0)
	v_fmac_f32_e32 v0, s20, v4
	v_fmac_f32_e32 v1, s20, v5
	;; [unrolled: 1-line block ×4, first 2 shown]
	global_store_dwordx4 v[8:9], v[0:3], off
	s_endpgm
	.section	.rodata,"a",@progbits
	.p2align	6, 0x0
	.amdhsa_kernel _ZN9rocsparseL18bsrxmvn_4x4_kernelILj128ELj8EfllDF16_DF16_fEEvT3_20rocsparse_direction_NS_24const_host_device_scalarIT1_EES1_PKS1_PKT2_SA_S7_PKT4_PKT5_S5_PT6_21rocsparse_index_base_b
		.amdhsa_group_segment_fixed_size 0
		.amdhsa_private_segment_fixed_size 0
		.amdhsa_kernarg_size 104
		.amdhsa_user_sgpr_count 6
		.amdhsa_user_sgpr_private_segment_buffer 1
		.amdhsa_user_sgpr_dispatch_ptr 0
		.amdhsa_user_sgpr_queue_ptr 0
		.amdhsa_user_sgpr_kernarg_segment_ptr 1
		.amdhsa_user_sgpr_dispatch_id 0
		.amdhsa_user_sgpr_flat_scratch_init 0
		.amdhsa_user_sgpr_private_segment_size 0
		.amdhsa_uses_dynamic_stack 0
		.amdhsa_system_sgpr_private_segment_wavefront_offset 0
		.amdhsa_system_sgpr_workgroup_id_x 1
		.amdhsa_system_sgpr_workgroup_id_y 0
		.amdhsa_system_sgpr_workgroup_id_z 0
		.amdhsa_system_sgpr_workgroup_info 0
		.amdhsa_system_vgpr_workitem_id 0
		.amdhsa_next_free_vgpr 53
		.amdhsa_next_free_sgpr 22
		.amdhsa_reserve_vcc 1
		.amdhsa_reserve_flat_scratch 0
		.amdhsa_float_round_mode_32 0
		.amdhsa_float_round_mode_16_64 0
		.amdhsa_float_denorm_mode_32 3
		.amdhsa_float_denorm_mode_16_64 3
		.amdhsa_dx10_clamp 1
		.amdhsa_ieee_mode 1
		.amdhsa_fp16_overflow 0
		.amdhsa_exception_fp_ieee_invalid_op 0
		.amdhsa_exception_fp_denorm_src 0
		.amdhsa_exception_fp_ieee_div_zero 0
		.amdhsa_exception_fp_ieee_overflow 0
		.amdhsa_exception_fp_ieee_underflow 0
		.amdhsa_exception_fp_ieee_inexact 0
		.amdhsa_exception_int_div_zero 0
	.end_amdhsa_kernel
	.section	.text._ZN9rocsparseL18bsrxmvn_4x4_kernelILj128ELj8EfllDF16_DF16_fEEvT3_20rocsparse_direction_NS_24const_host_device_scalarIT1_EES1_PKS1_PKT2_SA_S7_PKT4_PKT5_S5_PT6_21rocsparse_index_base_b,"axG",@progbits,_ZN9rocsparseL18bsrxmvn_4x4_kernelILj128ELj8EfllDF16_DF16_fEEvT3_20rocsparse_direction_NS_24const_host_device_scalarIT1_EES1_PKS1_PKT2_SA_S7_PKT4_PKT5_S5_PT6_21rocsparse_index_base_b,comdat
.Lfunc_end101:
	.size	_ZN9rocsparseL18bsrxmvn_4x4_kernelILj128ELj8EfllDF16_DF16_fEEvT3_20rocsparse_direction_NS_24const_host_device_scalarIT1_EES1_PKS1_PKT2_SA_S7_PKT4_PKT5_S5_PT6_21rocsparse_index_base_b, .Lfunc_end101-_ZN9rocsparseL18bsrxmvn_4x4_kernelILj128ELj8EfllDF16_DF16_fEEvT3_20rocsparse_direction_NS_24const_host_device_scalarIT1_EES1_PKS1_PKT2_SA_S7_PKT4_PKT5_S5_PT6_21rocsparse_index_base_b
                                        ; -- End function
	.set _ZN9rocsparseL18bsrxmvn_4x4_kernelILj128ELj8EfllDF16_DF16_fEEvT3_20rocsparse_direction_NS_24const_host_device_scalarIT1_EES1_PKS1_PKT2_SA_S7_PKT4_PKT5_S5_PT6_21rocsparse_index_base_b.num_vgpr, 53
	.set _ZN9rocsparseL18bsrxmvn_4x4_kernelILj128ELj8EfllDF16_DF16_fEEvT3_20rocsparse_direction_NS_24const_host_device_scalarIT1_EES1_PKS1_PKT2_SA_S7_PKT4_PKT5_S5_PT6_21rocsparse_index_base_b.num_agpr, 0
	.set _ZN9rocsparseL18bsrxmvn_4x4_kernelILj128ELj8EfllDF16_DF16_fEEvT3_20rocsparse_direction_NS_24const_host_device_scalarIT1_EES1_PKS1_PKT2_SA_S7_PKT4_PKT5_S5_PT6_21rocsparse_index_base_b.numbered_sgpr, 22
	.set _ZN9rocsparseL18bsrxmvn_4x4_kernelILj128ELj8EfllDF16_DF16_fEEvT3_20rocsparse_direction_NS_24const_host_device_scalarIT1_EES1_PKS1_PKT2_SA_S7_PKT4_PKT5_S5_PT6_21rocsparse_index_base_b.num_named_barrier, 0
	.set _ZN9rocsparseL18bsrxmvn_4x4_kernelILj128ELj8EfllDF16_DF16_fEEvT3_20rocsparse_direction_NS_24const_host_device_scalarIT1_EES1_PKS1_PKT2_SA_S7_PKT4_PKT5_S5_PT6_21rocsparse_index_base_b.private_seg_size, 0
	.set _ZN9rocsparseL18bsrxmvn_4x4_kernelILj128ELj8EfllDF16_DF16_fEEvT3_20rocsparse_direction_NS_24const_host_device_scalarIT1_EES1_PKS1_PKT2_SA_S7_PKT4_PKT5_S5_PT6_21rocsparse_index_base_b.uses_vcc, 1
	.set _ZN9rocsparseL18bsrxmvn_4x4_kernelILj128ELj8EfllDF16_DF16_fEEvT3_20rocsparse_direction_NS_24const_host_device_scalarIT1_EES1_PKS1_PKT2_SA_S7_PKT4_PKT5_S5_PT6_21rocsparse_index_base_b.uses_flat_scratch, 0
	.set _ZN9rocsparseL18bsrxmvn_4x4_kernelILj128ELj8EfllDF16_DF16_fEEvT3_20rocsparse_direction_NS_24const_host_device_scalarIT1_EES1_PKS1_PKT2_SA_S7_PKT4_PKT5_S5_PT6_21rocsparse_index_base_b.has_dyn_sized_stack, 0
	.set _ZN9rocsparseL18bsrxmvn_4x4_kernelILj128ELj8EfllDF16_DF16_fEEvT3_20rocsparse_direction_NS_24const_host_device_scalarIT1_EES1_PKS1_PKT2_SA_S7_PKT4_PKT5_S5_PT6_21rocsparse_index_base_b.has_recursion, 0
	.set _ZN9rocsparseL18bsrxmvn_4x4_kernelILj128ELj8EfllDF16_DF16_fEEvT3_20rocsparse_direction_NS_24const_host_device_scalarIT1_EES1_PKS1_PKT2_SA_S7_PKT4_PKT5_S5_PT6_21rocsparse_index_base_b.has_indirect_call, 0
	.section	.AMDGPU.csdata,"",@progbits
; Kernel info:
; codeLenInByte = 3548
; TotalNumSgprs: 26
; NumVgprs: 53
; ScratchSize: 0
; MemoryBound: 0
; FloatMode: 240
; IeeeMode: 1
; LDSByteSize: 0 bytes/workgroup (compile time only)
; SGPRBlocks: 3
; VGPRBlocks: 13
; NumSGPRsForWavesPerEU: 26
; NumVGPRsForWavesPerEU: 53
; Occupancy: 4
; WaveLimiterHint : 1
; COMPUTE_PGM_RSRC2:SCRATCH_EN: 0
; COMPUTE_PGM_RSRC2:USER_SGPR: 6
; COMPUTE_PGM_RSRC2:TRAP_HANDLER: 0
; COMPUTE_PGM_RSRC2:TGID_X_EN: 1
; COMPUTE_PGM_RSRC2:TGID_Y_EN: 0
; COMPUTE_PGM_RSRC2:TGID_Z_EN: 0
; COMPUTE_PGM_RSRC2:TIDIG_COMP_CNT: 0
	.section	.text._ZN9rocsparseL18bsrxmvn_4x4_kernelILj128ELj16EfllDF16_DF16_fEEvT3_20rocsparse_direction_NS_24const_host_device_scalarIT1_EES1_PKS1_PKT2_SA_S7_PKT4_PKT5_S5_PT6_21rocsparse_index_base_b,"axG",@progbits,_ZN9rocsparseL18bsrxmvn_4x4_kernelILj128ELj16EfllDF16_DF16_fEEvT3_20rocsparse_direction_NS_24const_host_device_scalarIT1_EES1_PKS1_PKT2_SA_S7_PKT4_PKT5_S5_PT6_21rocsparse_index_base_b,comdat
	.globl	_ZN9rocsparseL18bsrxmvn_4x4_kernelILj128ELj16EfllDF16_DF16_fEEvT3_20rocsparse_direction_NS_24const_host_device_scalarIT1_EES1_PKS1_PKT2_SA_S7_PKT4_PKT5_S5_PT6_21rocsparse_index_base_b ; -- Begin function _ZN9rocsparseL18bsrxmvn_4x4_kernelILj128ELj16EfllDF16_DF16_fEEvT3_20rocsparse_direction_NS_24const_host_device_scalarIT1_EES1_PKS1_PKT2_SA_S7_PKT4_PKT5_S5_PT6_21rocsparse_index_base_b
	.p2align	8
	.type	_ZN9rocsparseL18bsrxmvn_4x4_kernelILj128ELj16EfllDF16_DF16_fEEvT3_20rocsparse_direction_NS_24const_host_device_scalarIT1_EES1_PKS1_PKT2_SA_S7_PKT4_PKT5_S5_PT6_21rocsparse_index_base_b,@function
_ZN9rocsparseL18bsrxmvn_4x4_kernelILj128ELj16EfllDF16_DF16_fEEvT3_20rocsparse_direction_NS_24const_host_device_scalarIT1_EES1_PKS1_PKT2_SA_S7_PKT4_PKT5_S5_PT6_21rocsparse_index_base_b: ; @_ZN9rocsparseL18bsrxmvn_4x4_kernelILj128ELj16EfllDF16_DF16_fEEvT3_20rocsparse_direction_NS_24const_host_device_scalarIT1_EES1_PKS1_PKT2_SA_S7_PKT4_PKT5_S5_PT6_21rocsparse_index_base_b
; %bb.0:
	s_load_dwordx2 s[0:1], s[4:5], 0x60
	s_load_dwordx4 s[16:19], s[4:5], 0x10
	s_load_dwordx2 s[20:21], s[4:5], 0x50
	s_waitcnt lgkmcnt(0)
	s_bitcmp1_b32 s1, 0
	s_cselect_b64 s[8:9], -1, 0
	s_xor_b64 s[2:3], s[8:9], -1
	s_and_b64 vcc, exec, s[8:9]
	s_cbranch_vccnz .LBB102_2
; %bb.1:
	s_load_dword s16, s[16:17], 0x0
.LBB102_2:
	s_andn2_b64 vcc, exec, s[2:3]
	s_cbranch_vccnz .LBB102_4
; %bb.3:
	s_load_dword s20, s[20:21], 0x0
.LBB102_4:
	s_waitcnt lgkmcnt(0)
	v_cmp_neq_f32_e64 s[2:3], s16, 0
	v_cmp_neq_f32_e64 s[8:9], s20, 1.0
	s_or_b64 s[2:3], s[2:3], s[8:9]
	s_andn2_b64 vcc, exec, s[2:3]
	s_cbranch_vccnz .LBB102_10
; %bb.5:
	s_load_dwordx2 s[8:9], s[4:5], 0x20
	v_lshrrev_b32_e32 v1, 4, v0
	v_lshl_or_b32 v6, s6, 3, v1
	v_mov_b32_e32 v7, 0
	s_mov_b64 s[2:3], 0
	s_waitcnt lgkmcnt(0)
	s_cmp_lg_u64 s[8:9], 0
	s_cbranch_scc0 .LBB102_11
; %bb.6:
	v_cmp_gt_i64_e32 vcc, s[18:19], v[6:7]
                                        ; implicit-def: $vgpr4_vgpr5
                                        ; implicit-def: $vgpr1_vgpr2
	s_and_saveexec_b64 s[6:7], vcc
	s_xor_b64 s[6:7], exec, s[6:7]
	s_cbranch_execz .LBB102_8
; %bb.7:
	v_lshlrev_b64 v[1:2], 3, v[6:7]
	v_mov_b32_e32 v3, s9
	v_add_co_u32_e32 v1, vcc, s8, v1
	v_addc_co_u32_e32 v2, vcc, v3, v2, vcc
	global_load_dwordx2 v[1:2], v[1:2], off
	s_mov_b32 s1, 0
	s_mov_b64 s[2:3], exec
	s_waitcnt vmcnt(0)
	v_subrev_co_u32_e32 v4, vcc, s0, v1
	v_subbrev_co_u32_e32 v5, vcc, 0, v2, vcc
	v_mov_b32_e32 v2, s1
	v_mov_b32_e32 v1, s0
.LBB102_8:
	s_or_b64 exec, exec, s[6:7]
.LBB102_9:
	s_and_saveexec_b64 s[0:1], s[2:3]
	s_cbranch_execnz .LBB102_15
.LBB102_10:
	s_endpgm
.LBB102_11:
                                        ; implicit-def: $vgpr4_vgpr5
                                        ; implicit-def: $vgpr1_vgpr2
	s_cbranch_execz .LBB102_9
; %bb.12:
	s_load_dwordx2 s[6:7], s[4:5], 0x0
	s_waitcnt lgkmcnt(0)
	v_cmp_gt_i64_e32 vcc, s[6:7], v[6:7]
	s_and_saveexec_b64 s[6:7], vcc
; %bb.13:
	s_mov_b32 s1, 0
	s_or_b64 s[2:3], s[2:3], exec
; %bb.14:
	s_or_b64 exec, exec, s[6:7]
	v_mov_b32_e32 v2, s1
	v_mov_b32_e32 v4, v6
	;; [unrolled: 1-line block ×4, first 2 shown]
	s_and_saveexec_b64 s[0:1], s[2:3]
	s_cbranch_execz .LBB102_10
.LBB102_15:
	s_load_dwordx8 s[8:15], s[4:5], 0x28
	v_lshlrev_b64 v[6:7], 3, v[4:5]
	v_and_b32_e32 v0, 15, v0
	s_waitcnt lgkmcnt(0)
	v_mov_b32_e32 v3, s9
	v_add_co_u32_e32 v8, vcc, s8, v6
	v_addc_co_u32_e32 v9, vcc, v3, v7, vcc
	v_add_co_u32_e32 v3, vcc, 8, v8
	global_load_dwordx2 v[14:15], v[8:9], off
	v_addc_co_u32_e32 v8, vcc, 0, v9, vcc
	v_mov_b32_e32 v9, s11
	v_add_co_u32_e32 v6, vcc, s10, v6
	s_cmp_eq_u64 s[10:11], 0
	v_addc_co_u32_e32 v7, vcc, v9, v7, vcc
	s_cselect_b64 vcc, -1, 0
	v_cndmask_b32_e32 v7, v7, v8, vcc
	v_cndmask_b32_e32 v6, v6, v3, vcc
	global_load_dwordx2 v[8:9], v[6:7], off
	s_load_dword s0, s[4:5], 0x8
	s_load_dwordx2 s[6:7], s[4:5], 0x48
	v_mov_b32_e32 v12, s15
	v_mov_b32_e32 v3, 0
	s_waitcnt lgkmcnt(0)
	s_cmp_eq_u32 s0, 1
	s_waitcnt vmcnt(1)
	v_sub_co_u32_e32 v6, vcc, v14, v1
	v_subb_co_u32_e32 v7, vcc, v15, v2, vcc
	v_add_co_u32_e32 v6, vcc, v6, v0
	v_addc_co_u32_e32 v7, vcc, 0, v7, vcc
	v_lshlrev_b64 v[10:11], 5, v[6:7]
	s_waitcnt vmcnt(0)
	v_sub_co_u32_e32 v8, vcc, v8, v1
	v_subb_co_u32_e32 v9, vcc, v9, v2, vcc
	v_cmp_lt_i64_e64 s[0:1], v[6:7], v[8:9]
	v_add_co_u32_e32 v10, vcc, s14, v10
	v_addc_co_u32_e32 v11, vcc, v12, v11, vcc
	s_cbranch_scc1 .LBB102_27
; %bb.16:
	v_mov_b32_e32 v12, 0
	v_mov_b32_e32 v26, 0
	;; [unrolled: 1-line block ×3, first 2 shown]
	s_and_saveexec_b64 s[8:9], s[0:1]
	s_cbranch_execz .LBB102_26
; %bb.17:
	v_or_b32_e32 v3, 16, v0
	v_sub_co_u32_e32 v3, vcc, v3, v1
	v_subb_co_u32_e32 v13, vcc, 0, v2, vcc
	v_add_co_u32_e32 v12, vcc, v3, v14
	v_addc_co_u32_e32 v13, vcc, v13, v15, vcc
	v_cmp_gt_i64_e32 vcc, v[12:13], v[8:9]
	v_not_b32_e32 v16, v14
	v_cndmask_b32_e32 v3, v9, v13, vcc
	v_cndmask_b32_e32 v12, v8, v12, vcc
	v_sub_co_u32_e32 v17, vcc, v1, v0
	v_subbrev_co_u32_e32 v18, vcc, 0, v2, vcc
	v_not_b32_e32 v13, v15
	v_add_co_u32_e32 v16, vcc, v17, v16
	v_addc_co_u32_e32 v13, vcc, v18, v13, vcc
	v_add_co_u32_e32 v20, vcc, v16, v12
	v_addc_co_u32_e32 v21, vcc, v13, v3, vcc
	v_and_b32_e32 v12, 48, v20
	v_mov_b32_e32 v13, 0
	v_cmp_ne_u64_e32 vcc, 48, v[12:13]
	v_mov_b32_e32 v17, v7
	v_mov_b32_e32 v19, v11
	;; [unrolled: 1-line block ×7, first 2 shown]
	s_and_saveexec_b64 s[10:11], vcc
	s_cbranch_execz .LBB102_21
; %bb.18:
	v_lshlrev_b64 v[12:13], 3, v[6:7]
	v_lshrrev_b32_e32 v3, 4, v20
	v_add_u32_e32 v3, 1, v3
	v_mov_b32_e32 v17, s13
	v_add_co_u32_e32 v22, vcc, s12, v12
	v_and_b32_e32 v16, 3, v3
	v_addc_co_u32_e32 v23, vcc, v17, v13, vcc
	v_sub_co_u32_e32 v24, vcc, 0, v16
	v_mov_b32_e32 v19, v11
	v_mov_b32_e32 v17, v7
	;; [unrolled: 1-line block ×3, first 2 shown]
	s_mov_b64 s[14:15], 0
	v_subb_co_u32_e64 v25, s[2:3], 0, 0, vcc
	s_movk_i32 s17, 0x200
	v_mov_b32_e32 v27, s7
	v_mov_b32_e32 v18, v10
	;; [unrolled: 1-line block ×6, first 2 shown]
.LBB102_19:                             ; =>This Inner Loop Header: Depth=1
	global_load_dwordx2 v[36:37], v[22:23], off
	global_load_dwordx4 v[28:31], v[18:19], off
	global_load_dwordx4 v[32:35], v[18:19], off offset:16
	v_add_co_u32_e64 v16, s[2:3], 16, v16
	v_addc_co_u32_e64 v17, s[2:3], 0, v17, s[2:3]
	v_add_co_u32_e64 v24, s[2:3], 1, v24
	v_addc_co_u32_e64 v25, s[2:3], 0, v25, s[2:3]
	v_cmp_eq_u64_e64 s[2:3], 0, v[24:25]
	s_or_b64 s[14:15], s[2:3], s[14:15]
	s_waitcnt vmcnt(2)
	v_sub_co_u32_e32 v36, vcc, v36, v1
	v_subb_co_u32_e32 v37, vcc, v37, v2, vcc
	v_lshlrev_b64 v[36:37], 3, v[36:37]
	v_add_co_u32_e32 v36, vcc, s6, v36
	v_addc_co_u32_e32 v37, vcc, v27, v37, vcc
	global_load_dwordx2 v[36:37], v[36:37], off
	v_add_co_u32_e32 v18, vcc, s17, v18
	v_addc_co_u32_e32 v19, vcc, 0, v19, vcc
	v_add_co_u32_e32 v22, vcc, 0x80, v22
	v_addc_co_u32_e32 v23, vcc, 0, v23, vcc
	s_waitcnt vmcnt(0)
	v_fma_mix_f32 v13, v28, v36, v13 op_sel_hi:[1,1,0]
	v_fma_mix_f32 v26, v30, v36, v26 op_sel_hi:[1,1,0]
	;; [unrolled: 1-line block ×4, first 2 shown]
	v_fma_mix_f32 v13, v28, v36, v13 op_sel:[1,1,0] op_sel_hi:[1,1,0]
	v_fma_mix_f32 v26, v30, v36, v26 op_sel:[1,1,0] op_sel_hi:[1,1,0]
	;; [unrolled: 1-line block ×4, first 2 shown]
	v_fma_mix_f32 v13, v29, v37, v13 op_sel_hi:[1,1,0]
	v_fma_mix_f32 v26, v31, v37, v26 op_sel_hi:[1,1,0]
	;; [unrolled: 1-line block ×4, first 2 shown]
	v_fma_mix_f32 v26, v31, v37, v26 op_sel:[1,1,0] op_sel_hi:[1,1,0]
	v_fma_mix_f32 v13, v29, v37, v13 op_sel:[1,1,0] op_sel_hi:[1,1,0]
	;; [unrolled: 1-line block ×4, first 2 shown]
	s_andn2_b64 exec, exec, s[14:15]
	s_cbranch_execnz .LBB102_19
; %bb.20:
	s_or_b64 exec, exec, s[14:15]
.LBB102_21:
	s_or_b64 exec, exec, s[10:11]
	v_cmp_lt_u64_e32 vcc, 47, v[20:21]
	s_and_saveexec_b64 s[10:11], vcc
	s_cbranch_execz .LBB102_25
; %bb.22:
	v_lshlrev_b64 v[20:21], 3, v[16:17]
	v_mov_b32_e32 v22, s13
	v_add_co_u32_e32 v20, vcc, s12, v20
	v_addc_co_u32_e32 v21, vcc, v22, v21, vcc
	v_add_co_u32_e32 v20, vcc, 0x100, v20
	v_addc_co_u32_e32 v21, vcc, 0, v21, vcc
	s_mov_b64 s[14:15], 0
	v_mov_b32_e32 v22, s7
	s_movk_i32 s17, 0x800
.LBB102_23:                             ; =>This Inner Loop Header: Depth=1
	global_load_dwordx2 v[23:24], v[20:21], off offset:-256
	global_load_dwordx2 v[35:36], v[20:21], off offset:-128
	global_load_dwordx2 v[37:38], v[20:21], off
	global_load_dwordx2 v[39:40], v[20:21], off offset:128
	global_load_dwordx4 v[27:30], v[18:19], off
	global_load_dwordx4 v[31:34], v[18:19], off offset:16
	s_waitcnt vmcnt(5)
	v_sub_co_u32_e32 v23, vcc, v23, v1
	v_subb_co_u32_e32 v24, vcc, v24, v2, vcc
	s_waitcnt vmcnt(4)
	v_sub_co_u32_e32 v35, vcc, v35, v1
	v_subb_co_u32_e32 v36, vcc, v36, v2, vcc
	;; [unrolled: 3-line block ×3, first 2 shown]
	s_waitcnt vmcnt(2)
	v_sub_co_u32_e32 v39, vcc, v39, v1
	v_lshlrev_b64 v[23:24], 3, v[23:24]
	v_subb_co_u32_e32 v40, vcc, v40, v2, vcc
	v_lshlrev_b64 v[35:36], 3, v[35:36]
	v_add_co_u32_e32 v23, vcc, s6, v23
	v_addc_co_u32_e32 v24, vcc, v22, v24, vcc
	v_lshlrev_b64 v[37:38], 3, v[37:38]
	v_add_co_u32_e32 v41, vcc, s6, v35
	v_addc_co_u32_e32 v42, vcc, v22, v36, vcc
	;; [unrolled: 3-line block ×3, first 2 shown]
	v_add_co_u32_e32 v39, vcc, s6, v39
	v_addc_co_u32_e32 v40, vcc, v22, v40, vcc
	global_load_dwordx4 v[35:38], v[18:19], off offset:512
	global_load_dwordx2 v[45:46], v[23:24], off
	global_load_dwordx2 v[47:48], v[41:42], off
	;; [unrolled: 1-line block ×4, first 2 shown]
	s_waitcnt vmcnt(3)
	v_fma_mix_f32 v23, v29, v45, v26 op_sel_hi:[1,1,0]
	v_fma_mix_f32 v23, v29, v45, v23 op_sel:[1,1,0] op_sel_hi:[1,1,0]
	v_fma_mix_f32 v23, v30, v46, v23 op_sel_hi:[1,1,0]
	v_fma_mix_f32 v39, v30, v46, v23 op_sel:[1,1,0] op_sel_hi:[1,1,0]
	global_load_dwordx4 v[23:26], v[18:19], off offset:528
	v_fma_mix_f32 v12, v31, v45, v12 op_sel_hi:[1,1,0]
	v_fma_mix_f32 v13, v27, v45, v13 op_sel_hi:[1,1,0]
	;; [unrolled: 1-line block ×3, first 2 shown]
	v_fma_mix_f32 v12, v31, v45, v12 op_sel:[1,1,0] op_sel_hi:[1,1,0]
	s_waitcnt vmcnt(3)
	v_fma_mix_f32 v31, v37, v47, v39 op_sel_hi:[1,1,0]
	v_fma_mix_f32 v13, v27, v45, v13 op_sel:[1,1,0] op_sel_hi:[1,1,0]
	v_fma_mix_f32 v3, v33, v45, v3 op_sel:[1,1,0] op_sel_hi:[1,1,0]
	v_fma_mix_f32 v31, v37, v47, v31 op_sel:[1,1,0] op_sel_hi:[1,1,0]
	v_fma_mix_f32 v13, v28, v46, v13 op_sel_hi:[1,1,0]
	v_fma_mix_f32 v12, v32, v46, v12 op_sel_hi:[1,1,0]
	;; [unrolled: 1-line block ×4, first 2 shown]
	v_fma_mix_f32 v13, v28, v46, v13 op_sel:[1,1,0] op_sel_hi:[1,1,0]
	v_fma_mix_f32 v12, v32, v46, v12 op_sel:[1,1,0] op_sel_hi:[1,1,0]
	;; [unrolled: 1-line block ×3, first 2 shown]
	global_load_dwordx4 v[27:30], v[18:19], off offset:1024
	v_fma_mix_f32 v39, v38, v48, v31 op_sel:[1,1,0] op_sel_hi:[1,1,0]
	global_load_dwordx4 v[31:34], v[18:19], off offset:1040
	v_fma_mix_f32 v13, v35, v47, v13 op_sel_hi:[1,1,0]
	v_fma_mix_f32 v13, v35, v47, v13 op_sel:[1,1,0] op_sel_hi:[1,1,0]
	v_fma_mix_f32 v13, v36, v48, v13 op_sel_hi:[1,1,0]
	v_fma_mix_f32 v13, v36, v48, v13 op_sel:[1,1,0] op_sel_hi:[1,1,0]
	s_waitcnt vmcnt(2)
	v_fma_mix_f32 v12, v23, v47, v12 op_sel_hi:[1,1,0]
	v_fma_mix_f32 v3, v25, v47, v3 op_sel_hi:[1,1,0]
	v_fma_mix_f32 v12, v23, v47, v12 op_sel:[1,1,0] op_sel_hi:[1,1,0]
	v_fma_mix_f32 v3, v25, v47, v3 op_sel:[1,1,0] op_sel_hi:[1,1,0]
	v_fma_mix_f32 v12, v24, v48, v12 op_sel_hi:[1,1,0]
	v_fma_mix_f32 v3, v26, v48, v3 op_sel_hi:[1,1,0]
	v_fma_mix_f32 v12, v24, v48, v12 op_sel:[1,1,0] op_sel_hi:[1,1,0]
	v_fma_mix_f32 v3, v26, v48, v3 op_sel:[1,1,0] op_sel_hi:[1,1,0]
	global_load_dwordx4 v[23:26], v[18:19], off offset:1536
	global_load_dwordx4 v[35:38], v[18:19], off offset:1552
	v_add_co_u32_e32 v18, vcc, s17, v18
	s_mov_b64 s[2:3], vcc
	v_add_co_u32_e32 v16, vcc, 64, v16
	v_addc_co_u32_e32 v17, vcc, 0, v17, vcc
	s_waitcnt vmcnt(3)
	v_fma_mix_f32 v13, v27, v49, v13 op_sel_hi:[1,1,0]
	v_fma_mix_f32 v39, v29, v49, v39 op_sel_hi:[1,1,0]
	s_waitcnt vmcnt(2)
	v_fma_mix_f32 v12, v31, v49, v12 op_sel_hi:[1,1,0]
	v_fma_mix_f32 v3, v33, v49, v3 op_sel_hi:[1,1,0]
	v_fma_mix_f32 v13, v27, v49, v13 op_sel:[1,1,0] op_sel_hi:[1,1,0]
	v_fma_mix_f32 v27, v29, v49, v39 op_sel:[1,1,0] op_sel_hi:[1,1,0]
	;; [unrolled: 1-line block ×4, first 2 shown]
	v_fma_mix_f32 v13, v28, v50, v13 op_sel_hi:[1,1,0]
	v_fma_mix_f32 v27, v30, v50, v27 op_sel_hi:[1,1,0]
	;; [unrolled: 1-line block ×4, first 2 shown]
	v_fma_mix_f32 v13, v28, v50, v13 op_sel:[1,1,0] op_sel_hi:[1,1,0]
	v_fma_mix_f32 v27, v30, v50, v27 op_sel:[1,1,0] op_sel_hi:[1,1,0]
	;; [unrolled: 1-line block ×4, first 2 shown]
	v_addc_co_u32_e64 v19, s[2:3], 0, v19, s[2:3]
	v_cmp_ge_i64_e64 s[2:3], v[16:17], v[8:9]
	v_add_co_u32_e32 v20, vcc, 0x200, v20
	v_addc_co_u32_e32 v21, vcc, 0, v21, vcc
	s_or_b64 s[14:15], s[2:3], s[14:15]
	s_waitcnt vmcnt(1)
	v_fma_mix_f32 v13, v23, v51, v13 op_sel_hi:[1,1,0]
	v_fma_mix_f32 v27, v25, v51, v27 op_sel_hi:[1,1,0]
	s_waitcnt vmcnt(0)
	v_fma_mix_f32 v12, v35, v51, v12 op_sel_hi:[1,1,0]
	v_fma_mix_f32 v3, v37, v51, v3 op_sel_hi:[1,1,0]
	v_fma_mix_f32 v13, v23, v51, v13 op_sel:[1,1,0] op_sel_hi:[1,1,0]
	v_fma_mix_f32 v23, v25, v51, v27 op_sel:[1,1,0] op_sel_hi:[1,1,0]
	;; [unrolled: 1-line block ×4, first 2 shown]
	v_fma_mix_f32 v13, v24, v52, v13 op_sel_hi:[1,1,0]
	v_fma_mix_f32 v23, v26, v52, v23 op_sel_hi:[1,1,0]
	;; [unrolled: 1-line block ×4, first 2 shown]
	v_fma_mix_f32 v13, v24, v52, v13 op_sel:[1,1,0] op_sel_hi:[1,1,0]
	v_fma_mix_f32 v26, v26, v52, v23 op_sel:[1,1,0] op_sel_hi:[1,1,0]
	;; [unrolled: 1-line block ×4, first 2 shown]
	s_andn2_b64 exec, exec, s[14:15]
	s_cbranch_execnz .LBB102_23
; %bb.24:
	s_or_b64 exec, exec, s[14:15]
.LBB102_25:
	s_or_b64 exec, exec, s[10:11]
.LBB102_26:
	s_or_b64 exec, exec, s[8:9]
	s_cbranch_execz .LBB102_28
	s_branch .LBB102_39
.LBB102_27:
                                        ; implicit-def: $vgpr3
                                        ; implicit-def: $vgpr12
                                        ; implicit-def: $vgpr26
                                        ; implicit-def: $vgpr13
.LBB102_28:
	v_mov_b32_e32 v3, 0
	v_mov_b32_e32 v12, 0
	;; [unrolled: 1-line block ×4, first 2 shown]
	s_and_saveexec_b64 s[2:3], s[0:1]
	s_cbranch_execz .LBB102_38
; %bb.29:
	v_or_b32_e32 v3, 16, v0
	v_sub_co_u32_e32 v3, vcc, v3, v1
	v_subb_co_u32_e32 v13, vcc, 0, v2, vcc
	v_add_co_u32_e32 v12, vcc, v3, v14
	v_addc_co_u32_e32 v13, vcc, v13, v15, vcc
	v_cmp_gt_i64_e32 vcc, v[12:13], v[8:9]
	v_not_b32_e32 v14, v14
	v_cndmask_b32_e32 v3, v9, v13, vcc
	v_cndmask_b32_e32 v12, v8, v12, vcc
	v_not_b32_e32 v13, v15
	v_sub_co_u32_e32 v15, vcc, v1, v0
	v_subbrev_co_u32_e32 v16, vcc, 0, v2, vcc
	v_add_co_u32_e32 v14, vcc, v15, v14
	v_addc_co_u32_e32 v13, vcc, v16, v13, vcc
	v_add_co_u32_e32 v14, vcc, v14, v12
	v_addc_co_u32_e32 v15, vcc, v13, v3, vcc
	v_and_b32_e32 v12, 48, v14
	v_mov_b32_e32 v13, 0
	v_cmp_ne_u64_e32 vcc, 48, v[12:13]
	v_mov_b32_e32 v26, v13
	v_mov_b32_e32 v12, v13
	;; [unrolled: 1-line block ×3, first 2 shown]
	s_and_saveexec_b64 s[8:9], vcc
	s_cbranch_execz .LBB102_33
; %bb.30:
	v_lshlrev_b64 v[12:13], 3, v[6:7]
	v_lshrrev_b32_e32 v3, 4, v14
	v_add_u32_e32 v3, 1, v3
	v_mov_b32_e32 v17, s13
	v_add_co_u32_e32 v16, vcc, s12, v12
	v_and_b32_e32 v18, 3, v3
	v_addc_co_u32_e32 v17, vcc, v17, v13, vcc
	v_sub_co_u32_e32 v18, vcc, 0, v18
	v_mov_b32_e32 v3, 0
	s_mov_b64 s[10:11], 0
	v_subb_co_u32_e64 v19, s[0:1], 0, 0, vcc
	s_movk_i32 s14, 0x200
	v_mov_b32_e32 v20, s7
	v_mov_b32_e32 v12, 0
	;; [unrolled: 1-line block ×4, first 2 shown]
.LBB102_31:                             ; =>This Inner Loop Header: Depth=1
	global_load_dwordx2 v[27:28], v[16:17], off
	global_load_dwordx4 v[21:24], v[10:11], off
	v_add_co_u32_e64 v6, s[0:1], 16, v6
	v_addc_co_u32_e64 v7, s[0:1], 0, v7, s[0:1]
	v_add_co_u32_e64 v18, s[0:1], 1, v18
	v_addc_co_u32_e64 v19, s[0:1], 0, v19, s[0:1]
	v_cmp_eq_u64_e64 s[0:1], 0, v[18:19]
	s_or_b64 s[10:11], s[0:1], s[10:11]
	s_waitcnt vmcnt(1)
	v_sub_co_u32_e32 v27, vcc, v27, v1
	v_subb_co_u32_e32 v28, vcc, v28, v2, vcc
	v_lshlrev_b64 v[27:28], 3, v[27:28]
	v_add_co_u32_e32 v31, vcc, s6, v27
	v_addc_co_u32_e32 v32, vcc, v20, v28, vcc
	global_load_dwordx2 v[33:34], v[31:32], off
	global_load_dwordx4 v[27:30], v[10:11], off offset:16
	v_add_co_u32_e32 v10, vcc, s14, v10
	v_addc_co_u32_e32 v11, vcc, 0, v11, vcc
	v_add_co_u32_e32 v16, vcc, 0x80, v16
	v_addc_co_u32_e32 v17, vcc, 0, v17, vcc
	s_waitcnt vmcnt(1)
	v_fma_mix_f32 v13, v21, v33, v13 op_sel_hi:[1,1,0]
	v_fma_mix_f32 v21, v21, v33, v26 op_sel:[1,0,0] op_sel_hi:[1,1,0]
	v_fma_mix_f32 v12, v22, v33, v12 op_sel_hi:[1,1,0]
	v_fma_mix_f32 v3, v22, v33, v3 op_sel:[1,0,0] op_sel_hi:[1,1,0]
	v_fma_mix_f32 v13, v23, v33, v13 op_sel:[0,1,0] op_sel_hi:[1,1,0]
	;; [unrolled: 1-line block ×5, first 2 shown]
	s_waitcnt vmcnt(0)
	v_fma_mix_f32 v13, v27, v34, v13 op_sel_hi:[1,1,0]
	v_fma_mix_f32 v21, v27, v34, v21 op_sel:[1,0,0] op_sel_hi:[1,1,0]
	v_fma_mix_f32 v12, v28, v34, v12 op_sel_hi:[1,1,0]
	v_fma_mix_f32 v3, v28, v34, v3 op_sel:[1,0,0] op_sel_hi:[1,1,0]
	v_fma_mix_f32 v13, v29, v34, v13 op_sel:[0,1,0] op_sel_hi:[1,1,0]
	v_fma_mix_f32 v26, v29, v34, v21 op_sel:[1,1,0] op_sel_hi:[1,1,0]
	v_fma_mix_f32 v12, v30, v34, v12 op_sel:[0,1,0] op_sel_hi:[1,1,0]
	v_fma_mix_f32 v3, v30, v34, v3 op_sel:[1,1,0] op_sel_hi:[1,1,0]
	s_andn2_b64 exec, exec, s[10:11]
	s_cbranch_execnz .LBB102_31
; %bb.32:
	s_or_b64 exec, exec, s[10:11]
.LBB102_33:
	s_or_b64 exec, exec, s[8:9]
	v_cmp_lt_u64_e32 vcc, 47, v[14:15]
	s_and_saveexec_b64 s[8:9], vcc
	s_cbranch_execz .LBB102_37
; %bb.34:
	v_lshlrev_b64 v[14:15], 3, v[6:7]
	v_mov_b32_e32 v16, s13
	v_add_co_u32_e32 v14, vcc, s12, v14
	v_addc_co_u32_e32 v15, vcc, v16, v15, vcc
	v_add_co_u32_e32 v14, vcc, 0x100, v14
	v_addc_co_u32_e32 v15, vcc, 0, v15, vcc
	s_mov_b64 s[10:11], 0
	v_mov_b32_e32 v16, s7
	s_movk_i32 s7, 0x800
.LBB102_35:                             ; =>This Inner Loop Header: Depth=1
	global_load_dwordx2 v[27:28], v[14:15], off offset:-256
	global_load_dwordx2 v[29:30], v[14:15], off offset:-128
	global_load_dwordx2 v[31:32], v[14:15], off
	global_load_dwordx2 v[33:34], v[14:15], off offset:128
	global_load_dwordx4 v[17:20], v[10:11], off
	global_load_dwordx4 v[21:24], v[10:11], off offset:16
	v_add_co_u32_e64 v6, s[0:1], 64, v6
	v_addc_co_u32_e64 v7, s[0:1], 0, v7, s[0:1]
	v_cmp_ge_i64_e64 s[0:1], v[6:7], v[8:9]
	s_or_b64 s[10:11], s[0:1], s[10:11]
	s_waitcnt vmcnt(5)
	v_sub_co_u32_e32 v27, vcc, v27, v1
	v_subb_co_u32_e32 v28, vcc, v28, v2, vcc
	s_waitcnt vmcnt(4)
	v_sub_co_u32_e32 v29, vcc, v29, v1
	v_subb_co_u32_e32 v30, vcc, v30, v2, vcc
	s_waitcnt vmcnt(3)
	v_sub_co_u32_e32 v31, vcc, v31, v1
	v_subb_co_u32_e32 v32, vcc, v32, v2, vcc
	s_waitcnt vmcnt(2)
	v_sub_co_u32_e32 v33, vcc, v33, v1
	v_lshlrev_b64 v[27:28], 3, v[27:28]
	v_subb_co_u32_e32 v34, vcc, v34, v2, vcc
	v_lshlrev_b64 v[29:30], 3, v[29:30]
	v_add_co_u32_e32 v35, vcc, s6, v27
	v_addc_co_u32_e32 v36, vcc, v16, v28, vcc
	v_lshlrev_b64 v[31:32], 3, v[31:32]
	v_add_co_u32_e32 v37, vcc, s6, v29
	v_addc_co_u32_e32 v38, vcc, v16, v30, vcc
	v_lshlrev_b64 v[33:34], 3, v[33:34]
	v_add_co_u32_e32 v31, vcc, s6, v31
	v_addc_co_u32_e32 v32, vcc, v16, v32, vcc
	v_add_co_u32_e32 v33, vcc, s6, v33
	v_addc_co_u32_e32 v34, vcc, v16, v34, vcc
	global_load_dwordx4 v[27:30], v[10:11], off offset:512
	global_load_dwordx2 v[39:40], v[35:36], off
	global_load_dwordx2 v[41:42], v[37:38], off
	;; [unrolled: 1-line block ×4, first 2 shown]
	s_waitcnt vmcnt(3)
	v_fma_mix_f32 v13, v17, v39, v13 op_sel_hi:[1,1,0]
	v_fma_mix_f32 v17, v17, v39, v26 op_sel:[1,0,0] op_sel_hi:[1,1,0]
	v_fma_mix_f32 v12, v18, v39, v12 op_sel_hi:[1,1,0]
	v_fma_mix_f32 v3, v18, v39, v3 op_sel:[1,0,0] op_sel_hi:[1,1,0]
	v_fma_mix_f32 v13, v19, v39, v13 op_sel:[0,1,0] op_sel_hi:[1,1,0]
	;; [unrolled: 1-line block ×5, first 2 shown]
	global_load_dwordx4 v[17:20], v[10:11], off offset:528
	v_fma_mix_f32 v13, v21, v40, v13 op_sel_hi:[1,1,0]
	v_fma_mix_f32 v21, v21, v40, v25 op_sel:[1,0,0] op_sel_hi:[1,1,0]
	v_fma_mix_f32 v12, v22, v40, v12 op_sel_hi:[1,1,0]
	v_fma_mix_f32 v3, v22, v40, v3 op_sel:[1,0,0] op_sel_hi:[1,1,0]
	v_fma_mix_f32 v13, v23, v40, v13 op_sel:[0,1,0] op_sel_hi:[1,1,0]
	;; [unrolled: 1-line block ×5, first 2 shown]
	global_load_dwordx4 v[21:24], v[10:11], off offset:1024
	s_waitcnt vmcnt(4)
	v_fma_mix_f32 v13, v27, v41, v13 op_sel_hi:[1,1,0]
	v_fma_mix_f32 v25, v27, v41, v25 op_sel:[1,0,0] op_sel_hi:[1,1,0]
	v_fma_mix_f32 v12, v28, v41, v12 op_sel_hi:[1,1,0]
	v_fma_mix_f32 v3, v28, v41, v3 op_sel:[1,0,0] op_sel_hi:[1,1,0]
	v_fma_mix_f32 v13, v29, v41, v13 op_sel:[0,1,0] op_sel_hi:[1,1,0]
	;; [unrolled: 1-line block ×3, first 2 shown]
	global_load_dwordx4 v[25:28], v[10:11], off offset:1040
	v_fma_mix_f32 v12, v30, v41, v12 op_sel:[0,1,0] op_sel_hi:[1,1,0]
	v_fma_mix_f32 v3, v30, v41, v3 op_sel:[1,1,0] op_sel_hi:[1,1,0]
	s_waitcnt vmcnt(2)
	v_fma_mix_f32 v13, v17, v42, v13 op_sel_hi:[1,1,0]
	v_fma_mix_f32 v17, v17, v42, v29 op_sel:[1,0,0] op_sel_hi:[1,1,0]
	v_fma_mix_f32 v12, v18, v42, v12 op_sel_hi:[1,1,0]
	v_fma_mix_f32 v3, v18, v42, v3 op_sel:[1,0,0] op_sel_hi:[1,1,0]
	v_fma_mix_f32 v13, v19, v42, v13 op_sel:[0,1,0] op_sel_hi:[1,1,0]
	v_fma_mix_f32 v33, v19, v42, v17 op_sel:[1,1,0] op_sel_hi:[1,1,0]
	v_fma_mix_f32 v12, v20, v42, v12 op_sel:[0,1,0] op_sel_hi:[1,1,0]
	v_fma_mix_f32 v3, v20, v42, v3 op_sel:[1,1,0] op_sel_hi:[1,1,0]
	global_load_dwordx4 v[17:20], v[10:11], off offset:1536
	global_load_dwordx4 v[29:32], v[10:11], off offset:1552
	s_waitcnt vmcnt(3)
	v_fma_mix_f32 v13, v21, v43, v13 op_sel_hi:[1,1,0]
	v_fma_mix_f32 v21, v21, v43, v33 op_sel:[1,0,0] op_sel_hi:[1,1,0]
	v_fma_mix_f32 v12, v22, v43, v12 op_sel_hi:[1,1,0]
	v_fma_mix_f32 v3, v22, v43, v3 op_sel:[1,0,0] op_sel_hi:[1,1,0]
	v_fma_mix_f32 v13, v23, v43, v13 op_sel:[0,1,0] op_sel_hi:[1,1,0]
	;; [unrolled: 1-line block ×5, first 2 shown]
	s_waitcnt vmcnt(2)
	v_fma_mix_f32 v13, v25, v44, v13 op_sel_hi:[1,1,0]
	v_fma_mix_f32 v21, v25, v44, v21 op_sel:[1,0,0] op_sel_hi:[1,1,0]
	v_fma_mix_f32 v12, v26, v44, v12 op_sel_hi:[1,1,0]
	v_fma_mix_f32 v3, v26, v44, v3 op_sel:[1,0,0] op_sel_hi:[1,1,0]
	v_fma_mix_f32 v13, v27, v44, v13 op_sel:[0,1,0] op_sel_hi:[1,1,0]
	;; [unrolled: 1-line block ×5, first 2 shown]
	v_add_co_u32_e32 v10, vcc, s7, v10
	v_addc_co_u32_e32 v11, vcc, 0, v11, vcc
	v_add_co_u32_e32 v14, vcc, 0x200, v14
	v_addc_co_u32_e32 v15, vcc, 0, v15, vcc
	s_waitcnt vmcnt(1)
	v_fma_mix_f32 v13, v17, v45, v13 op_sel_hi:[1,1,0]
	v_fma_mix_f32 v17, v17, v45, v21 op_sel:[1,0,0] op_sel_hi:[1,1,0]
	v_fma_mix_f32 v12, v18, v45, v12 op_sel_hi:[1,1,0]
	v_fma_mix_f32 v3, v18, v45, v3 op_sel:[1,0,0] op_sel_hi:[1,1,0]
	v_fma_mix_f32 v13, v19, v45, v13 op_sel:[0,1,0] op_sel_hi:[1,1,0]
	;; [unrolled: 1-line block ×5, first 2 shown]
	s_waitcnt vmcnt(0)
	v_fma_mix_f32 v13, v29, v46, v13 op_sel_hi:[1,1,0]
	v_fma_mix_f32 v17, v29, v46, v17 op_sel:[1,0,0] op_sel_hi:[1,1,0]
	v_fma_mix_f32 v12, v30, v46, v12 op_sel_hi:[1,1,0]
	v_fma_mix_f32 v3, v30, v46, v3 op_sel:[1,0,0] op_sel_hi:[1,1,0]
	v_fma_mix_f32 v13, v31, v46, v13 op_sel:[0,1,0] op_sel_hi:[1,1,0]
	;; [unrolled: 1-line block ×5, first 2 shown]
	s_andn2_b64 exec, exec, s[10:11]
	s_cbranch_execnz .LBB102_35
; %bb.36:
	s_or_b64 exec, exec, s[10:11]
.LBB102_37:
	s_or_b64 exec, exec, s[8:9]
.LBB102_38:
	s_or_b64 exec, exec, s[2:3]
.LBB102_39:
	v_mov_b32_dpp v1, v13 row_shr:1 row_mask:0xf bank_mask:0xf
	v_mov_b32_dpp v6, v26 row_shr:1 row_mask:0xf bank_mask:0xf
	v_mov_b32_dpp v8, v12 row_shr:1 row_mask:0xf bank_mask:0xf
	v_mov_b32_dpp v10, v3 row_shr:1 row_mask:0xf bank_mask:0xf
	v_add_f32_e32 v1, v13, v1
	v_add_f32_e32 v6, v26, v6
	v_add_f32_e32 v8, v12, v8
	v_add_f32_e32 v3, v3, v10
	v_mov_b32_dpp v2, v1 row_shr:2 row_mask:0xf bank_mask:0xf
	v_mov_b32_dpp v7, v6 row_shr:2 row_mask:0xf bank_mask:0xf
	v_mov_b32_dpp v9, v8 row_shr:2 row_mask:0xf bank_mask:0xf
	v_mov_b32_dpp v10, v3 row_shr:2 row_mask:0xf bank_mask:0xf
	v_add_f32_e32 v1, v1, v2
	v_add_f32_e32 v6, v6, v7
	v_add_f32_e32 v8, v8, v9
	v_add_f32_e32 v3, v3, v10
	;; [unrolled: 8-line block ×3, first 2 shown]
	v_mov_b32_dpp v2, v1 row_shr:8 row_mask:0xf bank_mask:0xc
	v_mov_b32_dpp v7, v6 row_shr:8 row_mask:0xf bank_mask:0xc
	v_mov_b32_dpp v9, v8 row_shr:8 row_mask:0xf bank_mask:0xc
	v_mov_b32_dpp v10, v3 row_shr:8 row_mask:0xf bank_mask:0xc
	v_cmp_eq_u32_e32 vcc, 15, v0
	s_and_b64 exec, exec, vcc
	s_cbranch_execz .LBB102_10
; %bb.40:
	s_load_dwordx2 s[0:1], s[4:5], 0x58
	v_add_f32_e32 v0, v1, v2
	v_add_f32_e32 v1, v6, v7
	;; [unrolled: 1-line block ×4, first 2 shown]
	v_cmp_eq_f32_e64 s[2:3], s20, 0
	v_lshlrev_b64 v[4:5], 4, v[4:5]
	s_and_b64 vcc, exec, s[2:3]
	v_mul_f32_e32 v0, s16, v0
	v_mul_f32_e32 v1, s16, v1
	v_mul_f32_e32 v2, s16, v2
	v_mul_f32_e32 v3, s16, v3
	s_cbranch_vccz .LBB102_42
; %bb.41:
	s_waitcnt lgkmcnt(0)
	v_mov_b32_e32 v7, s1
	v_add_co_u32_e32 v6, vcc, s0, v4
	v_addc_co_u32_e32 v7, vcc, v7, v5, vcc
	global_store_dwordx4 v[6:7], v[0:3], off
	s_cbranch_execnz .LBB102_10
	s_branch .LBB102_43
.LBB102_42:
.LBB102_43:
	s_waitcnt lgkmcnt(0)
	v_mov_b32_e32 v6, s1
	v_add_co_u32_e32 v8, vcc, s0, v4
	v_addc_co_u32_e32 v9, vcc, v6, v5, vcc
	global_load_dwordx4 v[4:7], v[8:9], off
	s_waitcnt vmcnt(0)
	v_fmac_f32_e32 v0, s20, v4
	v_fmac_f32_e32 v1, s20, v5
	;; [unrolled: 1-line block ×4, first 2 shown]
	global_store_dwordx4 v[8:9], v[0:3], off
	s_endpgm
	.section	.rodata,"a",@progbits
	.p2align	6, 0x0
	.amdhsa_kernel _ZN9rocsparseL18bsrxmvn_4x4_kernelILj128ELj16EfllDF16_DF16_fEEvT3_20rocsparse_direction_NS_24const_host_device_scalarIT1_EES1_PKS1_PKT2_SA_S7_PKT4_PKT5_S5_PT6_21rocsparse_index_base_b
		.amdhsa_group_segment_fixed_size 0
		.amdhsa_private_segment_fixed_size 0
		.amdhsa_kernarg_size 104
		.amdhsa_user_sgpr_count 6
		.amdhsa_user_sgpr_private_segment_buffer 1
		.amdhsa_user_sgpr_dispatch_ptr 0
		.amdhsa_user_sgpr_queue_ptr 0
		.amdhsa_user_sgpr_kernarg_segment_ptr 1
		.amdhsa_user_sgpr_dispatch_id 0
		.amdhsa_user_sgpr_flat_scratch_init 0
		.amdhsa_user_sgpr_private_segment_size 0
		.amdhsa_uses_dynamic_stack 0
		.amdhsa_system_sgpr_private_segment_wavefront_offset 0
		.amdhsa_system_sgpr_workgroup_id_x 1
		.amdhsa_system_sgpr_workgroup_id_y 0
		.amdhsa_system_sgpr_workgroup_id_z 0
		.amdhsa_system_sgpr_workgroup_info 0
		.amdhsa_system_vgpr_workitem_id 0
		.amdhsa_next_free_vgpr 53
		.amdhsa_next_free_sgpr 22
		.amdhsa_reserve_vcc 1
		.amdhsa_reserve_flat_scratch 0
		.amdhsa_float_round_mode_32 0
		.amdhsa_float_round_mode_16_64 0
		.amdhsa_float_denorm_mode_32 3
		.amdhsa_float_denorm_mode_16_64 3
		.amdhsa_dx10_clamp 1
		.amdhsa_ieee_mode 1
		.amdhsa_fp16_overflow 0
		.amdhsa_exception_fp_ieee_invalid_op 0
		.amdhsa_exception_fp_denorm_src 0
		.amdhsa_exception_fp_ieee_div_zero 0
		.amdhsa_exception_fp_ieee_overflow 0
		.amdhsa_exception_fp_ieee_underflow 0
		.amdhsa_exception_fp_ieee_inexact 0
		.amdhsa_exception_int_div_zero 0
	.end_amdhsa_kernel
	.section	.text._ZN9rocsparseL18bsrxmvn_4x4_kernelILj128ELj16EfllDF16_DF16_fEEvT3_20rocsparse_direction_NS_24const_host_device_scalarIT1_EES1_PKS1_PKT2_SA_S7_PKT4_PKT5_S5_PT6_21rocsparse_index_base_b,"axG",@progbits,_ZN9rocsparseL18bsrxmvn_4x4_kernelILj128ELj16EfllDF16_DF16_fEEvT3_20rocsparse_direction_NS_24const_host_device_scalarIT1_EES1_PKS1_PKT2_SA_S7_PKT4_PKT5_S5_PT6_21rocsparse_index_base_b,comdat
.Lfunc_end102:
	.size	_ZN9rocsparseL18bsrxmvn_4x4_kernelILj128ELj16EfllDF16_DF16_fEEvT3_20rocsparse_direction_NS_24const_host_device_scalarIT1_EES1_PKS1_PKT2_SA_S7_PKT4_PKT5_S5_PT6_21rocsparse_index_base_b, .Lfunc_end102-_ZN9rocsparseL18bsrxmvn_4x4_kernelILj128ELj16EfllDF16_DF16_fEEvT3_20rocsparse_direction_NS_24const_host_device_scalarIT1_EES1_PKS1_PKT2_SA_S7_PKT4_PKT5_S5_PT6_21rocsparse_index_base_b
                                        ; -- End function
	.set _ZN9rocsparseL18bsrxmvn_4x4_kernelILj128ELj16EfllDF16_DF16_fEEvT3_20rocsparse_direction_NS_24const_host_device_scalarIT1_EES1_PKS1_PKT2_SA_S7_PKT4_PKT5_S5_PT6_21rocsparse_index_base_b.num_vgpr, 53
	.set _ZN9rocsparseL18bsrxmvn_4x4_kernelILj128ELj16EfllDF16_DF16_fEEvT3_20rocsparse_direction_NS_24const_host_device_scalarIT1_EES1_PKS1_PKT2_SA_S7_PKT4_PKT5_S5_PT6_21rocsparse_index_base_b.num_agpr, 0
	.set _ZN9rocsparseL18bsrxmvn_4x4_kernelILj128ELj16EfllDF16_DF16_fEEvT3_20rocsparse_direction_NS_24const_host_device_scalarIT1_EES1_PKS1_PKT2_SA_S7_PKT4_PKT5_S5_PT6_21rocsparse_index_base_b.numbered_sgpr, 22
	.set _ZN9rocsparseL18bsrxmvn_4x4_kernelILj128ELj16EfllDF16_DF16_fEEvT3_20rocsparse_direction_NS_24const_host_device_scalarIT1_EES1_PKS1_PKT2_SA_S7_PKT4_PKT5_S5_PT6_21rocsparse_index_base_b.num_named_barrier, 0
	.set _ZN9rocsparseL18bsrxmvn_4x4_kernelILj128ELj16EfllDF16_DF16_fEEvT3_20rocsparse_direction_NS_24const_host_device_scalarIT1_EES1_PKS1_PKT2_SA_S7_PKT4_PKT5_S5_PT6_21rocsparse_index_base_b.private_seg_size, 0
	.set _ZN9rocsparseL18bsrxmvn_4x4_kernelILj128ELj16EfllDF16_DF16_fEEvT3_20rocsparse_direction_NS_24const_host_device_scalarIT1_EES1_PKS1_PKT2_SA_S7_PKT4_PKT5_S5_PT6_21rocsparse_index_base_b.uses_vcc, 1
	.set _ZN9rocsparseL18bsrxmvn_4x4_kernelILj128ELj16EfllDF16_DF16_fEEvT3_20rocsparse_direction_NS_24const_host_device_scalarIT1_EES1_PKS1_PKT2_SA_S7_PKT4_PKT5_S5_PT6_21rocsparse_index_base_b.uses_flat_scratch, 0
	.set _ZN9rocsparseL18bsrxmvn_4x4_kernelILj128ELj16EfllDF16_DF16_fEEvT3_20rocsparse_direction_NS_24const_host_device_scalarIT1_EES1_PKS1_PKT2_SA_S7_PKT4_PKT5_S5_PT6_21rocsparse_index_base_b.has_dyn_sized_stack, 0
	.set _ZN9rocsparseL18bsrxmvn_4x4_kernelILj128ELj16EfllDF16_DF16_fEEvT3_20rocsparse_direction_NS_24const_host_device_scalarIT1_EES1_PKS1_PKT2_SA_S7_PKT4_PKT5_S5_PT6_21rocsparse_index_base_b.has_recursion, 0
	.set _ZN9rocsparseL18bsrxmvn_4x4_kernelILj128ELj16EfllDF16_DF16_fEEvT3_20rocsparse_direction_NS_24const_host_device_scalarIT1_EES1_PKS1_PKT2_SA_S7_PKT4_PKT5_S5_PT6_21rocsparse_index_base_b.has_indirect_call, 0
	.section	.AMDGPU.csdata,"",@progbits
; Kernel info:
; codeLenInByte = 3588
; TotalNumSgprs: 26
; NumVgprs: 53
; ScratchSize: 0
; MemoryBound: 0
; FloatMode: 240
; IeeeMode: 1
; LDSByteSize: 0 bytes/workgroup (compile time only)
; SGPRBlocks: 3
; VGPRBlocks: 13
; NumSGPRsForWavesPerEU: 26
; NumVGPRsForWavesPerEU: 53
; Occupancy: 4
; WaveLimiterHint : 1
; COMPUTE_PGM_RSRC2:SCRATCH_EN: 0
; COMPUTE_PGM_RSRC2:USER_SGPR: 6
; COMPUTE_PGM_RSRC2:TRAP_HANDLER: 0
; COMPUTE_PGM_RSRC2:TGID_X_EN: 1
; COMPUTE_PGM_RSRC2:TGID_Y_EN: 0
; COMPUTE_PGM_RSRC2:TGID_Z_EN: 0
; COMPUTE_PGM_RSRC2:TIDIG_COMP_CNT: 0
	.section	.text._ZN9rocsparseL18bsrxmvn_4x4_kernelILj128ELj32EfllDF16_DF16_fEEvT3_20rocsparse_direction_NS_24const_host_device_scalarIT1_EES1_PKS1_PKT2_SA_S7_PKT4_PKT5_S5_PT6_21rocsparse_index_base_b,"axG",@progbits,_ZN9rocsparseL18bsrxmvn_4x4_kernelILj128ELj32EfllDF16_DF16_fEEvT3_20rocsparse_direction_NS_24const_host_device_scalarIT1_EES1_PKS1_PKT2_SA_S7_PKT4_PKT5_S5_PT6_21rocsparse_index_base_b,comdat
	.globl	_ZN9rocsparseL18bsrxmvn_4x4_kernelILj128ELj32EfllDF16_DF16_fEEvT3_20rocsparse_direction_NS_24const_host_device_scalarIT1_EES1_PKS1_PKT2_SA_S7_PKT4_PKT5_S5_PT6_21rocsparse_index_base_b ; -- Begin function _ZN9rocsparseL18bsrxmvn_4x4_kernelILj128ELj32EfllDF16_DF16_fEEvT3_20rocsparse_direction_NS_24const_host_device_scalarIT1_EES1_PKS1_PKT2_SA_S7_PKT4_PKT5_S5_PT6_21rocsparse_index_base_b
	.p2align	8
	.type	_ZN9rocsparseL18bsrxmvn_4x4_kernelILj128ELj32EfllDF16_DF16_fEEvT3_20rocsparse_direction_NS_24const_host_device_scalarIT1_EES1_PKS1_PKT2_SA_S7_PKT4_PKT5_S5_PT6_21rocsparse_index_base_b,@function
_ZN9rocsparseL18bsrxmvn_4x4_kernelILj128ELj32EfllDF16_DF16_fEEvT3_20rocsparse_direction_NS_24const_host_device_scalarIT1_EES1_PKS1_PKT2_SA_S7_PKT4_PKT5_S5_PT6_21rocsparse_index_base_b: ; @_ZN9rocsparseL18bsrxmvn_4x4_kernelILj128ELj32EfllDF16_DF16_fEEvT3_20rocsparse_direction_NS_24const_host_device_scalarIT1_EES1_PKS1_PKT2_SA_S7_PKT4_PKT5_S5_PT6_21rocsparse_index_base_b
; %bb.0:
	s_load_dwordx2 s[0:1], s[4:5], 0x60
	s_load_dwordx4 s[16:19], s[4:5], 0x10
	s_load_dwordx2 s[20:21], s[4:5], 0x50
	s_waitcnt lgkmcnt(0)
	s_bitcmp1_b32 s1, 0
	s_cselect_b64 s[8:9], -1, 0
	s_xor_b64 s[2:3], s[8:9], -1
	s_and_b64 vcc, exec, s[8:9]
	s_cbranch_vccnz .LBB103_2
; %bb.1:
	s_load_dword s16, s[16:17], 0x0
.LBB103_2:
	s_andn2_b64 vcc, exec, s[2:3]
	s_cbranch_vccnz .LBB103_4
; %bb.3:
	s_load_dword s20, s[20:21], 0x0
.LBB103_4:
	s_waitcnt lgkmcnt(0)
	v_cmp_neq_f32_e64 s[2:3], s16, 0
	v_cmp_neq_f32_e64 s[8:9], s20, 1.0
	s_or_b64 s[2:3], s[2:3], s[8:9]
	s_andn2_b64 vcc, exec, s[2:3]
	s_cbranch_vccnz .LBB103_10
; %bb.5:
	s_load_dwordx2 s[8:9], s[4:5], 0x20
	v_lshrrev_b32_e32 v1, 5, v0
	v_lshl_or_b32 v6, s6, 2, v1
	v_mov_b32_e32 v7, 0
	s_mov_b64 s[2:3], 0
	s_waitcnt lgkmcnt(0)
	s_cmp_lg_u64 s[8:9], 0
	s_cbranch_scc0 .LBB103_11
; %bb.6:
	v_cmp_gt_i64_e32 vcc, s[18:19], v[6:7]
                                        ; implicit-def: $vgpr4_vgpr5
                                        ; implicit-def: $vgpr1_vgpr2
	s_and_saveexec_b64 s[6:7], vcc
	s_xor_b64 s[6:7], exec, s[6:7]
	s_cbranch_execz .LBB103_8
; %bb.7:
	v_lshlrev_b64 v[1:2], 3, v[6:7]
	v_mov_b32_e32 v3, s9
	v_add_co_u32_e32 v1, vcc, s8, v1
	v_addc_co_u32_e32 v2, vcc, v3, v2, vcc
	global_load_dwordx2 v[1:2], v[1:2], off
	s_mov_b32 s1, 0
	s_mov_b64 s[2:3], exec
	s_waitcnt vmcnt(0)
	v_subrev_co_u32_e32 v4, vcc, s0, v1
	v_subbrev_co_u32_e32 v5, vcc, 0, v2, vcc
	v_mov_b32_e32 v2, s1
	v_mov_b32_e32 v1, s0
.LBB103_8:
	s_or_b64 exec, exec, s[6:7]
.LBB103_9:
	s_and_saveexec_b64 s[0:1], s[2:3]
	s_cbranch_execnz .LBB103_15
.LBB103_10:
	s_endpgm
.LBB103_11:
                                        ; implicit-def: $vgpr4_vgpr5
                                        ; implicit-def: $vgpr1_vgpr2
	s_cbranch_execz .LBB103_9
; %bb.12:
	s_load_dwordx2 s[6:7], s[4:5], 0x0
	s_waitcnt lgkmcnt(0)
	v_cmp_gt_i64_e32 vcc, s[6:7], v[6:7]
	s_and_saveexec_b64 s[6:7], vcc
; %bb.13:
	s_mov_b32 s1, 0
	s_or_b64 s[2:3], s[2:3], exec
; %bb.14:
	s_or_b64 exec, exec, s[6:7]
	v_mov_b32_e32 v2, s1
	v_mov_b32_e32 v4, v6
	;; [unrolled: 1-line block ×4, first 2 shown]
	s_and_saveexec_b64 s[0:1], s[2:3]
	s_cbranch_execz .LBB103_10
.LBB103_15:
	s_load_dwordx8 s[8:15], s[4:5], 0x28
	v_lshlrev_b64 v[6:7], 3, v[4:5]
	v_and_b32_e32 v0, 31, v0
	s_waitcnt lgkmcnt(0)
	v_mov_b32_e32 v3, s9
	v_add_co_u32_e32 v8, vcc, s8, v6
	v_addc_co_u32_e32 v9, vcc, v3, v7, vcc
	v_add_co_u32_e32 v3, vcc, 8, v8
	global_load_dwordx2 v[14:15], v[8:9], off
	v_addc_co_u32_e32 v8, vcc, 0, v9, vcc
	v_mov_b32_e32 v9, s11
	v_add_co_u32_e32 v6, vcc, s10, v6
	s_cmp_eq_u64 s[10:11], 0
	v_addc_co_u32_e32 v7, vcc, v9, v7, vcc
	s_cselect_b64 vcc, -1, 0
	v_cndmask_b32_e32 v7, v7, v8, vcc
	v_cndmask_b32_e32 v6, v6, v3, vcc
	global_load_dwordx2 v[8:9], v[6:7], off
	s_load_dword s0, s[4:5], 0x8
	s_load_dwordx2 s[8:9], s[4:5], 0x48
	v_mov_b32_e32 v12, s15
	v_mov_b32_e32 v3, 0
	s_waitcnt lgkmcnt(0)
	s_cmp_eq_u32 s0, 1
	s_waitcnt vmcnt(1)
	v_sub_co_u32_e32 v6, vcc, v14, v1
	v_subb_co_u32_e32 v7, vcc, v15, v2, vcc
	v_add_co_u32_e32 v6, vcc, v6, v0
	v_addc_co_u32_e32 v7, vcc, 0, v7, vcc
	v_lshlrev_b64 v[10:11], 5, v[6:7]
	s_waitcnt vmcnt(0)
	v_sub_co_u32_e32 v8, vcc, v8, v1
	v_subb_co_u32_e32 v9, vcc, v9, v2, vcc
	v_cmp_lt_i64_e64 s[0:1], v[6:7], v[8:9]
	v_add_co_u32_e32 v10, vcc, s14, v10
	v_addc_co_u32_e32 v11, vcc, v12, v11, vcc
	s_cbranch_scc1 .LBB103_27
; %bb.16:
	v_mov_b32_e32 v12, 0
	v_mov_b32_e32 v26, 0
	;; [unrolled: 1-line block ×3, first 2 shown]
	s_and_saveexec_b64 s[10:11], s[0:1]
	s_cbranch_execz .LBB103_26
; %bb.17:
	v_or_b32_e32 v3, 32, v0
	v_sub_co_u32_e32 v3, vcc, v3, v1
	v_subb_co_u32_e32 v13, vcc, 0, v2, vcc
	v_add_co_u32_e32 v12, vcc, v3, v14
	v_addc_co_u32_e32 v13, vcc, v13, v15, vcc
	v_cmp_gt_i64_e32 vcc, v[12:13], v[8:9]
	v_not_b32_e32 v16, v14
	v_cndmask_b32_e32 v3, v9, v13, vcc
	v_cndmask_b32_e32 v12, v8, v12, vcc
	v_sub_co_u32_e32 v17, vcc, v1, v0
	v_subbrev_co_u32_e32 v18, vcc, 0, v2, vcc
	v_not_b32_e32 v13, v15
	v_add_co_u32_e32 v16, vcc, v17, v16
	v_addc_co_u32_e32 v13, vcc, v18, v13, vcc
	v_add_co_u32_e32 v20, vcc, v16, v12
	v_addc_co_u32_e32 v21, vcc, v13, v3, vcc
	v_and_b32_e32 v12, 0x60, v20
	v_mov_b32_e32 v13, 0
	s_mov_b64 s[2:3], 0x60
	v_cmp_ne_u64_e32 vcc, s[2:3], v[12:13]
	v_mov_b32_e32 v17, v7
	v_mov_b32_e32 v19, v11
	;; [unrolled: 1-line block ×7, first 2 shown]
	s_and_saveexec_b64 s[6:7], vcc
	s_cbranch_execz .LBB103_21
; %bb.18:
	v_lshlrev_b64 v[12:13], 3, v[6:7]
	v_lshrrev_b32_e32 v3, 5, v20
	v_add_u32_e32 v3, 1, v3
	v_mov_b32_e32 v17, s13
	v_add_co_u32_e32 v22, vcc, s12, v12
	v_and_b32_e32 v16, 3, v3
	v_addc_co_u32_e32 v23, vcc, v17, v13, vcc
	v_sub_co_u32_e32 v24, vcc, 0, v16
	v_mov_b32_e32 v19, v11
	v_mov_b32_e32 v17, v7
	;; [unrolled: 1-line block ×3, first 2 shown]
	s_mov_b64 s[14:15], 0
	v_subb_co_u32_e64 v25, s[2:3], 0, 0, vcc
	s_movk_i32 s17, 0x400
	v_mov_b32_e32 v27, s9
	v_mov_b32_e32 v18, v10
	;; [unrolled: 1-line block ×6, first 2 shown]
.LBB103_19:                             ; =>This Inner Loop Header: Depth=1
	global_load_dwordx2 v[36:37], v[22:23], off
	global_load_dwordx4 v[28:31], v[18:19], off
	global_load_dwordx4 v[32:35], v[18:19], off offset:16
	v_add_co_u32_e64 v16, s[2:3], 32, v16
	v_addc_co_u32_e64 v17, s[2:3], 0, v17, s[2:3]
	v_add_co_u32_e64 v24, s[2:3], 1, v24
	v_addc_co_u32_e64 v25, s[2:3], 0, v25, s[2:3]
	v_cmp_eq_u64_e64 s[2:3], 0, v[24:25]
	s_or_b64 s[14:15], s[2:3], s[14:15]
	s_waitcnt vmcnt(2)
	v_sub_co_u32_e32 v36, vcc, v36, v1
	v_subb_co_u32_e32 v37, vcc, v37, v2, vcc
	v_lshlrev_b64 v[36:37], 3, v[36:37]
	v_add_co_u32_e32 v36, vcc, s8, v36
	v_addc_co_u32_e32 v37, vcc, v27, v37, vcc
	global_load_dwordx2 v[36:37], v[36:37], off
	v_add_co_u32_e32 v18, vcc, s17, v18
	v_addc_co_u32_e32 v19, vcc, 0, v19, vcc
	v_add_co_u32_e32 v22, vcc, 0x100, v22
	v_addc_co_u32_e32 v23, vcc, 0, v23, vcc
	s_waitcnt vmcnt(0)
	v_fma_mix_f32 v13, v28, v36, v13 op_sel_hi:[1,1,0]
	v_fma_mix_f32 v26, v30, v36, v26 op_sel_hi:[1,1,0]
	;; [unrolled: 1-line block ×4, first 2 shown]
	v_fma_mix_f32 v13, v28, v36, v13 op_sel:[1,1,0] op_sel_hi:[1,1,0]
	v_fma_mix_f32 v26, v30, v36, v26 op_sel:[1,1,0] op_sel_hi:[1,1,0]
	;; [unrolled: 1-line block ×4, first 2 shown]
	v_fma_mix_f32 v13, v29, v37, v13 op_sel_hi:[1,1,0]
	v_fma_mix_f32 v26, v31, v37, v26 op_sel_hi:[1,1,0]
	;; [unrolled: 1-line block ×4, first 2 shown]
	v_fma_mix_f32 v26, v31, v37, v26 op_sel:[1,1,0] op_sel_hi:[1,1,0]
	v_fma_mix_f32 v13, v29, v37, v13 op_sel:[1,1,0] op_sel_hi:[1,1,0]
	;; [unrolled: 1-line block ×4, first 2 shown]
	s_andn2_b64 exec, exec, s[14:15]
	s_cbranch_execnz .LBB103_19
; %bb.20:
	s_or_b64 exec, exec, s[14:15]
.LBB103_21:
	s_or_b64 exec, exec, s[6:7]
	s_mov_b64 s[2:3], 0x5f
	v_cmp_lt_u64_e32 vcc, s[2:3], v[20:21]
	s_and_saveexec_b64 s[14:15], vcc
	s_cbranch_execz .LBB103_25
; %bb.22:
	v_lshlrev_b64 v[20:21], 3, v[16:17]
	v_mov_b32_e32 v22, s13
	v_add_co_u32_e32 v20, vcc, s12, v20
	v_addc_co_u32_e32 v21, vcc, v22, v21, vcc
	v_add_co_u32_e32 v20, vcc, 0x200, v20
	v_addc_co_u32_e32 v21, vcc, 0, v21, vcc
	s_mov_b64 s[18:19], 0
	v_mov_b32_e32 v22, s9
	s_movk_i32 s17, 0x1000
.LBB103_23:                             ; =>This Inner Loop Header: Depth=1
	global_load_dwordx2 v[23:24], v[20:21], off offset:-512
	global_load_dwordx2 v[35:36], v[20:21], off offset:-256
	global_load_dwordx2 v[37:38], v[20:21], off
	global_load_dwordx2 v[39:40], v[20:21], off offset:256
	global_load_dwordx4 v[27:30], v[18:19], off
	global_load_dwordx4 v[31:34], v[18:19], off offset:16
	s_waitcnt vmcnt(5)
	v_sub_co_u32_e32 v23, vcc, v23, v1
	v_subb_co_u32_e32 v24, vcc, v24, v2, vcc
	s_waitcnt vmcnt(4)
	v_sub_co_u32_e32 v35, vcc, v35, v1
	v_subb_co_u32_e32 v36, vcc, v36, v2, vcc
	s_waitcnt vmcnt(3)
	v_sub_co_u32_e32 v37, vcc, v37, v1
	v_subb_co_u32_e32 v38, vcc, v38, v2, vcc
	s_waitcnt vmcnt(2)
	v_sub_co_u32_e32 v39, vcc, v39, v1
	v_lshlrev_b64 v[23:24], 3, v[23:24]
	v_subb_co_u32_e32 v40, vcc, v40, v2, vcc
	v_lshlrev_b64 v[35:36], 3, v[35:36]
	v_add_co_u32_e32 v23, vcc, s8, v23
	v_addc_co_u32_e32 v24, vcc, v22, v24, vcc
	v_lshlrev_b64 v[37:38], 3, v[37:38]
	v_add_co_u32_e32 v41, vcc, s8, v35
	v_addc_co_u32_e32 v42, vcc, v22, v36, vcc
	;; [unrolled: 3-line block ×3, first 2 shown]
	v_add_co_u32_e32 v39, vcc, s8, v39
	v_addc_co_u32_e32 v40, vcc, v22, v40, vcc
	global_load_dwordx4 v[35:38], v[18:19], off offset:1024
	global_load_dwordx2 v[45:46], v[23:24], off
	global_load_dwordx2 v[47:48], v[41:42], off
	;; [unrolled: 1-line block ×4, first 2 shown]
	s_waitcnt vmcnt(3)
	v_fma_mix_f32 v23, v29, v45, v26 op_sel_hi:[1,1,0]
	v_fma_mix_f32 v23, v29, v45, v23 op_sel:[1,1,0] op_sel_hi:[1,1,0]
	v_fma_mix_f32 v23, v30, v46, v23 op_sel_hi:[1,1,0]
	v_fma_mix_f32 v39, v30, v46, v23 op_sel:[1,1,0] op_sel_hi:[1,1,0]
	global_load_dwordx4 v[23:26], v[18:19], off offset:1040
	v_fma_mix_f32 v12, v31, v45, v12 op_sel_hi:[1,1,0]
	v_fma_mix_f32 v13, v27, v45, v13 op_sel_hi:[1,1,0]
	;; [unrolled: 1-line block ×3, first 2 shown]
	v_fma_mix_f32 v12, v31, v45, v12 op_sel:[1,1,0] op_sel_hi:[1,1,0]
	s_waitcnt vmcnt(3)
	v_fma_mix_f32 v31, v37, v47, v39 op_sel_hi:[1,1,0]
	v_fma_mix_f32 v13, v27, v45, v13 op_sel:[1,1,0] op_sel_hi:[1,1,0]
	v_fma_mix_f32 v3, v33, v45, v3 op_sel:[1,1,0] op_sel_hi:[1,1,0]
	;; [unrolled: 1-line block ×3, first 2 shown]
	v_fma_mix_f32 v13, v28, v46, v13 op_sel_hi:[1,1,0]
	v_fma_mix_f32 v12, v32, v46, v12 op_sel_hi:[1,1,0]
	v_fma_mix_f32 v3, v34, v46, v3 op_sel_hi:[1,1,0]
	v_fma_mix_f32 v31, v38, v48, v31 op_sel_hi:[1,1,0]
	v_fma_mix_f32 v13, v28, v46, v13 op_sel:[1,1,0] op_sel_hi:[1,1,0]
	v_fma_mix_f32 v12, v32, v46, v12 op_sel:[1,1,0] op_sel_hi:[1,1,0]
	;; [unrolled: 1-line block ×3, first 2 shown]
	global_load_dwordx4 v[27:30], v[18:19], off offset:2048
	v_fma_mix_f32 v39, v38, v48, v31 op_sel:[1,1,0] op_sel_hi:[1,1,0]
	global_load_dwordx4 v[31:34], v[18:19], off offset:2064
	v_fma_mix_f32 v13, v35, v47, v13 op_sel_hi:[1,1,0]
	v_fma_mix_f32 v13, v35, v47, v13 op_sel:[1,1,0] op_sel_hi:[1,1,0]
	v_fma_mix_f32 v13, v36, v48, v13 op_sel_hi:[1,1,0]
	v_fma_mix_f32 v13, v36, v48, v13 op_sel:[1,1,0] op_sel_hi:[1,1,0]
	s_waitcnt vmcnt(2)
	v_fma_mix_f32 v12, v23, v47, v12 op_sel_hi:[1,1,0]
	v_fma_mix_f32 v3, v25, v47, v3 op_sel_hi:[1,1,0]
	v_fma_mix_f32 v12, v23, v47, v12 op_sel:[1,1,0] op_sel_hi:[1,1,0]
	v_fma_mix_f32 v3, v25, v47, v3 op_sel:[1,1,0] op_sel_hi:[1,1,0]
	v_fma_mix_f32 v12, v24, v48, v12 op_sel_hi:[1,1,0]
	v_fma_mix_f32 v3, v26, v48, v3 op_sel_hi:[1,1,0]
	v_fma_mix_f32 v12, v24, v48, v12 op_sel:[1,1,0] op_sel_hi:[1,1,0]
	v_fma_mix_f32 v3, v26, v48, v3 op_sel:[1,1,0] op_sel_hi:[1,1,0]
	global_load_dwordx4 v[23:26], v[18:19], off offset:3072
	global_load_dwordx4 v[35:38], v[18:19], off offset:3088
	v_add_co_u32_e32 v18, vcc, s17, v18
	s_mov_b64 s[2:3], vcc
	v_add_co_u32_e32 v16, vcc, 0x80, v16
	s_mov_b64 s[6:7], vcc
	v_addc_co_u32_e64 v19, vcc, 0, v19, s[2:3]
	s_waitcnt vmcnt(3)
	v_fma_mix_f32 v13, v27, v49, v13 op_sel_hi:[1,1,0]
	v_fma_mix_f32 v39, v29, v49, v39 op_sel_hi:[1,1,0]
	s_waitcnt vmcnt(2)
	v_fma_mix_f32 v12, v31, v49, v12 op_sel_hi:[1,1,0]
	v_fma_mix_f32 v3, v33, v49, v3 op_sel_hi:[1,1,0]
	v_fma_mix_f32 v13, v27, v49, v13 op_sel:[1,1,0] op_sel_hi:[1,1,0]
	v_fma_mix_f32 v27, v29, v49, v39 op_sel:[1,1,0] op_sel_hi:[1,1,0]
	;; [unrolled: 1-line block ×4, first 2 shown]
	v_fma_mix_f32 v13, v28, v50, v13 op_sel_hi:[1,1,0]
	v_fma_mix_f32 v27, v30, v50, v27 op_sel_hi:[1,1,0]
	;; [unrolled: 1-line block ×4, first 2 shown]
	v_fma_mix_f32 v13, v28, v50, v13 op_sel:[1,1,0] op_sel_hi:[1,1,0]
	v_fma_mix_f32 v27, v30, v50, v27 op_sel:[1,1,0] op_sel_hi:[1,1,0]
	;; [unrolled: 1-line block ×4, first 2 shown]
	v_addc_co_u32_e64 v17, s[2:3], 0, v17, s[6:7]
	v_cmp_ge_i64_e64 s[2:3], v[16:17], v[8:9]
	v_add_co_u32_e32 v20, vcc, 0x400, v20
	v_addc_co_u32_e32 v21, vcc, 0, v21, vcc
	s_or_b64 s[18:19], s[2:3], s[18:19]
	s_waitcnt vmcnt(1)
	v_fma_mix_f32 v13, v23, v51, v13 op_sel_hi:[1,1,0]
	v_fma_mix_f32 v27, v25, v51, v27 op_sel_hi:[1,1,0]
	s_waitcnt vmcnt(0)
	v_fma_mix_f32 v12, v35, v51, v12 op_sel_hi:[1,1,0]
	v_fma_mix_f32 v3, v37, v51, v3 op_sel_hi:[1,1,0]
	v_fma_mix_f32 v13, v23, v51, v13 op_sel:[1,1,0] op_sel_hi:[1,1,0]
	v_fma_mix_f32 v23, v25, v51, v27 op_sel:[1,1,0] op_sel_hi:[1,1,0]
	;; [unrolled: 1-line block ×4, first 2 shown]
	v_fma_mix_f32 v13, v24, v52, v13 op_sel_hi:[1,1,0]
	v_fma_mix_f32 v23, v26, v52, v23 op_sel_hi:[1,1,0]
	;; [unrolled: 1-line block ×4, first 2 shown]
	v_fma_mix_f32 v13, v24, v52, v13 op_sel:[1,1,0] op_sel_hi:[1,1,0]
	v_fma_mix_f32 v26, v26, v52, v23 op_sel:[1,1,0] op_sel_hi:[1,1,0]
	;; [unrolled: 1-line block ×4, first 2 shown]
	s_andn2_b64 exec, exec, s[18:19]
	s_cbranch_execnz .LBB103_23
; %bb.24:
	s_or_b64 exec, exec, s[18:19]
.LBB103_25:
	s_or_b64 exec, exec, s[14:15]
.LBB103_26:
	s_or_b64 exec, exec, s[10:11]
	s_cbranch_execz .LBB103_28
	s_branch .LBB103_39
.LBB103_27:
                                        ; implicit-def: $vgpr3
                                        ; implicit-def: $vgpr12
                                        ; implicit-def: $vgpr26
                                        ; implicit-def: $vgpr13
.LBB103_28:
	v_mov_b32_e32 v3, 0
	v_mov_b32_e32 v12, 0
	;; [unrolled: 1-line block ×4, first 2 shown]
	s_and_saveexec_b64 s[2:3], s[0:1]
	s_cbranch_execz .LBB103_38
; %bb.29:
	v_or_b32_e32 v3, 32, v0
	v_sub_co_u32_e32 v3, vcc, v3, v1
	v_subb_co_u32_e32 v13, vcc, 0, v2, vcc
	v_add_co_u32_e32 v12, vcc, v3, v14
	v_addc_co_u32_e32 v13, vcc, v13, v15, vcc
	v_cmp_gt_i64_e32 vcc, v[12:13], v[8:9]
	v_not_b32_e32 v14, v14
	v_cndmask_b32_e32 v3, v9, v13, vcc
	v_cndmask_b32_e32 v12, v8, v12, vcc
	v_not_b32_e32 v13, v15
	v_sub_co_u32_e32 v15, vcc, v1, v0
	v_subbrev_co_u32_e32 v16, vcc, 0, v2, vcc
	v_add_co_u32_e32 v14, vcc, v15, v14
	v_addc_co_u32_e32 v13, vcc, v16, v13, vcc
	v_add_co_u32_e32 v14, vcc, v14, v12
	v_addc_co_u32_e32 v15, vcc, v13, v3, vcc
	v_and_b32_e32 v12, 0x60, v14
	v_mov_b32_e32 v13, 0
	s_mov_b64 s[0:1], 0x60
	v_cmp_ne_u64_e32 vcc, s[0:1], v[12:13]
	v_mov_b32_e32 v26, v13
	v_mov_b32_e32 v12, v13
	;; [unrolled: 1-line block ×3, first 2 shown]
	s_and_saveexec_b64 s[6:7], vcc
	s_cbranch_execz .LBB103_33
; %bb.30:
	v_lshlrev_b64 v[12:13], 3, v[6:7]
	v_lshrrev_b32_e32 v3, 5, v14
	v_add_u32_e32 v3, 1, v3
	v_mov_b32_e32 v17, s13
	v_add_co_u32_e32 v16, vcc, s12, v12
	v_and_b32_e32 v18, 3, v3
	v_addc_co_u32_e32 v17, vcc, v17, v13, vcc
	v_sub_co_u32_e32 v18, vcc, 0, v18
	v_mov_b32_e32 v3, 0
	s_mov_b64 s[10:11], 0
	v_subb_co_u32_e64 v19, s[0:1], 0, 0, vcc
	s_movk_i32 s14, 0x400
	v_mov_b32_e32 v20, s9
	v_mov_b32_e32 v12, 0
	;; [unrolled: 1-line block ×4, first 2 shown]
.LBB103_31:                             ; =>This Inner Loop Header: Depth=1
	global_load_dwordx2 v[27:28], v[16:17], off
	global_load_dwordx4 v[21:24], v[10:11], off
	v_add_co_u32_e64 v6, s[0:1], 32, v6
	v_addc_co_u32_e64 v7, s[0:1], 0, v7, s[0:1]
	v_add_co_u32_e64 v18, s[0:1], 1, v18
	v_addc_co_u32_e64 v19, s[0:1], 0, v19, s[0:1]
	v_cmp_eq_u64_e64 s[0:1], 0, v[18:19]
	s_or_b64 s[10:11], s[0:1], s[10:11]
	s_waitcnt vmcnt(1)
	v_sub_co_u32_e32 v27, vcc, v27, v1
	v_subb_co_u32_e32 v28, vcc, v28, v2, vcc
	v_lshlrev_b64 v[27:28], 3, v[27:28]
	v_add_co_u32_e32 v31, vcc, s8, v27
	v_addc_co_u32_e32 v32, vcc, v20, v28, vcc
	global_load_dwordx2 v[33:34], v[31:32], off
	global_load_dwordx4 v[27:30], v[10:11], off offset:16
	v_add_co_u32_e32 v10, vcc, s14, v10
	v_addc_co_u32_e32 v11, vcc, 0, v11, vcc
	v_add_co_u32_e32 v16, vcc, 0x100, v16
	v_addc_co_u32_e32 v17, vcc, 0, v17, vcc
	s_waitcnt vmcnt(1)
	v_fma_mix_f32 v13, v21, v33, v13 op_sel_hi:[1,1,0]
	v_fma_mix_f32 v21, v21, v33, v26 op_sel:[1,0,0] op_sel_hi:[1,1,0]
	v_fma_mix_f32 v12, v22, v33, v12 op_sel_hi:[1,1,0]
	v_fma_mix_f32 v3, v22, v33, v3 op_sel:[1,0,0] op_sel_hi:[1,1,0]
	v_fma_mix_f32 v13, v23, v33, v13 op_sel:[0,1,0] op_sel_hi:[1,1,0]
	v_fma_mix_f32 v21, v23, v33, v21 op_sel:[1,1,0] op_sel_hi:[1,1,0]
	v_fma_mix_f32 v12, v24, v33, v12 op_sel:[0,1,0] op_sel_hi:[1,1,0]
	v_fma_mix_f32 v3, v24, v33, v3 op_sel:[1,1,0] op_sel_hi:[1,1,0]
	s_waitcnt vmcnt(0)
	v_fma_mix_f32 v13, v27, v34, v13 op_sel_hi:[1,1,0]
	v_fma_mix_f32 v21, v27, v34, v21 op_sel:[1,0,0] op_sel_hi:[1,1,0]
	v_fma_mix_f32 v12, v28, v34, v12 op_sel_hi:[1,1,0]
	v_fma_mix_f32 v3, v28, v34, v3 op_sel:[1,0,0] op_sel_hi:[1,1,0]
	v_fma_mix_f32 v13, v29, v34, v13 op_sel:[0,1,0] op_sel_hi:[1,1,0]
	;; [unrolled: 1-line block ×5, first 2 shown]
	s_andn2_b64 exec, exec, s[10:11]
	s_cbranch_execnz .LBB103_31
; %bb.32:
	s_or_b64 exec, exec, s[10:11]
.LBB103_33:
	s_or_b64 exec, exec, s[6:7]
	s_mov_b64 s[0:1], 0x5f
	v_cmp_lt_u64_e32 vcc, s[0:1], v[14:15]
	s_and_saveexec_b64 s[6:7], vcc
	s_cbranch_execz .LBB103_37
; %bb.34:
	v_lshlrev_b64 v[14:15], 3, v[6:7]
	v_mov_b32_e32 v16, s13
	v_add_co_u32_e32 v14, vcc, s12, v14
	v_addc_co_u32_e32 v15, vcc, v16, v15, vcc
	v_add_co_u32_e32 v14, vcc, 0x200, v14
	v_addc_co_u32_e32 v15, vcc, 0, v15, vcc
	s_mov_b64 s[10:11], 0
	v_mov_b32_e32 v16, s9
	s_movk_i32 s9, 0x1000
.LBB103_35:                             ; =>This Inner Loop Header: Depth=1
	global_load_dwordx2 v[27:28], v[14:15], off offset:-512
	global_load_dwordx2 v[29:30], v[14:15], off offset:-256
	global_load_dwordx2 v[31:32], v[14:15], off
	global_load_dwordx2 v[33:34], v[14:15], off offset:256
	global_load_dwordx4 v[17:20], v[10:11], off
	global_load_dwordx4 v[21:24], v[10:11], off offset:16
	s_waitcnt vmcnt(5)
	v_sub_co_u32_e32 v27, vcc, v27, v1
	v_subb_co_u32_e32 v28, vcc, v28, v2, vcc
	s_waitcnt vmcnt(4)
	v_sub_co_u32_e32 v29, vcc, v29, v1
	v_subb_co_u32_e32 v30, vcc, v30, v2, vcc
	;; [unrolled: 3-line block ×3, first 2 shown]
	s_waitcnt vmcnt(2)
	v_sub_co_u32_e32 v33, vcc, v33, v1
	v_lshlrev_b64 v[27:28], 3, v[27:28]
	v_subb_co_u32_e32 v34, vcc, v34, v2, vcc
	v_lshlrev_b64 v[29:30], 3, v[29:30]
	v_add_co_u32_e32 v35, vcc, s8, v27
	v_addc_co_u32_e32 v36, vcc, v16, v28, vcc
	v_lshlrev_b64 v[31:32], 3, v[31:32]
	v_add_co_u32_e32 v37, vcc, s8, v29
	v_addc_co_u32_e32 v38, vcc, v16, v30, vcc
	;; [unrolled: 3-line block ×3, first 2 shown]
	v_add_co_u32_e32 v33, vcc, s8, v33
	v_addc_co_u32_e32 v34, vcc, v16, v34, vcc
	global_load_dwordx4 v[27:30], v[10:11], off offset:1024
	global_load_dwordx2 v[39:40], v[35:36], off
	global_load_dwordx2 v[41:42], v[37:38], off
	;; [unrolled: 1-line block ×4, first 2 shown]
	s_waitcnt vmcnt(3)
	v_fma_mix_f32 v13, v17, v39, v13 op_sel_hi:[1,1,0]
	v_fma_mix_f32 v17, v17, v39, v26 op_sel:[1,0,0] op_sel_hi:[1,1,0]
	v_fma_mix_f32 v12, v18, v39, v12 op_sel_hi:[1,1,0]
	v_fma_mix_f32 v3, v18, v39, v3 op_sel:[1,0,0] op_sel_hi:[1,1,0]
	v_fma_mix_f32 v13, v19, v39, v13 op_sel:[0,1,0] op_sel_hi:[1,1,0]
	v_fma_mix_f32 v25, v19, v39, v17 op_sel:[1,1,0] op_sel_hi:[1,1,0]
	v_fma_mix_f32 v12, v20, v39, v12 op_sel:[0,1,0] op_sel_hi:[1,1,0]
	v_fma_mix_f32 v3, v20, v39, v3 op_sel:[1,1,0] op_sel_hi:[1,1,0]
	global_load_dwordx4 v[17:20], v[10:11], off offset:1040
	v_fma_mix_f32 v13, v21, v40, v13 op_sel_hi:[1,1,0]
	v_fma_mix_f32 v21, v21, v40, v25 op_sel:[1,0,0] op_sel_hi:[1,1,0]
	v_fma_mix_f32 v12, v22, v40, v12 op_sel_hi:[1,1,0]
	v_fma_mix_f32 v3, v22, v40, v3 op_sel:[1,0,0] op_sel_hi:[1,1,0]
	v_fma_mix_f32 v13, v23, v40, v13 op_sel:[0,1,0] op_sel_hi:[1,1,0]
	;; [unrolled: 1-line block ×5, first 2 shown]
	global_load_dwordx4 v[21:24], v[10:11], off offset:2048
	s_waitcnt vmcnt(4)
	v_fma_mix_f32 v13, v27, v41, v13 op_sel_hi:[1,1,0]
	v_fma_mix_f32 v25, v27, v41, v25 op_sel:[1,0,0] op_sel_hi:[1,1,0]
	v_fma_mix_f32 v12, v28, v41, v12 op_sel_hi:[1,1,0]
	v_fma_mix_f32 v3, v28, v41, v3 op_sel:[1,0,0] op_sel_hi:[1,1,0]
	v_fma_mix_f32 v13, v29, v41, v13 op_sel:[0,1,0] op_sel_hi:[1,1,0]
	;; [unrolled: 1-line block ×3, first 2 shown]
	global_load_dwordx4 v[25:28], v[10:11], off offset:2064
	v_fma_mix_f32 v12, v30, v41, v12 op_sel:[0,1,0] op_sel_hi:[1,1,0]
	v_fma_mix_f32 v3, v30, v41, v3 op_sel:[1,1,0] op_sel_hi:[1,1,0]
	s_waitcnt vmcnt(2)
	v_fma_mix_f32 v13, v17, v42, v13 op_sel_hi:[1,1,0]
	v_fma_mix_f32 v17, v17, v42, v29 op_sel:[1,0,0] op_sel_hi:[1,1,0]
	v_fma_mix_f32 v12, v18, v42, v12 op_sel_hi:[1,1,0]
	v_fma_mix_f32 v3, v18, v42, v3 op_sel:[1,0,0] op_sel_hi:[1,1,0]
	v_fma_mix_f32 v13, v19, v42, v13 op_sel:[0,1,0] op_sel_hi:[1,1,0]
	;; [unrolled: 1-line block ×5, first 2 shown]
	global_load_dwordx4 v[17:20], v[10:11], off offset:3072
	global_load_dwordx4 v[29:32], v[10:11], off offset:3088
	s_waitcnt vmcnt(3)
	v_fma_mix_f32 v13, v21, v43, v13 op_sel_hi:[1,1,0]
	v_fma_mix_f32 v21, v21, v43, v33 op_sel:[1,0,0] op_sel_hi:[1,1,0]
	v_fma_mix_f32 v12, v22, v43, v12 op_sel_hi:[1,1,0]
	v_fma_mix_f32 v3, v22, v43, v3 op_sel:[1,0,0] op_sel_hi:[1,1,0]
	v_add_co_u32_e32 v10, vcc, s9, v10
	v_fma_mix_f32 v13, v23, v43, v13 op_sel:[0,1,0] op_sel_hi:[1,1,0]
	v_fma_mix_f32 v21, v23, v43, v21 op_sel:[1,1,0] op_sel_hi:[1,1,0]
	;; [unrolled: 1-line block ×4, first 2 shown]
	v_addc_co_u32_e32 v11, vcc, 0, v11, vcc
	s_waitcnt vmcnt(2)
	v_fma_mix_f32 v13, v25, v44, v13 op_sel_hi:[1,1,0]
	v_fma_mix_f32 v21, v25, v44, v21 op_sel:[1,0,0] op_sel_hi:[1,1,0]
	v_fma_mix_f32 v12, v26, v44, v12 op_sel_hi:[1,1,0]
	v_fma_mix_f32 v3, v26, v44, v3 op_sel:[1,0,0] op_sel_hi:[1,1,0]
	v_add_co_u32_e32 v6, vcc, 0x80, v6
	v_fma_mix_f32 v13, v27, v44, v13 op_sel:[0,1,0] op_sel_hi:[1,1,0]
	v_fma_mix_f32 v21, v27, v44, v21 op_sel:[1,1,0] op_sel_hi:[1,1,0]
	v_fma_mix_f32 v12, v28, v44, v12 op_sel:[0,1,0] op_sel_hi:[1,1,0]
	v_fma_mix_f32 v3, v28, v44, v3 op_sel:[1,1,0] op_sel_hi:[1,1,0]
	v_addc_co_u32_e32 v7, vcc, 0, v7, vcc
	v_cmp_ge_i64_e64 s[0:1], v[6:7], v[8:9]
	v_add_co_u32_e32 v14, vcc, 0x400, v14
	v_addc_co_u32_e32 v15, vcc, 0, v15, vcc
	s_or_b64 s[10:11], s[0:1], s[10:11]
	s_waitcnt vmcnt(1)
	v_fma_mix_f32 v13, v17, v45, v13 op_sel_hi:[1,1,0]
	v_fma_mix_f32 v17, v17, v45, v21 op_sel:[1,0,0] op_sel_hi:[1,1,0]
	v_fma_mix_f32 v12, v18, v45, v12 op_sel_hi:[1,1,0]
	v_fma_mix_f32 v3, v18, v45, v3 op_sel:[1,0,0] op_sel_hi:[1,1,0]
	v_fma_mix_f32 v13, v19, v45, v13 op_sel:[0,1,0] op_sel_hi:[1,1,0]
	;; [unrolled: 1-line block ×5, first 2 shown]
	s_waitcnt vmcnt(0)
	v_fma_mix_f32 v13, v29, v46, v13 op_sel_hi:[1,1,0]
	v_fma_mix_f32 v17, v29, v46, v17 op_sel:[1,0,0] op_sel_hi:[1,1,0]
	v_fma_mix_f32 v12, v30, v46, v12 op_sel_hi:[1,1,0]
	v_fma_mix_f32 v3, v30, v46, v3 op_sel:[1,0,0] op_sel_hi:[1,1,0]
	v_fma_mix_f32 v13, v31, v46, v13 op_sel:[0,1,0] op_sel_hi:[1,1,0]
	;; [unrolled: 1-line block ×5, first 2 shown]
	s_andn2_b64 exec, exec, s[10:11]
	s_cbranch_execnz .LBB103_35
; %bb.36:
	s_or_b64 exec, exec, s[10:11]
.LBB103_37:
	s_or_b64 exec, exec, s[6:7]
.LBB103_38:
	s_or_b64 exec, exec, s[2:3]
.LBB103_39:
	v_mov_b32_dpp v1, v13 row_shr:1 row_mask:0xf bank_mask:0xf
	v_mov_b32_dpp v6, v26 row_shr:1 row_mask:0xf bank_mask:0xf
	v_mov_b32_dpp v8, v12 row_shr:1 row_mask:0xf bank_mask:0xf
	v_mov_b32_dpp v10, v3 row_shr:1 row_mask:0xf bank_mask:0xf
	v_add_f32_e32 v1, v13, v1
	v_add_f32_e32 v6, v26, v6
	v_add_f32_e32 v8, v12, v8
	v_add_f32_e32 v3, v3, v10
	v_mov_b32_dpp v2, v1 row_shr:2 row_mask:0xf bank_mask:0xf
	v_mov_b32_dpp v7, v6 row_shr:2 row_mask:0xf bank_mask:0xf
	v_mov_b32_dpp v9, v8 row_shr:2 row_mask:0xf bank_mask:0xf
	v_mov_b32_dpp v10, v3 row_shr:2 row_mask:0xf bank_mask:0xf
	v_add_f32_e32 v1, v1, v2
	v_add_f32_e32 v6, v6, v7
	v_add_f32_e32 v8, v8, v9
	v_add_f32_e32 v3, v3, v10
	;; [unrolled: 8-line block ×4, first 2 shown]
	v_mov_b32_dpp v2, v1 row_bcast:15 row_mask:0xa bank_mask:0xf
	v_mov_b32_dpp v7, v6 row_bcast:15 row_mask:0xa bank_mask:0xf
	;; [unrolled: 1-line block ×4, first 2 shown]
	v_cmp_eq_u32_e32 vcc, 31, v0
	s_and_b64 exec, exec, vcc
	s_cbranch_execz .LBB103_10
; %bb.40:
	s_load_dwordx2 s[0:1], s[4:5], 0x58
	v_add_f32_e32 v0, v1, v2
	v_add_f32_e32 v1, v6, v7
	;; [unrolled: 1-line block ×4, first 2 shown]
	v_cmp_eq_f32_e64 s[2:3], s20, 0
	v_lshlrev_b64 v[4:5], 4, v[4:5]
	s_and_b64 vcc, exec, s[2:3]
	v_mul_f32_e32 v0, s16, v0
	v_mul_f32_e32 v1, s16, v1
	;; [unrolled: 1-line block ×4, first 2 shown]
	s_cbranch_vccz .LBB103_42
; %bb.41:
	s_waitcnt lgkmcnt(0)
	v_mov_b32_e32 v7, s1
	v_add_co_u32_e32 v6, vcc, s0, v4
	v_addc_co_u32_e32 v7, vcc, v7, v5, vcc
	global_store_dwordx4 v[6:7], v[0:3], off
	s_cbranch_execnz .LBB103_10
	s_branch .LBB103_43
.LBB103_42:
.LBB103_43:
	s_waitcnt lgkmcnt(0)
	v_mov_b32_e32 v6, s1
	v_add_co_u32_e32 v8, vcc, s0, v4
	v_addc_co_u32_e32 v9, vcc, v6, v5, vcc
	global_load_dwordx4 v[4:7], v[8:9], off
	s_waitcnt vmcnt(0)
	v_fmac_f32_e32 v0, s20, v4
	v_fmac_f32_e32 v1, s20, v5
	;; [unrolled: 1-line block ×4, first 2 shown]
	global_store_dwordx4 v[8:9], v[0:3], off
	s_endpgm
	.section	.rodata,"a",@progbits
	.p2align	6, 0x0
	.amdhsa_kernel _ZN9rocsparseL18bsrxmvn_4x4_kernelILj128ELj32EfllDF16_DF16_fEEvT3_20rocsparse_direction_NS_24const_host_device_scalarIT1_EES1_PKS1_PKT2_SA_S7_PKT4_PKT5_S5_PT6_21rocsparse_index_base_b
		.amdhsa_group_segment_fixed_size 0
		.amdhsa_private_segment_fixed_size 0
		.amdhsa_kernarg_size 104
		.amdhsa_user_sgpr_count 6
		.amdhsa_user_sgpr_private_segment_buffer 1
		.amdhsa_user_sgpr_dispatch_ptr 0
		.amdhsa_user_sgpr_queue_ptr 0
		.amdhsa_user_sgpr_kernarg_segment_ptr 1
		.amdhsa_user_sgpr_dispatch_id 0
		.amdhsa_user_sgpr_flat_scratch_init 0
		.amdhsa_user_sgpr_private_segment_size 0
		.amdhsa_uses_dynamic_stack 0
		.amdhsa_system_sgpr_private_segment_wavefront_offset 0
		.amdhsa_system_sgpr_workgroup_id_x 1
		.amdhsa_system_sgpr_workgroup_id_y 0
		.amdhsa_system_sgpr_workgroup_id_z 0
		.amdhsa_system_sgpr_workgroup_info 0
		.amdhsa_system_vgpr_workitem_id 0
		.amdhsa_next_free_vgpr 53
		.amdhsa_next_free_sgpr 22
		.amdhsa_reserve_vcc 1
		.amdhsa_reserve_flat_scratch 0
		.amdhsa_float_round_mode_32 0
		.amdhsa_float_round_mode_16_64 0
		.amdhsa_float_denorm_mode_32 3
		.amdhsa_float_denorm_mode_16_64 3
		.amdhsa_dx10_clamp 1
		.amdhsa_ieee_mode 1
		.amdhsa_fp16_overflow 0
		.amdhsa_exception_fp_ieee_invalid_op 0
		.amdhsa_exception_fp_denorm_src 0
		.amdhsa_exception_fp_ieee_div_zero 0
		.amdhsa_exception_fp_ieee_overflow 0
		.amdhsa_exception_fp_ieee_underflow 0
		.amdhsa_exception_fp_ieee_inexact 0
		.amdhsa_exception_int_div_zero 0
	.end_amdhsa_kernel
	.section	.text._ZN9rocsparseL18bsrxmvn_4x4_kernelILj128ELj32EfllDF16_DF16_fEEvT3_20rocsparse_direction_NS_24const_host_device_scalarIT1_EES1_PKS1_PKT2_SA_S7_PKT4_PKT5_S5_PT6_21rocsparse_index_base_b,"axG",@progbits,_ZN9rocsparseL18bsrxmvn_4x4_kernelILj128ELj32EfllDF16_DF16_fEEvT3_20rocsparse_direction_NS_24const_host_device_scalarIT1_EES1_PKS1_PKT2_SA_S7_PKT4_PKT5_S5_PT6_21rocsparse_index_base_b,comdat
.Lfunc_end103:
	.size	_ZN9rocsparseL18bsrxmvn_4x4_kernelILj128ELj32EfllDF16_DF16_fEEvT3_20rocsparse_direction_NS_24const_host_device_scalarIT1_EES1_PKS1_PKT2_SA_S7_PKT4_PKT5_S5_PT6_21rocsparse_index_base_b, .Lfunc_end103-_ZN9rocsparseL18bsrxmvn_4x4_kernelILj128ELj32EfllDF16_DF16_fEEvT3_20rocsparse_direction_NS_24const_host_device_scalarIT1_EES1_PKS1_PKT2_SA_S7_PKT4_PKT5_S5_PT6_21rocsparse_index_base_b
                                        ; -- End function
	.set _ZN9rocsparseL18bsrxmvn_4x4_kernelILj128ELj32EfllDF16_DF16_fEEvT3_20rocsparse_direction_NS_24const_host_device_scalarIT1_EES1_PKS1_PKT2_SA_S7_PKT4_PKT5_S5_PT6_21rocsparse_index_base_b.num_vgpr, 53
	.set _ZN9rocsparseL18bsrxmvn_4x4_kernelILj128ELj32EfllDF16_DF16_fEEvT3_20rocsparse_direction_NS_24const_host_device_scalarIT1_EES1_PKS1_PKT2_SA_S7_PKT4_PKT5_S5_PT6_21rocsparse_index_base_b.num_agpr, 0
	.set _ZN9rocsparseL18bsrxmvn_4x4_kernelILj128ELj32EfllDF16_DF16_fEEvT3_20rocsparse_direction_NS_24const_host_device_scalarIT1_EES1_PKS1_PKT2_SA_S7_PKT4_PKT5_S5_PT6_21rocsparse_index_base_b.numbered_sgpr, 22
	.set _ZN9rocsparseL18bsrxmvn_4x4_kernelILj128ELj32EfllDF16_DF16_fEEvT3_20rocsparse_direction_NS_24const_host_device_scalarIT1_EES1_PKS1_PKT2_SA_S7_PKT4_PKT5_S5_PT6_21rocsparse_index_base_b.num_named_barrier, 0
	.set _ZN9rocsparseL18bsrxmvn_4x4_kernelILj128ELj32EfllDF16_DF16_fEEvT3_20rocsparse_direction_NS_24const_host_device_scalarIT1_EES1_PKS1_PKT2_SA_S7_PKT4_PKT5_S5_PT6_21rocsparse_index_base_b.private_seg_size, 0
	.set _ZN9rocsparseL18bsrxmvn_4x4_kernelILj128ELj32EfllDF16_DF16_fEEvT3_20rocsparse_direction_NS_24const_host_device_scalarIT1_EES1_PKS1_PKT2_SA_S7_PKT4_PKT5_S5_PT6_21rocsparse_index_base_b.uses_vcc, 1
	.set _ZN9rocsparseL18bsrxmvn_4x4_kernelILj128ELj32EfllDF16_DF16_fEEvT3_20rocsparse_direction_NS_24const_host_device_scalarIT1_EES1_PKS1_PKT2_SA_S7_PKT4_PKT5_S5_PT6_21rocsparse_index_base_b.uses_flat_scratch, 0
	.set _ZN9rocsparseL18bsrxmvn_4x4_kernelILj128ELj32EfllDF16_DF16_fEEvT3_20rocsparse_direction_NS_24const_host_device_scalarIT1_EES1_PKS1_PKT2_SA_S7_PKT4_PKT5_S5_PT6_21rocsparse_index_base_b.has_dyn_sized_stack, 0
	.set _ZN9rocsparseL18bsrxmvn_4x4_kernelILj128ELj32EfllDF16_DF16_fEEvT3_20rocsparse_direction_NS_24const_host_device_scalarIT1_EES1_PKS1_PKT2_SA_S7_PKT4_PKT5_S5_PT6_21rocsparse_index_base_b.has_recursion, 0
	.set _ZN9rocsparseL18bsrxmvn_4x4_kernelILj128ELj32EfllDF16_DF16_fEEvT3_20rocsparse_direction_NS_24const_host_device_scalarIT1_EES1_PKS1_PKT2_SA_S7_PKT4_PKT5_S5_PT6_21rocsparse_index_base_b.has_indirect_call, 0
	.section	.AMDGPU.csdata,"",@progbits
; Kernel info:
; codeLenInByte = 3684
; TotalNumSgprs: 26
; NumVgprs: 53
; ScratchSize: 0
; MemoryBound: 0
; FloatMode: 240
; IeeeMode: 1
; LDSByteSize: 0 bytes/workgroup (compile time only)
; SGPRBlocks: 3
; VGPRBlocks: 13
; NumSGPRsForWavesPerEU: 26
; NumVGPRsForWavesPerEU: 53
; Occupancy: 4
; WaveLimiterHint : 1
; COMPUTE_PGM_RSRC2:SCRATCH_EN: 0
; COMPUTE_PGM_RSRC2:USER_SGPR: 6
; COMPUTE_PGM_RSRC2:TRAP_HANDLER: 0
; COMPUTE_PGM_RSRC2:TGID_X_EN: 1
; COMPUTE_PGM_RSRC2:TGID_Y_EN: 0
; COMPUTE_PGM_RSRC2:TGID_Z_EN: 0
; COMPUTE_PGM_RSRC2:TIDIG_COMP_CNT: 0
	.section	.text._ZN9rocsparseL18bsrxmvn_4x4_kernelILj128ELj64EfllDF16_DF16_fEEvT3_20rocsparse_direction_NS_24const_host_device_scalarIT1_EES1_PKS1_PKT2_SA_S7_PKT4_PKT5_S5_PT6_21rocsparse_index_base_b,"axG",@progbits,_ZN9rocsparseL18bsrxmvn_4x4_kernelILj128ELj64EfllDF16_DF16_fEEvT3_20rocsparse_direction_NS_24const_host_device_scalarIT1_EES1_PKS1_PKT2_SA_S7_PKT4_PKT5_S5_PT6_21rocsparse_index_base_b,comdat
	.globl	_ZN9rocsparseL18bsrxmvn_4x4_kernelILj128ELj64EfllDF16_DF16_fEEvT3_20rocsparse_direction_NS_24const_host_device_scalarIT1_EES1_PKS1_PKT2_SA_S7_PKT4_PKT5_S5_PT6_21rocsparse_index_base_b ; -- Begin function _ZN9rocsparseL18bsrxmvn_4x4_kernelILj128ELj64EfllDF16_DF16_fEEvT3_20rocsparse_direction_NS_24const_host_device_scalarIT1_EES1_PKS1_PKT2_SA_S7_PKT4_PKT5_S5_PT6_21rocsparse_index_base_b
	.p2align	8
	.type	_ZN9rocsparseL18bsrxmvn_4x4_kernelILj128ELj64EfllDF16_DF16_fEEvT3_20rocsparse_direction_NS_24const_host_device_scalarIT1_EES1_PKS1_PKT2_SA_S7_PKT4_PKT5_S5_PT6_21rocsparse_index_base_b,@function
_ZN9rocsparseL18bsrxmvn_4x4_kernelILj128ELj64EfllDF16_DF16_fEEvT3_20rocsparse_direction_NS_24const_host_device_scalarIT1_EES1_PKS1_PKT2_SA_S7_PKT4_PKT5_S5_PT6_21rocsparse_index_base_b: ; @_ZN9rocsparseL18bsrxmvn_4x4_kernelILj128ELj64EfllDF16_DF16_fEEvT3_20rocsparse_direction_NS_24const_host_device_scalarIT1_EES1_PKS1_PKT2_SA_S7_PKT4_PKT5_S5_PT6_21rocsparse_index_base_b
; %bb.0:
	s_load_dwordx2 s[0:1], s[4:5], 0x60
	s_load_dwordx4 s[16:19], s[4:5], 0x10
	s_load_dwordx2 s[20:21], s[4:5], 0x50
	s_waitcnt lgkmcnt(0)
	s_bitcmp1_b32 s1, 0
	s_cselect_b64 s[8:9], -1, 0
	s_xor_b64 s[2:3], s[8:9], -1
	s_and_b64 vcc, exec, s[8:9]
	s_cbranch_vccnz .LBB104_2
; %bb.1:
	s_load_dword s16, s[16:17], 0x0
.LBB104_2:
	s_andn2_b64 vcc, exec, s[2:3]
	s_cbranch_vccnz .LBB104_4
; %bb.3:
	s_load_dword s20, s[20:21], 0x0
.LBB104_4:
	s_waitcnt lgkmcnt(0)
	v_cmp_neq_f32_e64 s[2:3], s16, 0
	v_cmp_neq_f32_e64 s[8:9], s20, 1.0
	s_or_b64 s[2:3], s[2:3], s[8:9]
	s_andn2_b64 vcc, exec, s[2:3]
	s_cbranch_vccnz .LBB104_10
; %bb.5:
	s_load_dwordx2 s[8:9], s[4:5], 0x20
	v_lshrrev_b32_e32 v1, 6, v0
	v_lshl_or_b32 v6, s6, 1, v1
	v_mov_b32_e32 v7, 0
	s_mov_b64 s[2:3], 0
	s_waitcnt lgkmcnt(0)
	s_cmp_lg_u64 s[8:9], 0
	s_cbranch_scc0 .LBB104_11
; %bb.6:
	v_cmp_gt_i64_e32 vcc, s[18:19], v[6:7]
                                        ; implicit-def: $vgpr4_vgpr5
                                        ; implicit-def: $vgpr1_vgpr2
	s_and_saveexec_b64 s[6:7], vcc
	s_xor_b64 s[6:7], exec, s[6:7]
	s_cbranch_execz .LBB104_8
; %bb.7:
	v_lshlrev_b64 v[1:2], 3, v[6:7]
	v_mov_b32_e32 v3, s9
	v_add_co_u32_e32 v1, vcc, s8, v1
	v_addc_co_u32_e32 v2, vcc, v3, v2, vcc
	global_load_dwordx2 v[1:2], v[1:2], off
	s_mov_b32 s1, 0
	s_mov_b64 s[2:3], exec
	s_waitcnt vmcnt(0)
	v_subrev_co_u32_e32 v4, vcc, s0, v1
	v_subbrev_co_u32_e32 v5, vcc, 0, v2, vcc
	v_mov_b32_e32 v2, s1
	v_mov_b32_e32 v1, s0
.LBB104_8:
	s_or_b64 exec, exec, s[6:7]
.LBB104_9:
	s_and_saveexec_b64 s[0:1], s[2:3]
	s_cbranch_execnz .LBB104_15
.LBB104_10:
	s_endpgm
.LBB104_11:
                                        ; implicit-def: $vgpr4_vgpr5
                                        ; implicit-def: $vgpr1_vgpr2
	s_cbranch_execz .LBB104_9
; %bb.12:
	s_load_dwordx2 s[6:7], s[4:5], 0x0
	s_waitcnt lgkmcnt(0)
	v_cmp_gt_i64_e32 vcc, s[6:7], v[6:7]
	s_and_saveexec_b64 s[6:7], vcc
; %bb.13:
	s_mov_b32 s1, 0
	s_or_b64 s[2:3], s[2:3], exec
; %bb.14:
	s_or_b64 exec, exec, s[6:7]
	v_mov_b32_e32 v2, s1
	v_mov_b32_e32 v4, v6
	;; [unrolled: 1-line block ×4, first 2 shown]
	s_and_saveexec_b64 s[0:1], s[2:3]
	s_cbranch_execz .LBB104_10
.LBB104_15:
	s_load_dwordx8 s[8:15], s[4:5], 0x28
	v_lshlrev_b64 v[6:7], 3, v[4:5]
	v_and_b32_e32 v0, 63, v0
	s_waitcnt lgkmcnt(0)
	v_mov_b32_e32 v3, s9
	v_add_co_u32_e32 v8, vcc, s8, v6
	v_addc_co_u32_e32 v9, vcc, v3, v7, vcc
	v_add_co_u32_e32 v3, vcc, 8, v8
	global_load_dwordx2 v[14:15], v[8:9], off
	v_addc_co_u32_e32 v8, vcc, 0, v9, vcc
	v_mov_b32_e32 v9, s11
	v_add_co_u32_e32 v6, vcc, s10, v6
	s_cmp_eq_u64 s[10:11], 0
	v_addc_co_u32_e32 v7, vcc, v9, v7, vcc
	s_cselect_b64 vcc, -1, 0
	v_cndmask_b32_e32 v7, v7, v8, vcc
	v_cndmask_b32_e32 v6, v6, v3, vcc
	global_load_dwordx2 v[8:9], v[6:7], off
	s_load_dword s0, s[4:5], 0x8
	s_load_dwordx2 s[8:9], s[4:5], 0x48
	v_mov_b32_e32 v12, s15
	v_mov_b32_e32 v3, 0
	s_waitcnt lgkmcnt(0)
	s_cmp_eq_u32 s0, 1
	s_waitcnt vmcnt(1)
	v_sub_co_u32_e32 v6, vcc, v14, v1
	v_subb_co_u32_e32 v7, vcc, v15, v2, vcc
	v_add_co_u32_e32 v6, vcc, v6, v0
	v_addc_co_u32_e32 v7, vcc, 0, v7, vcc
	v_lshlrev_b64 v[10:11], 5, v[6:7]
	s_waitcnt vmcnt(0)
	v_sub_co_u32_e32 v8, vcc, v8, v1
	v_subb_co_u32_e32 v9, vcc, v9, v2, vcc
	v_cmp_lt_i64_e64 s[0:1], v[6:7], v[8:9]
	v_add_co_u32_e32 v10, vcc, s14, v10
	v_addc_co_u32_e32 v11, vcc, v12, v11, vcc
	s_cbranch_scc1 .LBB104_27
; %bb.16:
	v_mov_b32_e32 v12, 0
	v_mov_b32_e32 v26, 0
	;; [unrolled: 1-line block ×3, first 2 shown]
	s_and_saveexec_b64 s[10:11], s[0:1]
	s_cbranch_execz .LBB104_26
; %bb.17:
	v_or_b32_e32 v3, 64, v0
	v_sub_co_u32_e32 v3, vcc, v3, v1
	v_subb_co_u32_e32 v13, vcc, 0, v2, vcc
	v_add_co_u32_e32 v12, vcc, v3, v14
	v_addc_co_u32_e32 v13, vcc, v13, v15, vcc
	v_cmp_gt_i64_e32 vcc, v[12:13], v[8:9]
	v_not_b32_e32 v16, v14
	v_cndmask_b32_e32 v3, v9, v13, vcc
	v_cndmask_b32_e32 v12, v8, v12, vcc
	v_sub_co_u32_e32 v17, vcc, v1, v0
	v_subbrev_co_u32_e32 v18, vcc, 0, v2, vcc
	v_not_b32_e32 v13, v15
	v_add_co_u32_e32 v16, vcc, v17, v16
	v_addc_co_u32_e32 v13, vcc, v18, v13, vcc
	v_add_co_u32_e32 v20, vcc, v16, v12
	v_addc_co_u32_e32 v21, vcc, v13, v3, vcc
	v_and_b32_e32 v12, 0xc0, v20
	v_mov_b32_e32 v13, 0
	s_mov_b64 s[2:3], 0xc0
	v_cmp_ne_u64_e32 vcc, s[2:3], v[12:13]
	v_mov_b32_e32 v17, v7
	v_mov_b32_e32 v19, v11
	;; [unrolled: 1-line block ×7, first 2 shown]
	s_and_saveexec_b64 s[6:7], vcc
	s_cbranch_execz .LBB104_21
; %bb.18:
	v_lshlrev_b64 v[12:13], 3, v[6:7]
	v_lshrrev_b32_e32 v3, 6, v20
	v_add_u32_e32 v3, 1, v3
	v_mov_b32_e32 v17, s13
	v_add_co_u32_e32 v22, vcc, s12, v12
	v_and_b32_e32 v16, 3, v3
	v_addc_co_u32_e32 v23, vcc, v17, v13, vcc
	v_sub_co_u32_e32 v24, vcc, 0, v16
	v_mov_b32_e32 v19, v11
	v_mov_b32_e32 v17, v7
	;; [unrolled: 1-line block ×3, first 2 shown]
	s_mov_b64 s[14:15], 0
	v_subb_co_u32_e64 v25, s[2:3], 0, 0, vcc
	s_movk_i32 s17, 0x800
	v_mov_b32_e32 v27, s9
	v_mov_b32_e32 v18, v10
	;; [unrolled: 1-line block ×6, first 2 shown]
.LBB104_19:                             ; =>This Inner Loop Header: Depth=1
	global_load_dwordx2 v[36:37], v[22:23], off
	global_load_dwordx4 v[28:31], v[18:19], off
	global_load_dwordx4 v[32:35], v[18:19], off offset:16
	v_add_co_u32_e64 v16, s[2:3], 64, v16
	v_addc_co_u32_e64 v17, s[2:3], 0, v17, s[2:3]
	v_add_co_u32_e64 v24, s[2:3], 1, v24
	v_addc_co_u32_e64 v25, s[2:3], 0, v25, s[2:3]
	v_cmp_eq_u64_e64 s[2:3], 0, v[24:25]
	s_or_b64 s[14:15], s[2:3], s[14:15]
	s_waitcnt vmcnt(2)
	v_sub_co_u32_e32 v36, vcc, v36, v1
	v_subb_co_u32_e32 v37, vcc, v37, v2, vcc
	v_lshlrev_b64 v[36:37], 3, v[36:37]
	v_add_co_u32_e32 v36, vcc, s8, v36
	v_addc_co_u32_e32 v37, vcc, v27, v37, vcc
	global_load_dwordx2 v[36:37], v[36:37], off
	v_add_co_u32_e32 v18, vcc, s17, v18
	v_addc_co_u32_e32 v19, vcc, 0, v19, vcc
	v_add_co_u32_e32 v22, vcc, 0x200, v22
	v_addc_co_u32_e32 v23, vcc, 0, v23, vcc
	s_waitcnt vmcnt(0)
	v_fma_mix_f32 v13, v28, v36, v13 op_sel_hi:[1,1,0]
	v_fma_mix_f32 v26, v30, v36, v26 op_sel_hi:[1,1,0]
	;; [unrolled: 1-line block ×4, first 2 shown]
	v_fma_mix_f32 v13, v28, v36, v13 op_sel:[1,1,0] op_sel_hi:[1,1,0]
	v_fma_mix_f32 v26, v30, v36, v26 op_sel:[1,1,0] op_sel_hi:[1,1,0]
	;; [unrolled: 1-line block ×4, first 2 shown]
	v_fma_mix_f32 v13, v29, v37, v13 op_sel_hi:[1,1,0]
	v_fma_mix_f32 v26, v31, v37, v26 op_sel_hi:[1,1,0]
	;; [unrolled: 1-line block ×4, first 2 shown]
	v_fma_mix_f32 v26, v31, v37, v26 op_sel:[1,1,0] op_sel_hi:[1,1,0]
	v_fma_mix_f32 v13, v29, v37, v13 op_sel:[1,1,0] op_sel_hi:[1,1,0]
	;; [unrolled: 1-line block ×4, first 2 shown]
	s_andn2_b64 exec, exec, s[14:15]
	s_cbranch_execnz .LBB104_19
; %bb.20:
	s_or_b64 exec, exec, s[14:15]
.LBB104_21:
	s_or_b64 exec, exec, s[6:7]
	s_mov_b64 s[2:3], 0xbf
	v_cmp_lt_u64_e32 vcc, s[2:3], v[20:21]
	s_and_saveexec_b64 s[14:15], vcc
	s_cbranch_execz .LBB104_25
; %bb.22:
	v_lshlrev_b64 v[20:21], 3, v[16:17]
	v_mov_b32_e32 v22, s13
	v_add_co_u32_e32 v20, vcc, s12, v20
	v_addc_co_u32_e32 v21, vcc, v22, v21, vcc
	v_add_co_u32_e32 v20, vcc, 0x400, v20
	v_addc_co_u32_e32 v21, vcc, 0, v21, vcc
	s_mov_b64 s[18:19], 0
	v_mov_b32_e32 v22, s9
	s_movk_i32 s17, 0x1000
.LBB104_23:                             ; =>This Inner Loop Header: Depth=1
	global_load_dwordx2 v[23:24], v[20:21], off offset:-1024
	global_load_dwordx2 v[35:36], v[20:21], off offset:-512
	global_load_dwordx4 v[27:30], v[18:19], off
	global_load_dwordx4 v[31:34], v[18:19], off offset:16
	global_load_dwordx2 v[39:40], v[20:21], off
	global_load_dwordx2 v[41:42], v[20:21], off offset:512
	s_waitcnt vmcnt(5)
	v_sub_co_u32_e32 v23, vcc, v23, v1
	v_subb_co_u32_e32 v24, vcc, v24, v2, vcc
	s_waitcnt vmcnt(4)
	v_sub_co_u32_e32 v35, vcc, v35, v1
	v_lshlrev_b64 v[23:24], 3, v[23:24]
	v_subb_co_u32_e32 v36, vcc, v36, v2, vcc
	v_lshlrev_b64 v[35:36], 3, v[35:36]
	v_add_co_u32_e32 v23, vcc, s8, v23
	v_addc_co_u32_e32 v24, vcc, v22, v24, vcc
	v_add_co_u32_e32 v43, vcc, s8, v35
	v_addc_co_u32_e32 v44, vcc, v22, v36, vcc
	global_load_dwordx4 v[35:38], v[18:19], off offset:2048
	global_load_dwordx2 v[45:46], v[23:24], off
	global_load_dwordx2 v[47:48], v[43:44], off
	s_waitcnt vmcnt(1)
	v_fma_mix_f32 v23, v29, v45, v26 op_sel_hi:[1,1,0]
	v_fma_mix_f32 v23, v29, v45, v23 op_sel:[1,1,0] op_sel_hi:[1,1,0]
	v_fma_mix_f32 v23, v30, v46, v23 op_sel_hi:[1,1,0]
	v_fma_mix_f32 v44, v30, v46, v23 op_sel:[1,1,0] op_sel_hi:[1,1,0]
	global_load_dwordx4 v[23:26], v[18:19], off offset:2064
	v_fma_mix_f32 v13, v27, v45, v13 op_sel_hi:[1,1,0]
	v_fma_mix_f32 v13, v27, v45, v13 op_sel:[1,1,0] op_sel_hi:[1,1,0]
	v_fma_mix_f32 v12, v31, v45, v12 op_sel_hi:[1,1,0]
	v_fma_mix_f32 v13, v28, v46, v13 op_sel_hi:[1,1,0]
	v_fma_mix_f32 v12, v31, v45, v12 op_sel:[1,1,0] op_sel_hi:[1,1,0]
	v_fma_mix_f32 v43, v28, v46, v13 op_sel:[1,1,0] op_sel_hi:[1,1,0]
	v_fma_mix_f32 v3, v33, v45, v3 op_sel_hi:[1,1,0]
	v_fma_mix_f32 v12, v32, v46, v12 op_sel_hi:[1,1,0]
	v_fma_mix_f32 v3, v33, v45, v3 op_sel:[1,1,0] op_sel_hi:[1,1,0]
	v_fma_mix_f32 v45, v32, v46, v12 op_sel:[1,1,0] op_sel_hi:[1,1,0]
	v_add_co_u32_e32 v12, vcc, s17, v18
	s_waitcnt vmcnt(1)
	v_fma_mix_f32 v31, v35, v47, v43 op_sel_hi:[1,1,0]
	v_addc_co_u32_e32 v13, vcc, 0, v19, vcc
	v_fma_mix_f32 v31, v35, v47, v31 op_sel:[1,1,0] op_sel_hi:[1,1,0]
	v_fma_mix_f32 v32, v37, v47, v44 op_sel_hi:[1,1,0]
	v_fma_mix_f32 v31, v36, v48, v31 op_sel_hi:[1,1,0]
	v_fma_mix_f32 v32, v37, v47, v32 op_sel:[1,1,0] op_sel_hi:[1,1,0]
	v_fma_mix_f32 v49, v36, v48, v31 op_sel:[1,1,0] op_sel_hi:[1,1,0]
	v_fma_mix_f32 v3, v34, v46, v3 op_sel_hi:[1,1,0]
	v_fma_mix_f32 v32, v38, v48, v32 op_sel_hi:[1,1,0]
	v_fma_mix_f32 v3, v34, v46, v3 op_sel:[1,1,0] op_sel_hi:[1,1,0]
	v_fma_mix_f32 v50, v38, v48, v32 op_sel:[1,1,0] op_sel_hi:[1,1,0]
	global_load_dwordx4 v[27:30], v[12:13], off
	global_load_dwordx4 v[31:34], v[12:13], off offset:16
	s_waitcnt vmcnt(2)
	v_fma_mix_f32 v35, v23, v47, v45 op_sel_hi:[1,1,0]
	v_fma_mix_f32 v23, v23, v47, v35 op_sel:[1,1,0] op_sel_hi:[1,1,0]
	v_sub_co_u32_e32 v35, vcc, v39, v1
	v_subb_co_u32_e32 v36, vcc, v40, v2, vcc
	v_sub_co_u32_e32 v37, vcc, v41, v1
	v_lshlrev_b64 v[35:36], 3, v[35:36]
	v_subb_co_u32_e32 v38, vcc, v42, v2, vcc
	v_fma_mix_f32 v3, v25, v47, v3 op_sel_hi:[1,1,0]
	v_lshlrev_b64 v[37:38], 3, v[37:38]
	v_add_co_u32_e32 v39, vcc, s8, v35
	v_fma_mix_f32 v3, v25, v47, v3 op_sel:[1,1,0] op_sel_hi:[1,1,0]
	v_addc_co_u32_e32 v40, vcc, v22, v36, vcc
	v_fma_mix_f32 v23, v24, v48, v23 op_sel_hi:[1,1,0]
	v_fma_mix_f32 v3, v26, v48, v3 op_sel_hi:[1,1,0]
	v_add_co_u32_e32 v41, vcc, s8, v37
	v_fma_mix_f32 v47, v24, v48, v23 op_sel:[1,1,0] op_sel_hi:[1,1,0]
	v_fma_mix_f32 v3, v26, v48, v3 op_sel:[1,1,0] op_sel_hi:[1,1,0]
	global_load_dwordx4 v[23:26], v[12:13], off offset:2048
	v_addc_co_u32_e32 v42, vcc, v22, v38, vcc
	global_load_dwordx4 v[35:38], v[12:13], off offset:2064
	global_load_dwordx2 v[43:44], v[39:40], off
	global_load_dwordx2 v[45:46], v[41:42], off
	v_add_co_u32_e32 v16, vcc, 0x100, v16
	s_mov_b64 s[2:3], vcc
	v_add_co_u32_e32 v20, vcc, 0x800, v20
	s_mov_b64 s[6:7], vcc
	v_addc_co_u32_e64 v17, vcc, 0, v17, s[2:3]
	v_addc_co_u32_e64 v21, s[2:3], 0, v21, s[6:7]
	v_cmp_ge_i64_e64 s[2:3], v[16:17], v[8:9]
	v_add_co_u32_e32 v18, vcc, 0x2000, v18
	v_addc_co_u32_e32 v19, vcc, 0, v19, vcc
	s_or_b64 s[18:19], s[2:3], s[18:19]
	s_waitcnt vmcnt(1)
	v_fma_mix_f32 v12, v27, v43, v49 op_sel_hi:[1,1,0]
	v_fma_mix_f32 v13, v29, v43, v50 op_sel_hi:[1,1,0]
	;; [unrolled: 1-line block ×4, first 2 shown]
	v_fma_mix_f32 v12, v27, v43, v12 op_sel:[1,1,0] op_sel_hi:[1,1,0]
	v_fma_mix_f32 v13, v29, v43, v13 op_sel:[1,1,0] op_sel_hi:[1,1,0]
	;; [unrolled: 1-line block ×4, first 2 shown]
	v_fma_mix_f32 v12, v28, v44, v12 op_sel_hi:[1,1,0]
	v_fma_mix_f32 v13, v30, v44, v13 op_sel_hi:[1,1,0]
	;; [unrolled: 1-line block ×4, first 2 shown]
	v_fma_mix_f32 v12, v28, v44, v12 op_sel:[1,1,0] op_sel_hi:[1,1,0]
	v_fma_mix_f32 v13, v30, v44, v13 op_sel:[1,1,0] op_sel_hi:[1,1,0]
	;; [unrolled: 1-line block ×4, first 2 shown]
	s_waitcnt vmcnt(0)
	v_fma_mix_f32 v12, v23, v45, v12 op_sel_hi:[1,1,0]
	v_fma_mix_f32 v13, v25, v45, v13 op_sel_hi:[1,1,0]
	v_fma_mix_f32 v27, v35, v45, v27 op_sel_hi:[1,1,0]
	v_fma_mix_f32 v3, v37, v45, v3 op_sel_hi:[1,1,0]
	v_fma_mix_f32 v12, v23, v45, v12 op_sel:[1,1,0] op_sel_hi:[1,1,0]
	v_fma_mix_f32 v13, v25, v45, v13 op_sel:[1,1,0] op_sel_hi:[1,1,0]
	v_fma_mix_f32 v23, v35, v45, v27 op_sel:[1,1,0] op_sel_hi:[1,1,0]
	v_fma_mix_f32 v3, v37, v45, v3 op_sel:[1,1,0] op_sel_hi:[1,1,0]
	v_fma_mix_f32 v12, v24, v46, v12 op_sel_hi:[1,1,0]
	v_fma_mix_f32 v25, v26, v46, v13 op_sel_hi:[1,1,0]
	;; [unrolled: 1-line block ×4, first 2 shown]
	v_fma_mix_f32 v13, v24, v46, v12 op_sel:[1,1,0] op_sel_hi:[1,1,0]
	v_fma_mix_f32 v26, v26, v46, v25 op_sel:[1,1,0] op_sel_hi:[1,1,0]
	;; [unrolled: 1-line block ×4, first 2 shown]
	s_andn2_b64 exec, exec, s[18:19]
	s_cbranch_execnz .LBB104_23
; %bb.24:
	s_or_b64 exec, exec, s[18:19]
.LBB104_25:
	s_or_b64 exec, exec, s[14:15]
.LBB104_26:
	s_or_b64 exec, exec, s[10:11]
	s_cbranch_execz .LBB104_28
	s_branch .LBB104_39
.LBB104_27:
                                        ; implicit-def: $vgpr3
                                        ; implicit-def: $vgpr12
                                        ; implicit-def: $vgpr26
                                        ; implicit-def: $vgpr13
.LBB104_28:
	v_mov_b32_e32 v3, 0
	v_mov_b32_e32 v12, 0
	v_mov_b32_e32 v26, 0
	v_mov_b32_e32 v13, 0
	s_and_saveexec_b64 s[2:3], s[0:1]
	s_cbranch_execz .LBB104_38
; %bb.29:
	v_or_b32_e32 v3, 64, v0
	v_sub_co_u32_e32 v3, vcc, v3, v1
	v_subb_co_u32_e32 v13, vcc, 0, v2, vcc
	v_add_co_u32_e32 v12, vcc, v3, v14
	v_addc_co_u32_e32 v13, vcc, v13, v15, vcc
	v_cmp_gt_i64_e32 vcc, v[12:13], v[8:9]
	v_not_b32_e32 v14, v14
	v_cndmask_b32_e32 v3, v9, v13, vcc
	v_cndmask_b32_e32 v12, v8, v12, vcc
	v_not_b32_e32 v13, v15
	v_sub_co_u32_e32 v15, vcc, v1, v0
	v_subbrev_co_u32_e32 v16, vcc, 0, v2, vcc
	v_add_co_u32_e32 v14, vcc, v15, v14
	v_addc_co_u32_e32 v13, vcc, v16, v13, vcc
	v_add_co_u32_e32 v14, vcc, v14, v12
	v_addc_co_u32_e32 v15, vcc, v13, v3, vcc
	v_and_b32_e32 v12, 0xc0, v14
	v_mov_b32_e32 v13, 0
	s_mov_b64 s[0:1], 0xc0
	v_cmp_ne_u64_e32 vcc, s[0:1], v[12:13]
	v_mov_b32_e32 v26, v13
	v_mov_b32_e32 v12, v13
	;; [unrolled: 1-line block ×3, first 2 shown]
	s_and_saveexec_b64 s[6:7], vcc
	s_cbranch_execz .LBB104_33
; %bb.30:
	v_lshlrev_b64 v[12:13], 3, v[6:7]
	v_lshrrev_b32_e32 v3, 6, v14
	v_add_u32_e32 v3, 1, v3
	v_mov_b32_e32 v17, s13
	v_add_co_u32_e32 v16, vcc, s12, v12
	v_and_b32_e32 v18, 3, v3
	v_addc_co_u32_e32 v17, vcc, v17, v13, vcc
	v_sub_co_u32_e32 v18, vcc, 0, v18
	v_mov_b32_e32 v3, 0
	s_mov_b64 s[10:11], 0
	v_subb_co_u32_e64 v19, s[0:1], 0, 0, vcc
	s_movk_i32 s14, 0x800
	v_mov_b32_e32 v20, s9
	v_mov_b32_e32 v12, 0
	;; [unrolled: 1-line block ×4, first 2 shown]
.LBB104_31:                             ; =>This Inner Loop Header: Depth=1
	global_load_dwordx2 v[27:28], v[16:17], off
	global_load_dwordx4 v[21:24], v[10:11], off
	v_add_co_u32_e64 v6, s[0:1], 64, v6
	v_addc_co_u32_e64 v7, s[0:1], 0, v7, s[0:1]
	v_add_co_u32_e64 v18, s[0:1], 1, v18
	v_addc_co_u32_e64 v19, s[0:1], 0, v19, s[0:1]
	v_cmp_eq_u64_e64 s[0:1], 0, v[18:19]
	s_or_b64 s[10:11], s[0:1], s[10:11]
	s_waitcnt vmcnt(1)
	v_sub_co_u32_e32 v27, vcc, v27, v1
	v_subb_co_u32_e32 v28, vcc, v28, v2, vcc
	v_lshlrev_b64 v[27:28], 3, v[27:28]
	v_add_co_u32_e32 v31, vcc, s8, v27
	v_addc_co_u32_e32 v32, vcc, v20, v28, vcc
	global_load_dwordx2 v[33:34], v[31:32], off
	global_load_dwordx4 v[27:30], v[10:11], off offset:16
	v_add_co_u32_e32 v10, vcc, s14, v10
	v_addc_co_u32_e32 v11, vcc, 0, v11, vcc
	v_add_co_u32_e32 v16, vcc, 0x200, v16
	v_addc_co_u32_e32 v17, vcc, 0, v17, vcc
	s_waitcnt vmcnt(1)
	v_fma_mix_f32 v13, v21, v33, v13 op_sel_hi:[1,1,0]
	v_fma_mix_f32 v21, v21, v33, v26 op_sel:[1,0,0] op_sel_hi:[1,1,0]
	v_fma_mix_f32 v12, v22, v33, v12 op_sel_hi:[1,1,0]
	v_fma_mix_f32 v3, v22, v33, v3 op_sel:[1,0,0] op_sel_hi:[1,1,0]
	v_fma_mix_f32 v13, v23, v33, v13 op_sel:[0,1,0] op_sel_hi:[1,1,0]
	;; [unrolled: 1-line block ×5, first 2 shown]
	s_waitcnt vmcnt(0)
	v_fma_mix_f32 v13, v27, v34, v13 op_sel_hi:[1,1,0]
	v_fma_mix_f32 v21, v27, v34, v21 op_sel:[1,0,0] op_sel_hi:[1,1,0]
	v_fma_mix_f32 v12, v28, v34, v12 op_sel_hi:[1,1,0]
	v_fma_mix_f32 v3, v28, v34, v3 op_sel:[1,0,0] op_sel_hi:[1,1,0]
	v_fma_mix_f32 v13, v29, v34, v13 op_sel:[0,1,0] op_sel_hi:[1,1,0]
	;; [unrolled: 1-line block ×5, first 2 shown]
	s_andn2_b64 exec, exec, s[10:11]
	s_cbranch_execnz .LBB104_31
; %bb.32:
	s_or_b64 exec, exec, s[10:11]
.LBB104_33:
	s_or_b64 exec, exec, s[6:7]
	s_mov_b64 s[0:1], 0xbf
	v_cmp_lt_u64_e32 vcc, s[0:1], v[14:15]
	s_and_saveexec_b64 s[6:7], vcc
	s_cbranch_execz .LBB104_37
; %bb.34:
	v_lshlrev_b64 v[14:15], 3, v[6:7]
	v_mov_b32_e32 v16, s13
	v_add_co_u32_e32 v14, vcc, s12, v14
	v_addc_co_u32_e32 v15, vcc, v16, v15, vcc
	v_add_co_u32_e32 v14, vcc, 0x400, v14
	v_addc_co_u32_e32 v15, vcc, 0, v15, vcc
	s_mov_b64 s[10:11], 0
	v_mov_b32_e32 v16, s9
	s_movk_i32 s9, 0x1000
.LBB104_35:                             ; =>This Inner Loop Header: Depth=1
	global_load_dwordx2 v[27:28], v[14:15], off offset:-1024
	global_load_dwordx2 v[29:30], v[14:15], off offset:-512
	global_load_dwordx4 v[17:20], v[10:11], off
	global_load_dwordx4 v[21:24], v[10:11], off offset:16
	global_load_dwordx2 v[31:32], v[14:15], off
	global_load_dwordx2 v[33:34], v[14:15], off offset:512
	s_waitcnt vmcnt(5)
	v_sub_co_u32_e32 v27, vcc, v27, v1
	v_subb_co_u32_e32 v28, vcc, v28, v2, vcc
	s_waitcnt vmcnt(4)
	v_sub_co_u32_e32 v29, vcc, v29, v1
	v_lshlrev_b64 v[27:28], 3, v[27:28]
	v_subb_co_u32_e32 v30, vcc, v30, v2, vcc
	v_lshlrev_b64 v[29:30], 3, v[29:30]
	v_add_co_u32_e32 v35, vcc, s8, v27
	v_addc_co_u32_e32 v36, vcc, v16, v28, vcc
	v_add_co_u32_e32 v37, vcc, s8, v29
	v_addc_co_u32_e32 v38, vcc, v16, v30, vcc
	global_load_dwordx4 v[27:30], v[10:11], off offset:2048
	global_load_dwordx2 v[39:40], v[35:36], off
	global_load_dwordx2 v[41:42], v[37:38], off
	s_waitcnt vmcnt(1)
	v_fma_mix_f32 v13, v17, v39, v13 op_sel_hi:[1,1,0]
	v_fma_mix_f32 v17, v17, v39, v26 op_sel:[1,0,0] op_sel_hi:[1,1,0]
	v_fma_mix_f32 v12, v18, v39, v12 op_sel_hi:[1,1,0]
	v_fma_mix_f32 v3, v18, v39, v3 op_sel:[1,0,0] op_sel_hi:[1,1,0]
	v_fma_mix_f32 v13, v19, v39, v13 op_sel:[0,1,0] op_sel_hi:[1,1,0]
	;; [unrolled: 1-line block ×5, first 2 shown]
	global_load_dwordx4 v[17:20], v[10:11], off offset:2064
	v_fma_mix_f32 v13, v21, v40, v13 op_sel_hi:[1,1,0]
	v_fma_mix_f32 v21, v21, v40, v25 op_sel:[1,0,0] op_sel_hi:[1,1,0]
	v_fma_mix_f32 v12, v22, v40, v12 op_sel_hi:[1,1,0]
	v_fma_mix_f32 v3, v22, v40, v3 op_sel:[1,0,0] op_sel_hi:[1,1,0]
	v_fma_mix_f32 v25, v23, v40, v13 op_sel:[0,1,0] op_sel_hi:[1,1,0]
	;; [unrolled: 1-line block ×5, first 2 shown]
	v_add_co_u32_e32 v12, vcc, s9, v10
	s_waitcnt vmcnt(1)
	v_fma_mix_f32 v25, v27, v41, v25 op_sel_hi:[1,1,0]
	v_fma_mix_f32 v26, v27, v41, v26 op_sel:[1,0,0] op_sel_hi:[1,1,0]
	v_fma_mix_f32 v27, v28, v41, v35 op_sel_hi:[1,1,0]
	v_addc_co_u32_e32 v13, vcc, 0, v11, vcc
	v_fma_mix_f32 v3, v28, v41, v3 op_sel:[1,0,0] op_sel_hi:[1,1,0]
	v_fma_mix_f32 v35, v29, v41, v25 op_sel:[0,1,0] op_sel_hi:[1,1,0]
	;; [unrolled: 1-line block ×4, first 2 shown]
	global_load_dwordx4 v[21:24], v[12:13], off
	v_fma_mix_f32 v3, v30, v41, v3 op_sel:[1,1,0] op_sel_hi:[1,1,0]
	global_load_dwordx4 v[25:28], v[12:13], off offset:16
	s_waitcnt vmcnt(2)
	v_fma_mix_f32 v30, v17, v42, v35 op_sel_hi:[1,1,0]
	v_fma_mix_f32 v17, v17, v42, v29 op_sel:[1,0,0] op_sel_hi:[1,1,0]
	v_fma_mix_f32 v29, v18, v42, v36 op_sel_hi:[1,1,0]
	v_fma_mix_f32 v44, v20, v42, v29 op_sel:[0,1,0] op_sel_hi:[1,1,0]
	v_sub_co_u32_e32 v29, vcc, v31, v1
	v_fma_mix_f32 v41, v19, v42, v30 op_sel:[0,1,0] op_sel_hi:[1,1,0]
	v_subb_co_u32_e32 v30, vcc, v32, v2, vcc
	v_sub_co_u32_e32 v31, vcc, v33, v1
	v_lshlrev_b64 v[29:30], 3, v[29:30]
	v_subb_co_u32_e32 v32, vcc, v34, v2, vcc
	v_lshlrev_b64 v[31:32], 3, v[31:32]
	v_add_co_u32_e32 v33, vcc, s8, v29
	v_addc_co_u32_e32 v34, vcc, v16, v30, vcc
	v_fma_mix_f32 v3, v18, v42, v3 op_sel:[1,0,0] op_sel_hi:[1,1,0]
	v_add_co_u32_e32 v35, vcc, s8, v31
	v_fma_mix_f32 v43, v19, v42, v17 op_sel:[1,1,0] op_sel_hi:[1,1,0]
	v_fma_mix_f32 v3, v20, v42, v3 op_sel:[1,1,0] op_sel_hi:[1,1,0]
	global_load_dwordx4 v[17:20], v[12:13], off offset:2048
	v_addc_co_u32_e32 v36, vcc, v16, v32, vcc
	global_load_dwordx2 v[37:38], v[33:34], off
	global_load_dwordx2 v[39:40], v[35:36], off
	global_load_dwordx4 v[29:32], v[12:13], off offset:2064
	v_add_co_u32_e32 v6, vcc, 0x100, v6
	v_addc_co_u32_e32 v7, vcc, 0, v7, vcc
	v_add_co_u32_e32 v14, vcc, 0x800, v14
	v_addc_co_u32_e32 v15, vcc, 0, v15, vcc
	v_cmp_ge_i64_e64 s[0:1], v[6:7], v[8:9]
	v_add_co_u32_e32 v10, vcc, 0x2000, v10
	v_addc_co_u32_e32 v11, vcc, 0, v11, vcc
	s_or_b64 s[10:11], s[0:1], s[10:11]
	s_waitcnt vmcnt(2)
	v_fma_mix_f32 v12, v21, v37, v41 op_sel_hi:[1,1,0]
	v_fma_mix_f32 v13, v21, v37, v43 op_sel:[1,0,0] op_sel_hi:[1,1,0]
	v_fma_mix_f32 v21, v22, v37, v44 op_sel_hi:[1,1,0]
	v_fma_mix_f32 v3, v22, v37, v3 op_sel:[1,0,0] op_sel_hi:[1,1,0]
	v_fma_mix_f32 v12, v23, v37, v12 op_sel:[0,1,0] op_sel_hi:[1,1,0]
	;; [unrolled: 1-line block ×5, first 2 shown]
	v_fma_mix_f32 v12, v25, v38, v12 op_sel_hi:[1,1,0]
	v_fma_mix_f32 v13, v25, v38, v13 op_sel:[1,0,0] op_sel_hi:[1,1,0]
	v_fma_mix_f32 v21, v26, v38, v21 op_sel_hi:[1,1,0]
	v_fma_mix_f32 v3, v26, v38, v3 op_sel:[1,0,0] op_sel_hi:[1,1,0]
	v_fma_mix_f32 v12, v27, v38, v12 op_sel:[0,1,0] op_sel_hi:[1,1,0]
	;; [unrolled: 1-line block ×5, first 2 shown]
	s_waitcnt vmcnt(1)
	v_fma_mix_f32 v12, v17, v39, v12 op_sel_hi:[1,1,0]
	v_fma_mix_f32 v13, v17, v39, v13 op_sel:[1,0,0] op_sel_hi:[1,1,0]
	v_fma_mix_f32 v17, v18, v39, v21 op_sel_hi:[1,1,0]
	v_fma_mix_f32 v3, v18, v39, v3 op_sel:[1,0,0] op_sel_hi:[1,1,0]
	v_fma_mix_f32 v12, v19, v39, v12 op_sel:[0,1,0] op_sel_hi:[1,1,0]
	;; [unrolled: 1-line block ×5, first 2 shown]
	s_waitcnt vmcnt(0)
	v_fma_mix_f32 v12, v29, v40, v12 op_sel_hi:[1,1,0]
	v_fma_mix_f32 v18, v29, v40, v13 op_sel:[1,0,0] op_sel_hi:[1,1,0]
	v_fma_mix_f32 v17, v30, v40, v17 op_sel_hi:[1,1,0]
	v_fma_mix_f32 v3, v30, v40, v3 op_sel:[1,0,0] op_sel_hi:[1,1,0]
	v_fma_mix_f32 v13, v31, v40, v12 op_sel:[0,1,0] op_sel_hi:[1,1,0]
	;; [unrolled: 1-line block ×5, first 2 shown]
	s_andn2_b64 exec, exec, s[10:11]
	s_cbranch_execnz .LBB104_35
; %bb.36:
	s_or_b64 exec, exec, s[10:11]
.LBB104_37:
	s_or_b64 exec, exec, s[6:7]
.LBB104_38:
	s_or_b64 exec, exec, s[2:3]
.LBB104_39:
	v_mov_b32_dpp v1, v13 row_shr:1 row_mask:0xf bank_mask:0xf
	v_mov_b32_dpp v6, v26 row_shr:1 row_mask:0xf bank_mask:0xf
	v_mov_b32_dpp v8, v12 row_shr:1 row_mask:0xf bank_mask:0xf
	v_mov_b32_dpp v10, v3 row_shr:1 row_mask:0xf bank_mask:0xf
	v_add_f32_e32 v1, v13, v1
	v_add_f32_e32 v6, v26, v6
	v_add_f32_e32 v8, v12, v8
	v_add_f32_e32 v3, v3, v10
	v_mov_b32_dpp v2, v1 row_shr:2 row_mask:0xf bank_mask:0xf
	v_mov_b32_dpp v7, v6 row_shr:2 row_mask:0xf bank_mask:0xf
	v_mov_b32_dpp v9, v8 row_shr:2 row_mask:0xf bank_mask:0xf
	v_mov_b32_dpp v10, v3 row_shr:2 row_mask:0xf bank_mask:0xf
	v_add_f32_e32 v1, v1, v2
	v_add_f32_e32 v6, v6, v7
	v_add_f32_e32 v8, v8, v9
	v_add_f32_e32 v3, v3, v10
	;; [unrolled: 8-line block ×4, first 2 shown]
	v_mov_b32_dpp v2, v1 row_bcast:15 row_mask:0xa bank_mask:0xf
	v_mov_b32_dpp v7, v6 row_bcast:15 row_mask:0xa bank_mask:0xf
	;; [unrolled: 1-line block ×4, first 2 shown]
	v_add_f32_e32 v1, v1, v2
	v_add_f32_e32 v6, v6, v7
	;; [unrolled: 1-line block ×4, first 2 shown]
	v_mov_b32_dpp v2, v1 row_bcast:31 row_mask:0xc bank_mask:0xf
	v_mov_b32_dpp v7, v6 row_bcast:31 row_mask:0xc bank_mask:0xf
	;; [unrolled: 1-line block ×4, first 2 shown]
	v_cmp_eq_u32_e32 vcc, 63, v0
	s_and_b64 exec, exec, vcc
	s_cbranch_execz .LBB104_10
; %bb.40:
	s_load_dwordx2 s[0:1], s[4:5], 0x58
	v_add_f32_e32 v0, v1, v2
	v_add_f32_e32 v1, v6, v7
	;; [unrolled: 1-line block ×4, first 2 shown]
	v_cmp_eq_f32_e64 s[2:3], s20, 0
	v_lshlrev_b64 v[4:5], 4, v[4:5]
	s_and_b64 vcc, exec, s[2:3]
	v_mul_f32_e32 v0, s16, v0
	v_mul_f32_e32 v1, s16, v1
	;; [unrolled: 1-line block ×4, first 2 shown]
	s_cbranch_vccz .LBB104_42
; %bb.41:
	s_waitcnt lgkmcnt(0)
	v_mov_b32_e32 v7, s1
	v_add_co_u32_e32 v6, vcc, s0, v4
	v_addc_co_u32_e32 v7, vcc, v7, v5, vcc
	global_store_dwordx4 v[6:7], v[0:3], off
	s_cbranch_execnz .LBB104_10
	s_branch .LBB104_43
.LBB104_42:
.LBB104_43:
	s_waitcnt lgkmcnt(0)
	v_mov_b32_e32 v6, s1
	v_add_co_u32_e32 v8, vcc, s0, v4
	v_addc_co_u32_e32 v9, vcc, v6, v5, vcc
	global_load_dwordx4 v[4:7], v[8:9], off
	s_waitcnt vmcnt(0)
	v_fmac_f32_e32 v0, s20, v4
	v_fmac_f32_e32 v1, s20, v5
	;; [unrolled: 1-line block ×4, first 2 shown]
	global_store_dwordx4 v[8:9], v[0:3], off
	s_endpgm
	.section	.rodata,"a",@progbits
	.p2align	6, 0x0
	.amdhsa_kernel _ZN9rocsparseL18bsrxmvn_4x4_kernelILj128ELj64EfllDF16_DF16_fEEvT3_20rocsparse_direction_NS_24const_host_device_scalarIT1_EES1_PKS1_PKT2_SA_S7_PKT4_PKT5_S5_PT6_21rocsparse_index_base_b
		.amdhsa_group_segment_fixed_size 0
		.amdhsa_private_segment_fixed_size 0
		.amdhsa_kernarg_size 104
		.amdhsa_user_sgpr_count 6
		.amdhsa_user_sgpr_private_segment_buffer 1
		.amdhsa_user_sgpr_dispatch_ptr 0
		.amdhsa_user_sgpr_queue_ptr 0
		.amdhsa_user_sgpr_kernarg_segment_ptr 1
		.amdhsa_user_sgpr_dispatch_id 0
		.amdhsa_user_sgpr_flat_scratch_init 0
		.amdhsa_user_sgpr_private_segment_size 0
		.amdhsa_uses_dynamic_stack 0
		.amdhsa_system_sgpr_private_segment_wavefront_offset 0
		.amdhsa_system_sgpr_workgroup_id_x 1
		.amdhsa_system_sgpr_workgroup_id_y 0
		.amdhsa_system_sgpr_workgroup_id_z 0
		.amdhsa_system_sgpr_workgroup_info 0
		.amdhsa_system_vgpr_workitem_id 0
		.amdhsa_next_free_vgpr 51
		.amdhsa_next_free_sgpr 22
		.amdhsa_reserve_vcc 1
		.amdhsa_reserve_flat_scratch 0
		.amdhsa_float_round_mode_32 0
		.amdhsa_float_round_mode_16_64 0
		.amdhsa_float_denorm_mode_32 3
		.amdhsa_float_denorm_mode_16_64 3
		.amdhsa_dx10_clamp 1
		.amdhsa_ieee_mode 1
		.amdhsa_fp16_overflow 0
		.amdhsa_exception_fp_ieee_invalid_op 0
		.amdhsa_exception_fp_denorm_src 0
		.amdhsa_exception_fp_ieee_div_zero 0
		.amdhsa_exception_fp_ieee_overflow 0
		.amdhsa_exception_fp_ieee_underflow 0
		.amdhsa_exception_fp_ieee_inexact 0
		.amdhsa_exception_int_div_zero 0
	.end_amdhsa_kernel
	.section	.text._ZN9rocsparseL18bsrxmvn_4x4_kernelILj128ELj64EfllDF16_DF16_fEEvT3_20rocsparse_direction_NS_24const_host_device_scalarIT1_EES1_PKS1_PKT2_SA_S7_PKT4_PKT5_S5_PT6_21rocsparse_index_base_b,"axG",@progbits,_ZN9rocsparseL18bsrxmvn_4x4_kernelILj128ELj64EfllDF16_DF16_fEEvT3_20rocsparse_direction_NS_24const_host_device_scalarIT1_EES1_PKS1_PKT2_SA_S7_PKT4_PKT5_S5_PT6_21rocsparse_index_base_b,comdat
.Lfunc_end104:
	.size	_ZN9rocsparseL18bsrxmvn_4x4_kernelILj128ELj64EfllDF16_DF16_fEEvT3_20rocsparse_direction_NS_24const_host_device_scalarIT1_EES1_PKS1_PKT2_SA_S7_PKT4_PKT5_S5_PT6_21rocsparse_index_base_b, .Lfunc_end104-_ZN9rocsparseL18bsrxmvn_4x4_kernelILj128ELj64EfllDF16_DF16_fEEvT3_20rocsparse_direction_NS_24const_host_device_scalarIT1_EES1_PKS1_PKT2_SA_S7_PKT4_PKT5_S5_PT6_21rocsparse_index_base_b
                                        ; -- End function
	.set _ZN9rocsparseL18bsrxmvn_4x4_kernelILj128ELj64EfllDF16_DF16_fEEvT3_20rocsparse_direction_NS_24const_host_device_scalarIT1_EES1_PKS1_PKT2_SA_S7_PKT4_PKT5_S5_PT6_21rocsparse_index_base_b.num_vgpr, 51
	.set _ZN9rocsparseL18bsrxmvn_4x4_kernelILj128ELj64EfllDF16_DF16_fEEvT3_20rocsparse_direction_NS_24const_host_device_scalarIT1_EES1_PKS1_PKT2_SA_S7_PKT4_PKT5_S5_PT6_21rocsparse_index_base_b.num_agpr, 0
	.set _ZN9rocsparseL18bsrxmvn_4x4_kernelILj128ELj64EfllDF16_DF16_fEEvT3_20rocsparse_direction_NS_24const_host_device_scalarIT1_EES1_PKS1_PKT2_SA_S7_PKT4_PKT5_S5_PT6_21rocsparse_index_base_b.numbered_sgpr, 22
	.set _ZN9rocsparseL18bsrxmvn_4x4_kernelILj128ELj64EfllDF16_DF16_fEEvT3_20rocsparse_direction_NS_24const_host_device_scalarIT1_EES1_PKS1_PKT2_SA_S7_PKT4_PKT5_S5_PT6_21rocsparse_index_base_b.num_named_barrier, 0
	.set _ZN9rocsparseL18bsrxmvn_4x4_kernelILj128ELj64EfllDF16_DF16_fEEvT3_20rocsparse_direction_NS_24const_host_device_scalarIT1_EES1_PKS1_PKT2_SA_S7_PKT4_PKT5_S5_PT6_21rocsparse_index_base_b.private_seg_size, 0
	.set _ZN9rocsparseL18bsrxmvn_4x4_kernelILj128ELj64EfllDF16_DF16_fEEvT3_20rocsparse_direction_NS_24const_host_device_scalarIT1_EES1_PKS1_PKT2_SA_S7_PKT4_PKT5_S5_PT6_21rocsparse_index_base_b.uses_vcc, 1
	.set _ZN9rocsparseL18bsrxmvn_4x4_kernelILj128ELj64EfllDF16_DF16_fEEvT3_20rocsparse_direction_NS_24const_host_device_scalarIT1_EES1_PKS1_PKT2_SA_S7_PKT4_PKT5_S5_PT6_21rocsparse_index_base_b.uses_flat_scratch, 0
	.set _ZN9rocsparseL18bsrxmvn_4x4_kernelILj128ELj64EfllDF16_DF16_fEEvT3_20rocsparse_direction_NS_24const_host_device_scalarIT1_EES1_PKS1_PKT2_SA_S7_PKT4_PKT5_S5_PT6_21rocsparse_index_base_b.has_dyn_sized_stack, 0
	.set _ZN9rocsparseL18bsrxmvn_4x4_kernelILj128ELj64EfllDF16_DF16_fEEvT3_20rocsparse_direction_NS_24const_host_device_scalarIT1_EES1_PKS1_PKT2_SA_S7_PKT4_PKT5_S5_PT6_21rocsparse_index_base_b.has_recursion, 0
	.set _ZN9rocsparseL18bsrxmvn_4x4_kernelILj128ELj64EfllDF16_DF16_fEEvT3_20rocsparse_direction_NS_24const_host_device_scalarIT1_EES1_PKS1_PKT2_SA_S7_PKT4_PKT5_S5_PT6_21rocsparse_index_base_b.has_indirect_call, 0
	.section	.AMDGPU.csdata,"",@progbits
; Kernel info:
; codeLenInByte = 3728
; TotalNumSgprs: 26
; NumVgprs: 51
; ScratchSize: 0
; MemoryBound: 0
; FloatMode: 240
; IeeeMode: 1
; LDSByteSize: 0 bytes/workgroup (compile time only)
; SGPRBlocks: 3
; VGPRBlocks: 12
; NumSGPRsForWavesPerEU: 26
; NumVGPRsForWavesPerEU: 51
; Occupancy: 4
; WaveLimiterHint : 1
; COMPUTE_PGM_RSRC2:SCRATCH_EN: 0
; COMPUTE_PGM_RSRC2:USER_SGPR: 6
; COMPUTE_PGM_RSRC2:TRAP_HANDLER: 0
; COMPUTE_PGM_RSRC2:TGID_X_EN: 1
; COMPUTE_PGM_RSRC2:TGID_Y_EN: 0
; COMPUTE_PGM_RSRC2:TGID_Z_EN: 0
; COMPUTE_PGM_RSRC2:TIDIG_COMP_CNT: 0
	.section	.text._ZN9rocsparseL18bsrxmvn_4x4_kernelILj128ELj4Efii18rocsparse_bfloat16S1_fEEvT3_20rocsparse_direction_NS_24const_host_device_scalarIT1_EES2_PKS2_PKT2_SB_S8_PKT4_PKT5_S6_PT6_21rocsparse_index_base_b,"axG",@progbits,_ZN9rocsparseL18bsrxmvn_4x4_kernelILj128ELj4Efii18rocsparse_bfloat16S1_fEEvT3_20rocsparse_direction_NS_24const_host_device_scalarIT1_EES2_PKS2_PKT2_SB_S8_PKT4_PKT5_S6_PT6_21rocsparse_index_base_b,comdat
	.globl	_ZN9rocsparseL18bsrxmvn_4x4_kernelILj128ELj4Efii18rocsparse_bfloat16S1_fEEvT3_20rocsparse_direction_NS_24const_host_device_scalarIT1_EES2_PKS2_PKT2_SB_S8_PKT4_PKT5_S6_PT6_21rocsparse_index_base_b ; -- Begin function _ZN9rocsparseL18bsrxmvn_4x4_kernelILj128ELj4Efii18rocsparse_bfloat16S1_fEEvT3_20rocsparse_direction_NS_24const_host_device_scalarIT1_EES2_PKS2_PKT2_SB_S8_PKT4_PKT5_S6_PT6_21rocsparse_index_base_b
	.p2align	8
	.type	_ZN9rocsparseL18bsrxmvn_4x4_kernelILj128ELj4Efii18rocsparse_bfloat16S1_fEEvT3_20rocsparse_direction_NS_24const_host_device_scalarIT1_EES2_PKS2_PKT2_SB_S8_PKT4_PKT5_S6_PT6_21rocsparse_index_base_b,@function
_ZN9rocsparseL18bsrxmvn_4x4_kernelILj128ELj4Efii18rocsparse_bfloat16S1_fEEvT3_20rocsparse_direction_NS_24const_host_device_scalarIT1_EES2_PKS2_PKT2_SB_S8_PKT4_PKT5_S6_PT6_21rocsparse_index_base_b: ; @_ZN9rocsparseL18bsrxmvn_4x4_kernelILj128ELj4Efii18rocsparse_bfloat16S1_fEEvT3_20rocsparse_direction_NS_24const_host_device_scalarIT1_EES2_PKS2_PKT2_SB_S8_PKT4_PKT5_S6_PT6_21rocsparse_index_base_b
; %bb.0:
	s_load_dwordx2 s[20:21], s[4:5], 0x58
	s_load_dwordx2 s[18:19], s[4:5], 0x8
	;; [unrolled: 1-line block ×3, first 2 shown]
	s_waitcnt lgkmcnt(0)
	s_bitcmp1_b32 s21, 0
	s_cselect_b64 s[2:3], -1, 0
	s_xor_b64 s[0:1], s[2:3], -1
	s_and_b64 vcc, exec, s[2:3]
	s_cbranch_vccnz .LBB105_2
; %bb.1:
	s_load_dword s18, s[18:19], 0x0
.LBB105_2:
	s_andn2_b64 vcc, exec, s[0:1]
	s_cbranch_vccnz .LBB105_4
; %bb.3:
	s_load_dword s16, s[16:17], 0x0
.LBB105_4:
	s_waitcnt lgkmcnt(0)
	v_cmp_neq_f32_e64 s[0:1], s18, 0
	v_cmp_neq_f32_e64 s[2:3], s16, 1.0
	s_or_b64 s[0:1], s[0:1], s[2:3]
	s_andn2_b64 vcc, exec, s[0:1]
	s_cbranch_vccnz .LBB105_10
; %bb.5:
	s_load_dwordx2 s[8:9], s[4:5], 0x18
	s_load_dwordx2 s[0:1], s[4:5], 0x0
	v_lshrrev_b32_e32 v1, 2, v0
	v_lshl_or_b32 v4, s6, 5, v1
	s_mov_b64 s[2:3], 0
	s_waitcnt lgkmcnt(0)
	s_cmp_lg_u64 s[8:9], 0
	s_cbranch_scc0 .LBB105_11
; %bb.6:
	s_load_dword s6, s[4:5], 0x10
                                        ; implicit-def: $vgpr1
	s_waitcnt lgkmcnt(0)
	v_cmp_gt_i32_e32 vcc, s6, v4
	s_and_saveexec_b64 s[6:7], vcc
	s_xor_b64 s[6:7], exec, s[6:7]
	s_cbranch_execz .LBB105_8
; %bb.7:
	v_ashrrev_i32_e32 v5, 31, v4
	v_lshlrev_b64 v[1:2], 2, v[4:5]
	v_mov_b32_e32 v3, s9
	v_add_co_u32_e32 v1, vcc, s8, v1
	v_addc_co_u32_e32 v2, vcc, v3, v2, vcc
	global_load_dword v1, v[1:2], off
	s_mov_b64 s[2:3], exec
	s_waitcnt vmcnt(0)
	v_subrev_u32_e32 v1, s20, v1
.LBB105_8:
	s_or_b64 exec, exec, s[6:7]
	s_branch .LBB105_12
.LBB105_9:
	v_cmp_gt_i32_e32 vcc, s0, v4
	s_andn2_b64 s[2:3], s[2:3], exec
	s_and_b64 s[6:7], vcc, exec
	s_or_b64 s[2:3], s[2:3], s[6:7]
	s_and_saveexec_b64 s[6:7], s[2:3]
	s_cbranch_execnz .LBB105_13
.LBB105_10:
	s_endpgm
.LBB105_11:
                                        ; implicit-def: $vgpr1
	s_cbranch_execnz .LBB105_9
.LBB105_12:
	v_mov_b32_e32 v4, v1
	s_and_saveexec_b64 s[6:7], s[2:3]
	s_cbranch_execz .LBB105_10
.LBB105_13:
	s_load_dwordx8 s[8:15], s[4:5], 0x20
	v_ashrrev_i32_e32 v5, 31, v4
	v_lshlrev_b64 v[1:2], 2, v[4:5]
	v_and_b32_e32 v11, 3, v0
	s_load_dwordx2 s[6:7], s[4:5], 0x40
	s_waitcnt lgkmcnt(0)
	v_mov_b32_e32 v3, s9
	v_add_co_u32_e32 v5, vcc, s8, v1
	v_addc_co_u32_e32 v6, vcc, v3, v2, vcc
	v_add_co_u32_e32 v3, vcc, 4, v5
	global_load_dword v17, v[5:6], off
	v_addc_co_u32_e32 v5, vcc, 0, v6, vcc
	v_mov_b32_e32 v6, s11
	v_add_co_u32_e32 v1, vcc, s10, v1
	s_cmp_eq_u64 s[10:11], 0
	v_addc_co_u32_e32 v2, vcc, v6, v2, vcc
	s_cselect_b64 vcc, -1, 0
	v_cndmask_b32_e32 v2, v2, v5, vcc
	v_cndmask_b32_e32 v1, v1, v3, vcc
	global_load_dword v1, v[1:2], off
	v_mov_b32_e32 v5, s15
	s_cmp_eq_u32 s1, 1
	s_waitcnt vmcnt(1)
	v_subrev_u32_e32 v0, s20, v17
	v_add_u32_e32 v0, v0, v11
	s_waitcnt vmcnt(0)
	v_subrev_u32_e32 v12, s20, v1
	v_ashrrev_i32_e32 v1, 31, v0
	v_lshlrev_b64 v[2:3], 5, v[0:1]
	v_cmp_lt_i32_e64 s[0:1], v0, v12
	v_add_co_u32_e32 v2, vcc, s14, v2
	v_addc_co_u32_e32 v3, vcc, v5, v3, vcc
	s_cbranch_scc1 .LBB105_25
; %bb.14:
	v_mov_b32_e32 v13, 0
	v_mov_b32_e32 v14, 0
	;; [unrolled: 1-line block ×4, first 2 shown]
	s_and_saveexec_b64 s[8:9], s[0:1]
	s_cbranch_execz .LBB105_24
; %bb.15:
	v_add_u32_e32 v1, v17, v11
	v_subrev_u32_e32 v1, s20, v1
	v_add_u32_e32 v1, 4, v1
	v_max_i32_e32 v1, v1, v12
	v_not_b32_e32 v5, v17
	v_add3_u32 v1, s20, v1, v5
	v_sub_u32_e32 v1, v1, v11
	v_and_b32_e32 v5, 12, v1
	v_mov_b32_e32 v8, v3
	v_cmp_ne_u32_e32 vcc, 12, v5
	v_mov_b32_e32 v15, 0
	v_mov_b32_e32 v16, 0
	;; [unrolled: 1-line block ×6, first 2 shown]
	s_and_saveexec_b64 s[10:11], vcc
	s_cbranch_execz .LBB105_19
; %bb.16:
	v_lshrrev_b32_e32 v5, 2, v1
	v_add_u32_e32 v5, 1, v5
	v_and_b32_e32 v5, 3, v5
	v_mov_b32_e32 v8, v3
	v_sub_u32_e32 v9, 0, v5
	v_mov_b32_e32 v13, 0
	s_mov_b64 s[14:15], 0
	v_mov_b32_e32 v10, s13
	v_mov_b32_e32 v18, s7
	;; [unrolled: 1-line block ×7, first 2 shown]
.LBB105_17:                             ; =>This Inner Loop Header: Depth=1
	v_ashrrev_i32_e32 v6, 31, v5
	v_lshlrev_b64 v[19:20], 2, v[5:6]
	v_add_co_u32_e64 v9, s[2:3], 1, v9
	v_add_co_u32_e32 v27, vcc, s12, v19
	v_addc_co_u32_e32 v28, vcc, v10, v20, vcc
	global_load_dword v6, v[27:28], off
	global_load_dwordx4 v[19:22], v[7:8], off
	global_load_dwordx4 v[23:26], v[7:8], off offset:16
	v_add_u32_e32 v5, 4, v5
	s_or_b64 s[14:15], s[2:3], s[14:15]
	s_waitcnt vmcnt(2)
	v_subrev_u32_e32 v6, s20, v6
	v_lshlrev_b32_e32 v27, 2, v6
	v_ashrrev_i32_e32 v28, 31, v27
	v_lshlrev_b64 v[27:28], 1, v[27:28]
	s_waitcnt vmcnt(1)
	v_lshlrev_b32_e32 v6, 16, v19
	v_add_co_u32_e32 v27, vcc, s6, v27
	v_addc_co_u32_e32 v28, vcc, v18, v28, vcc
	global_load_dwordx2 v[27:28], v[27:28], off
	v_lshlrev_b32_e32 v30, 16, v21
	s_waitcnt vmcnt(1)
	v_lshlrev_b32_e32 v32, 16, v23
	v_lshlrev_b32_e32 v34, 16, v25
	v_and_b32_e32 v19, 0xffff0000, v19
	v_and_b32_e32 v21, 0xffff0000, v21
	;; [unrolled: 1-line block ×4, first 2 shown]
	v_lshlrev_b32_e32 v29, 16, v20
	v_lshlrev_b32_e32 v31, 16, v22
	;; [unrolled: 1-line block ×4, first 2 shown]
	v_add_co_u32_e32 v7, vcc, 0x80, v7
	v_and_b32_e32 v20, 0xffff0000, v20
	v_and_b32_e32 v22, 0xffff0000, v22
	;; [unrolled: 1-line block ×4, first 2 shown]
	v_addc_co_u32_e32 v8, vcc, 0, v8, vcc
	s_waitcnt vmcnt(0)
	v_lshlrev_b32_e32 v36, 16, v27
	v_and_b32_e32 v27, 0xffff0000, v27
	v_fmac_f32_e32 v15, v6, v36
	v_fmac_f32_e32 v16, v30, v36
	;; [unrolled: 1-line block ×4, first 2 shown]
	v_lshlrev_b32_e32 v37, 16, v28
	v_fmac_f32_e32 v15, v19, v27
	v_fmac_f32_e32 v16, v21, v27
	;; [unrolled: 1-line block ×4, first 2 shown]
	v_and_b32_e32 v28, 0xffff0000, v28
	v_fmac_f32_e32 v15, v29, v37
	v_fmac_f32_e32 v16, v31, v37
	;; [unrolled: 1-line block ×8, first 2 shown]
	s_andn2_b64 exec, exec, s[14:15]
	s_cbranch_execnz .LBB105_17
; %bb.18:
	s_or_b64 exec, exec, s[14:15]
.LBB105_19:
	s_or_b64 exec, exec, s[10:11]
	v_cmp_lt_u32_e32 vcc, 11, v1
	s_and_saveexec_b64 s[2:3], vcc
	s_cbranch_execz .LBB105_23
; %bb.20:
	s_mov_b64 s[10:11], 0
	v_mov_b32_e32 v1, s13
	v_mov_b32_e32 v18, s7
.LBB105_21:                             ; =>This Inner Loop Header: Depth=1
	v_ashrrev_i32_e32 v6, 31, v5
	v_lshlrev_b64 v[9:10], 2, v[5:6]
	global_load_dwordx4 v[19:22], v[7:8], off
	v_add_co_u32_e32 v9, vcc, s12, v9
	v_addc_co_u32_e32 v10, vcc, v1, v10, vcc
	global_load_dword v6, v[9:10], off
	v_add_u32_e32 v5, 16, v5
	s_waitcnt vmcnt(0)
	v_subrev_u32_e32 v6, s20, v6
	v_lshlrev_b32_e32 v23, 2, v6
	v_ashrrev_i32_e32 v24, 31, v23
	v_lshlrev_b64 v[23:24], 1, v[23:24]
	v_lshlrev_b32_e32 v6, 16, v19
	v_add_co_u32_e32 v23, vcc, s6, v23
	v_addc_co_u32_e32 v24, vcc, v18, v24, vcc
	global_load_dwordx2 v[23:24], v[23:24], off
	s_waitcnt vmcnt(0)
	v_lshlrev_b32_e32 v25, 16, v23
	v_fmac_f32_e32 v15, v6, v25
	v_and_b32_e32 v6, 0xffff0000, v19
	v_and_b32_e32 v23, 0xffff0000, v23
	v_fmac_f32_e32 v15, v6, v23
	v_lshlrev_b32_e32 v6, 16, v20
	v_lshlrev_b32_e32 v26, 16, v24
	v_fmac_f32_e32 v15, v6, v26
	v_and_b32_e32 v6, 0xffff0000, v20
	v_and_b32_e32 v24, 0xffff0000, v24
	v_fmac_f32_e32 v15, v6, v24
	v_lshlrev_b32_e32 v6, 16, v21
	v_fmac_f32_e32 v16, v6, v25
	v_and_b32_e32 v6, 0xffff0000, v21
	v_fmac_f32_e32 v16, v6, v23
	v_lshlrev_b32_e32 v6, 16, v22
	v_fmac_f32_e32 v16, v6, v26
	v_and_b32_e32 v6, 0xffff0000, v22
	global_load_dwordx4 v[19:22], v[7:8], off offset:16
	v_fmac_f32_e32 v16, v6, v24
	s_waitcnt vmcnt(0)
	v_lshlrev_b32_e32 v6, 16, v19
	v_fmac_f32_e32 v14, v6, v25
	v_and_b32_e32 v6, 0xffff0000, v19
	v_fmac_f32_e32 v14, v6, v23
	v_lshlrev_b32_e32 v6, 16, v20
	v_fmac_f32_e32 v14, v6, v26
	v_and_b32_e32 v6, 0xffff0000, v20
	v_fmac_f32_e32 v14, v6, v24
	v_lshlrev_b32_e32 v6, 16, v21
	v_fmac_f32_e32 v13, v6, v25
	v_and_b32_e32 v6, 0xffff0000, v21
	v_fmac_f32_e32 v13, v6, v23
	v_lshlrev_b32_e32 v6, 16, v22
	v_fmac_f32_e32 v13, v6, v26
	v_and_b32_e32 v6, 0xffff0000, v22
	v_fmac_f32_e32 v13, v6, v24
	global_load_dword v6, v[9:10], off offset:16
	global_load_dwordx4 v[19:22], v[7:8], off offset:128
	s_waitcnt vmcnt(1)
	v_subrev_u32_e32 v6, s20, v6
	v_lshlrev_b32_e32 v23, 2, v6
	v_ashrrev_i32_e32 v24, 31, v23
	v_lshlrev_b64 v[23:24], 1, v[23:24]
	s_waitcnt vmcnt(0)
	v_lshlrev_b32_e32 v6, 16, v19
	v_add_co_u32_e32 v23, vcc, s6, v23
	v_addc_co_u32_e32 v24, vcc, v18, v24, vcc
	global_load_dwordx2 v[23:24], v[23:24], off
	s_waitcnt vmcnt(0)
	v_lshlrev_b32_e32 v25, 16, v23
	v_fmac_f32_e32 v15, v6, v25
	v_and_b32_e32 v6, 0xffff0000, v19
	v_and_b32_e32 v23, 0xffff0000, v23
	v_fmac_f32_e32 v15, v6, v23
	v_lshlrev_b32_e32 v6, 16, v20
	v_lshlrev_b32_e32 v26, 16, v24
	v_fmac_f32_e32 v15, v6, v26
	v_and_b32_e32 v6, 0xffff0000, v20
	v_and_b32_e32 v24, 0xffff0000, v24
	v_fmac_f32_e32 v15, v6, v24
	v_lshlrev_b32_e32 v6, 16, v21
	v_fmac_f32_e32 v16, v6, v25
	v_and_b32_e32 v6, 0xffff0000, v21
	v_fmac_f32_e32 v16, v6, v23
	v_lshlrev_b32_e32 v6, 16, v22
	v_fmac_f32_e32 v16, v6, v26
	v_and_b32_e32 v6, 0xffff0000, v22
	global_load_dwordx4 v[19:22], v[7:8], off offset:144
	v_fmac_f32_e32 v16, v6, v24
	s_waitcnt vmcnt(0)
	v_lshlrev_b32_e32 v6, 16, v19
	v_fmac_f32_e32 v14, v6, v25
	v_and_b32_e32 v6, 0xffff0000, v19
	v_fmac_f32_e32 v14, v6, v23
	v_lshlrev_b32_e32 v6, 16, v20
	v_fmac_f32_e32 v14, v6, v26
	v_and_b32_e32 v6, 0xffff0000, v20
	v_fmac_f32_e32 v14, v6, v24
	v_lshlrev_b32_e32 v6, 16, v21
	v_fmac_f32_e32 v13, v6, v25
	v_and_b32_e32 v6, 0xffff0000, v21
	v_fmac_f32_e32 v13, v6, v23
	v_lshlrev_b32_e32 v6, 16, v22
	v_fmac_f32_e32 v13, v6, v26
	v_and_b32_e32 v6, 0xffff0000, v22
	v_fmac_f32_e32 v13, v6, v24
	global_load_dword v6, v[9:10], off offset:32
	global_load_dwordx4 v[19:22], v[7:8], off offset:256
	s_waitcnt vmcnt(1)
	v_subrev_u32_e32 v6, s20, v6
	v_lshlrev_b32_e32 v23, 2, v6
	v_ashrrev_i32_e32 v24, 31, v23
	v_lshlrev_b64 v[23:24], 1, v[23:24]
	s_waitcnt vmcnt(0)
	;; [unrolled: 50-line block ×3, first 2 shown]
	v_lshlrev_b32_e32 v6, 16, v19
	v_add_co_u32_e32 v9, vcc, s6, v9
	v_addc_co_u32_e32 v10, vcc, v18, v10, vcc
	global_load_dwordx2 v[9:10], v[9:10], off
	s_waitcnt vmcnt(0)
	v_lshlrev_b32_e32 v23, 16, v9
	v_fmac_f32_e32 v15, v6, v23
	v_and_b32_e32 v6, 0xffff0000, v19
	v_and_b32_e32 v9, 0xffff0000, v9
	v_fmac_f32_e32 v15, v6, v9
	v_lshlrev_b32_e32 v6, 16, v20
	v_lshlrev_b32_e32 v24, 16, v10
	v_fmac_f32_e32 v15, v6, v24
	v_and_b32_e32 v6, 0xffff0000, v20
	v_and_b32_e32 v10, 0xffff0000, v10
	v_fmac_f32_e32 v15, v6, v10
	v_lshlrev_b32_e32 v6, 16, v21
	v_fmac_f32_e32 v16, v6, v23
	v_and_b32_e32 v6, 0xffff0000, v21
	v_fmac_f32_e32 v16, v6, v9
	v_lshlrev_b32_e32 v6, 16, v22
	v_fmac_f32_e32 v16, v6, v24
	v_and_b32_e32 v6, 0xffff0000, v22
	global_load_dwordx4 v[19:22], v[7:8], off offset:400
	v_fmac_f32_e32 v16, v6, v10
	v_add_co_u32_e32 v7, vcc, 0x200, v7
	v_addc_co_u32_e32 v8, vcc, 0, v8, vcc
	v_cmp_ge_i32_e32 vcc, v5, v12
	s_or_b64 s[10:11], vcc, s[10:11]
	s_waitcnt vmcnt(0)
	v_lshlrev_b32_e32 v6, 16, v19
	v_fmac_f32_e32 v14, v6, v23
	v_and_b32_e32 v6, 0xffff0000, v19
	v_fmac_f32_e32 v14, v6, v9
	v_lshlrev_b32_e32 v6, 16, v20
	v_fmac_f32_e32 v14, v6, v24
	v_and_b32_e32 v6, 0xffff0000, v20
	v_fmac_f32_e32 v14, v6, v10
	;; [unrolled: 4-line block ×4, first 2 shown]
	s_andn2_b64 exec, exec, s[10:11]
	s_cbranch_execnz .LBB105_21
; %bb.22:
	s_or_b64 exec, exec, s[10:11]
.LBB105_23:
	s_or_b64 exec, exec, s[2:3]
.LBB105_24:
	s_or_b64 exec, exec, s[8:9]
	s_cbranch_execz .LBB105_26
	s_branch .LBB105_37
.LBB105_25:
                                        ; implicit-def: $vgpr13
                                        ; implicit-def: $vgpr14
                                        ; implicit-def: $vgpr16
                                        ; implicit-def: $vgpr15
.LBB105_26:
	v_mov_b32_e32 v13, 0
	v_mov_b32_e32 v14, 0
	;; [unrolled: 1-line block ×4, first 2 shown]
	s_and_saveexec_b64 s[2:3], s[0:1]
	s_cbranch_execz .LBB105_36
; %bb.27:
	v_add_u32_e32 v1, v17, v11
	v_subrev_u32_e32 v1, s20, v1
	v_add_u32_e32 v1, 4, v1
	v_max_i32_e32 v1, v1, v12
	v_not_b32_e32 v5, v17
	v_add3_u32 v1, s20, v1, v5
	v_sub_u32_e32 v5, v1, v11
	v_and_b32_e32 v1, 12, v5
	v_cmp_ne_u32_e32 vcc, 12, v1
	v_mov_b32_e32 v15, 0
	v_mov_b32_e32 v16, 0
	;; [unrolled: 1-line block ×4, first 2 shown]
	s_and_saveexec_b64 s[8:9], vcc
	s_cbranch_execz .LBB105_31
; %bb.28:
	v_lshrrev_b32_e32 v1, 2, v5
	v_add_u32_e32 v1, 1, v1
	v_and_b32_e32 v1, 3, v1
	v_sub_u32_e32 v6, 0, v1
	v_mov_b32_e32 v13, 0
	s_mov_b64 s[10:11], 0
	v_mov_b32_e32 v7, s13
	v_mov_b32_e32 v8, s7
	;; [unrolled: 1-line block ×5, first 2 shown]
.LBB105_29:                             ; =>This Inner Loop Header: Depth=1
	v_ashrrev_i32_e32 v1, 31, v0
	v_lshlrev_b64 v[9:10], 2, v[0:1]
	v_add_co_u32_e64 v6, s[0:1], 1, v6
	v_add_co_u32_e32 v9, vcc, s12, v9
	v_addc_co_u32_e32 v10, vcc, v7, v10, vcc
	global_load_dword v1, v[9:10], off
	global_load_dwordx4 v[17:20], v[2:3], off
	v_add_u32_e32 v0, 4, v0
	s_or_b64 s[10:11], s[0:1], s[10:11]
	s_waitcnt vmcnt(1)
	v_subrev_u32_e32 v1, s20, v1
	v_lshlrev_b32_e32 v9, 2, v1
	v_ashrrev_i32_e32 v10, 31, v9
	v_lshlrev_b64 v[9:10], 1, v[9:10]
	s_waitcnt vmcnt(0)
	v_lshlrev_b32_e32 v1, 16, v17
	v_add_co_u32_e32 v9, vcc, s6, v9
	v_addc_co_u32_e32 v10, vcc, v8, v10, vcc
	global_load_dwordx2 v[25:26], v[9:10], off
	global_load_dwordx4 v[21:24], v[2:3], off offset:16
	v_and_b32_e32 v9, 0xffff0000, v17
	v_lshlrev_b32_e32 v10, 16, v18
	v_and_b32_e32 v17, 0xffff0000, v18
	v_lshlrev_b32_e32 v18, 16, v19
	;; [unrolled: 2-line block ×3, first 2 shown]
	v_and_b32_e32 v20, 0xffff0000, v20
	v_add_co_u32_e32 v2, vcc, 0x80, v2
	v_addc_co_u32_e32 v3, vcc, 0, v3, vcc
	s_waitcnt vmcnt(1)
	v_lshlrev_b32_e32 v32, 16, v25
	v_and_b32_e32 v25, 0xffff0000, v25
	v_fmac_f32_e32 v15, v1, v32
	v_fmac_f32_e32 v16, v9, v32
	;; [unrolled: 1-line block ×4, first 2 shown]
	s_waitcnt vmcnt(0)
	v_lshlrev_b32_e32 v28, 16, v21
	v_and_b32_e32 v21, 0xffff0000, v21
	v_lshlrev_b32_e32 v29, 16, v22
	v_and_b32_e32 v22, 0xffff0000, v22
	v_lshlrev_b32_e32 v33, 16, v26
	v_fmac_f32_e32 v15, v18, v25
	v_fmac_f32_e32 v16, v19, v25
	;; [unrolled: 1-line block ×4, first 2 shown]
	v_lshlrev_b32_e32 v30, 16, v23
	v_and_b32_e32 v23, 0xffff0000, v23
	v_lshlrev_b32_e32 v31, 16, v24
	v_and_b32_e32 v24, 0xffff0000, v24
	v_and_b32_e32 v26, 0xffff0000, v26
	v_fmac_f32_e32 v15, v28, v33
	v_fmac_f32_e32 v16, v21, v33
	;; [unrolled: 1-line block ×8, first 2 shown]
	s_andn2_b64 exec, exec, s[10:11]
	s_cbranch_execnz .LBB105_29
; %bb.30:
	s_or_b64 exec, exec, s[10:11]
.LBB105_31:
	s_or_b64 exec, exec, s[8:9]
	v_cmp_lt_u32_e32 vcc, 11, v5
	s_and_saveexec_b64 s[0:1], vcc
	s_cbranch_execz .LBB105_35
; %bb.32:
	s_mov_b64 s[8:9], 0
	v_mov_b32_e32 v7, s13
	v_mov_b32_e32 v8, s7
.LBB105_33:                             ; =>This Inner Loop Header: Depth=1
	v_ashrrev_i32_e32 v1, 31, v0
	v_lshlrev_b64 v[5:6], 2, v[0:1]
	global_load_dwordx4 v[17:20], v[2:3], off
	v_add_co_u32_e32 v5, vcc, s12, v5
	v_addc_co_u32_e32 v6, vcc, v7, v6, vcc
	global_load_dword v1, v[5:6], off
	v_add_u32_e32 v0, 16, v0
	s_waitcnt vmcnt(0)
	v_subrev_u32_e32 v1, s20, v1
	v_lshlrev_b32_e32 v9, 2, v1
	v_ashrrev_i32_e32 v10, 31, v9
	v_lshlrev_b64 v[9:10], 1, v[9:10]
	v_lshlrev_b32_e32 v1, 16, v17
	v_add_co_u32_e32 v9, vcc, s6, v9
	v_addc_co_u32_e32 v10, vcc, v8, v10, vcc
	global_load_dwordx2 v[9:10], v[9:10], off
	s_waitcnt vmcnt(0)
	v_lshlrev_b32_e32 v21, 16, v9
	v_fmac_f32_e32 v15, v1, v21
	v_and_b32_e32 v1, 0xffff0000, v17
	v_fmac_f32_e32 v16, v1, v21
	v_lshlrev_b32_e32 v1, 16, v18
	v_fmac_f32_e32 v14, v1, v21
	v_and_b32_e32 v1, 0xffff0000, v18
	v_fmac_f32_e32 v13, v1, v21
	v_lshlrev_b32_e32 v1, 16, v19
	v_and_b32_e32 v9, 0xffff0000, v9
	v_fmac_f32_e32 v15, v1, v9
	v_and_b32_e32 v1, 0xffff0000, v19
	v_fmac_f32_e32 v16, v1, v9
	v_lshlrev_b32_e32 v1, 16, v20
	v_fmac_f32_e32 v14, v1, v9
	v_and_b32_e32 v1, 0xffff0000, v20
	global_load_dwordx4 v[17:20], v[2:3], off offset:16
	v_fmac_f32_e32 v13, v1, v9
	v_lshlrev_b32_e32 v9, 16, v10
	s_waitcnt vmcnt(0)
	v_lshlrev_b32_e32 v1, 16, v17
	v_fmac_f32_e32 v15, v1, v9
	v_and_b32_e32 v1, 0xffff0000, v17
	v_fmac_f32_e32 v16, v1, v9
	v_lshlrev_b32_e32 v1, 16, v18
	v_fmac_f32_e32 v14, v1, v9
	v_and_b32_e32 v1, 0xffff0000, v18
	v_fmac_f32_e32 v13, v1, v9
	v_lshlrev_b32_e32 v1, 16, v19
	v_and_b32_e32 v9, 0xffff0000, v10
	v_fmac_f32_e32 v15, v1, v9
	v_and_b32_e32 v1, 0xffff0000, v19
	v_fmac_f32_e32 v16, v1, v9
	v_lshlrev_b32_e32 v1, 16, v20
	v_fmac_f32_e32 v14, v1, v9
	v_and_b32_e32 v1, 0xffff0000, v20
	v_fmac_f32_e32 v13, v1, v9
	global_load_dword v1, v[5:6], off offset:16
	global_load_dwordx4 v[17:20], v[2:3], off offset:128
	s_waitcnt vmcnt(1)
	v_subrev_u32_e32 v1, s20, v1
	v_lshlrev_b32_e32 v9, 2, v1
	v_ashrrev_i32_e32 v10, 31, v9
	v_lshlrev_b64 v[9:10], 1, v[9:10]
	s_waitcnt vmcnt(0)
	v_lshlrev_b32_e32 v1, 16, v17
	v_add_co_u32_e32 v9, vcc, s6, v9
	v_addc_co_u32_e32 v10, vcc, v8, v10, vcc
	global_load_dwordx2 v[9:10], v[9:10], off
	s_waitcnt vmcnt(0)
	v_lshlrev_b32_e32 v21, 16, v9
	v_fmac_f32_e32 v15, v1, v21
	v_and_b32_e32 v1, 0xffff0000, v17
	v_fmac_f32_e32 v16, v1, v21
	v_lshlrev_b32_e32 v1, 16, v18
	v_fmac_f32_e32 v14, v1, v21
	v_and_b32_e32 v1, 0xffff0000, v18
	v_fmac_f32_e32 v13, v1, v21
	v_lshlrev_b32_e32 v1, 16, v19
	v_and_b32_e32 v9, 0xffff0000, v9
	v_fmac_f32_e32 v15, v1, v9
	v_and_b32_e32 v1, 0xffff0000, v19
	v_fmac_f32_e32 v16, v1, v9
	v_lshlrev_b32_e32 v1, 16, v20
	v_fmac_f32_e32 v14, v1, v9
	v_and_b32_e32 v1, 0xffff0000, v20
	global_load_dwordx4 v[17:20], v[2:3], off offset:144
	v_fmac_f32_e32 v13, v1, v9
	v_lshlrev_b32_e32 v9, 16, v10
	s_waitcnt vmcnt(0)
	v_lshlrev_b32_e32 v1, 16, v17
	v_fmac_f32_e32 v15, v1, v9
	v_and_b32_e32 v1, 0xffff0000, v17
	v_fmac_f32_e32 v16, v1, v9
	v_lshlrev_b32_e32 v1, 16, v18
	v_fmac_f32_e32 v14, v1, v9
	v_and_b32_e32 v1, 0xffff0000, v18
	v_fmac_f32_e32 v13, v1, v9
	v_lshlrev_b32_e32 v1, 16, v19
	v_and_b32_e32 v9, 0xffff0000, v10
	v_fmac_f32_e32 v15, v1, v9
	v_and_b32_e32 v1, 0xffff0000, v19
	v_fmac_f32_e32 v16, v1, v9
	v_lshlrev_b32_e32 v1, 16, v20
	v_fmac_f32_e32 v14, v1, v9
	v_and_b32_e32 v1, 0xffff0000, v20
	v_fmac_f32_e32 v13, v1, v9
	global_load_dword v1, v[5:6], off offset:32
	global_load_dwordx4 v[17:20], v[2:3], off offset:256
	s_waitcnt vmcnt(1)
	v_subrev_u32_e32 v1, s20, v1
	v_lshlrev_b32_e32 v9, 2, v1
	v_ashrrev_i32_e32 v10, 31, v9
	v_lshlrev_b64 v[9:10], 1, v[9:10]
	s_waitcnt vmcnt(0)
	;; [unrolled: 50-line block ×3, first 2 shown]
	v_lshlrev_b32_e32 v1, 16, v17
	v_add_co_u32_e32 v5, vcc, s6, v5
	v_addc_co_u32_e32 v6, vcc, v8, v6, vcc
	global_load_dwordx2 v[5:6], v[5:6], off
	s_waitcnt vmcnt(0)
	v_lshlrev_b32_e32 v9, 16, v5
	v_fmac_f32_e32 v15, v1, v9
	v_and_b32_e32 v1, 0xffff0000, v17
	v_fmac_f32_e32 v16, v1, v9
	v_lshlrev_b32_e32 v1, 16, v18
	v_fmac_f32_e32 v14, v1, v9
	v_and_b32_e32 v1, 0xffff0000, v18
	v_fmac_f32_e32 v13, v1, v9
	v_lshlrev_b32_e32 v1, 16, v19
	v_and_b32_e32 v5, 0xffff0000, v5
	v_fmac_f32_e32 v15, v1, v5
	v_and_b32_e32 v1, 0xffff0000, v19
	v_fmac_f32_e32 v16, v1, v5
	v_lshlrev_b32_e32 v1, 16, v20
	v_fmac_f32_e32 v14, v1, v5
	v_and_b32_e32 v1, 0xffff0000, v20
	global_load_dwordx4 v[17:20], v[2:3], off offset:400
	v_fmac_f32_e32 v13, v1, v5
	v_lshlrev_b32_e32 v5, 16, v6
	v_add_co_u32_e32 v2, vcc, 0x200, v2
	v_addc_co_u32_e32 v3, vcc, 0, v3, vcc
	v_cmp_ge_i32_e32 vcc, v0, v12
	s_or_b64 s[8:9], vcc, s[8:9]
	s_waitcnt vmcnt(0)
	v_lshlrev_b32_e32 v1, 16, v17
	v_fmac_f32_e32 v15, v1, v5
	v_and_b32_e32 v1, 0xffff0000, v17
	v_fmac_f32_e32 v16, v1, v5
	v_lshlrev_b32_e32 v1, 16, v18
	v_fmac_f32_e32 v14, v1, v5
	v_and_b32_e32 v1, 0xffff0000, v18
	v_fmac_f32_e32 v13, v1, v5
	v_lshlrev_b32_e32 v1, 16, v19
	v_and_b32_e32 v5, 0xffff0000, v6
	v_fmac_f32_e32 v15, v1, v5
	v_and_b32_e32 v1, 0xffff0000, v19
	v_fmac_f32_e32 v16, v1, v5
	v_lshlrev_b32_e32 v1, 16, v20
	v_fmac_f32_e32 v14, v1, v5
	v_and_b32_e32 v1, 0xffff0000, v20
	v_fmac_f32_e32 v13, v1, v5
	s_andn2_b64 exec, exec, s[8:9]
	s_cbranch_execnz .LBB105_33
; %bb.34:
	s_or_b64 exec, exec, s[8:9]
.LBB105_35:
	s_or_b64 exec, exec, s[0:1]
.LBB105_36:
	s_or_b64 exec, exec, s[2:3]
.LBB105_37:
	v_mov_b32_dpp v0, v15 row_shr:1 row_mask:0xf bank_mask:0xf
	v_mov_b32_dpp v2, v16 row_shr:1 row_mask:0xf bank_mask:0xf
	;; [unrolled: 1-line block ×4, first 2 shown]
	v_add_f32_e32 v0, v15, v0
	v_add_f32_e32 v2, v16, v2
	;; [unrolled: 1-line block ×4, first 2 shown]
	v_mov_b32_dpp v1, v0 row_shr:2 row_mask:0xf bank_mask:0xf
	v_mov_b32_dpp v3, v2 row_shr:2 row_mask:0xf bank_mask:0xf
	;; [unrolled: 1-line block ×4, first 2 shown]
	v_cmp_eq_u32_e32 vcc, 3, v11
	s_and_b64 exec, exec, vcc
	s_cbranch_execz .LBB105_10
; %bb.38:
	s_load_dwordx2 s[0:1], s[4:5], 0x50
	v_add_f32_e32 v0, v0, v1
	v_add_f32_e32 v1, v2, v3
	;; [unrolled: 1-line block ×4, first 2 shown]
	v_cmp_eq_f32_e64 s[2:3], s16, 0
	s_and_b64 vcc, exec, s[2:3]
	v_mul_f32_e32 v0, s18, v0
	v_mul_f32_e32 v1, s18, v1
	;; [unrolled: 1-line block ×4, first 2 shown]
	v_lshlrev_b32_e32 v4, 2, v4
	s_cbranch_vccz .LBB105_40
; %bb.39:
	v_ashrrev_i32_e32 v5, 31, v4
	v_lshlrev_b64 v[5:6], 2, v[4:5]
	s_waitcnt lgkmcnt(0)
	v_mov_b32_e32 v7, s1
	v_add_co_u32_e32 v5, vcc, s0, v5
	v_addc_co_u32_e32 v6, vcc, v7, v6, vcc
	global_store_dwordx4 v[5:6], v[0:3], off
	s_cbranch_execnz .LBB105_10
	s_branch .LBB105_41
.LBB105_40:
.LBB105_41:
	v_ashrrev_i32_e32 v5, 31, v4
	v_lshlrev_b64 v[4:5], 2, v[4:5]
	s_waitcnt lgkmcnt(0)
	v_mov_b32_e32 v6, s1
	v_add_co_u32_e32 v8, vcc, s0, v4
	v_addc_co_u32_e32 v9, vcc, v6, v5, vcc
	global_load_dwordx4 v[4:7], v[8:9], off
	s_waitcnt vmcnt(0)
	v_fmac_f32_e32 v0, s16, v4
	v_fmac_f32_e32 v1, s16, v5
	v_fmac_f32_e32 v2, s16, v6
	v_fmac_f32_e32 v3, s16, v7
	global_store_dwordx4 v[8:9], v[0:3], off
	s_endpgm
	.section	.rodata,"a",@progbits
	.p2align	6, 0x0
	.amdhsa_kernel _ZN9rocsparseL18bsrxmvn_4x4_kernelILj128ELj4Efii18rocsparse_bfloat16S1_fEEvT3_20rocsparse_direction_NS_24const_host_device_scalarIT1_EES2_PKS2_PKT2_SB_S8_PKT4_PKT5_S6_PT6_21rocsparse_index_base_b
		.amdhsa_group_segment_fixed_size 0
		.amdhsa_private_segment_fixed_size 0
		.amdhsa_kernarg_size 96
		.amdhsa_user_sgpr_count 6
		.amdhsa_user_sgpr_private_segment_buffer 1
		.amdhsa_user_sgpr_dispatch_ptr 0
		.amdhsa_user_sgpr_queue_ptr 0
		.amdhsa_user_sgpr_kernarg_segment_ptr 1
		.amdhsa_user_sgpr_dispatch_id 0
		.amdhsa_user_sgpr_flat_scratch_init 0
		.amdhsa_user_sgpr_private_segment_size 0
		.amdhsa_uses_dynamic_stack 0
		.amdhsa_system_sgpr_private_segment_wavefront_offset 0
		.amdhsa_system_sgpr_workgroup_id_x 1
		.amdhsa_system_sgpr_workgroup_id_y 0
		.amdhsa_system_sgpr_workgroup_id_z 0
		.amdhsa_system_sgpr_workgroup_info 0
		.amdhsa_system_vgpr_workitem_id 0
		.amdhsa_next_free_vgpr 38
		.amdhsa_next_free_sgpr 22
		.amdhsa_reserve_vcc 1
		.amdhsa_reserve_flat_scratch 0
		.amdhsa_float_round_mode_32 0
		.amdhsa_float_round_mode_16_64 0
		.amdhsa_float_denorm_mode_32 3
		.amdhsa_float_denorm_mode_16_64 3
		.amdhsa_dx10_clamp 1
		.amdhsa_ieee_mode 1
		.amdhsa_fp16_overflow 0
		.amdhsa_exception_fp_ieee_invalid_op 0
		.amdhsa_exception_fp_denorm_src 0
		.amdhsa_exception_fp_ieee_div_zero 0
		.amdhsa_exception_fp_ieee_overflow 0
		.amdhsa_exception_fp_ieee_underflow 0
		.amdhsa_exception_fp_ieee_inexact 0
		.amdhsa_exception_int_div_zero 0
	.end_amdhsa_kernel
	.section	.text._ZN9rocsparseL18bsrxmvn_4x4_kernelILj128ELj4Efii18rocsparse_bfloat16S1_fEEvT3_20rocsparse_direction_NS_24const_host_device_scalarIT1_EES2_PKS2_PKT2_SB_S8_PKT4_PKT5_S6_PT6_21rocsparse_index_base_b,"axG",@progbits,_ZN9rocsparseL18bsrxmvn_4x4_kernelILj128ELj4Efii18rocsparse_bfloat16S1_fEEvT3_20rocsparse_direction_NS_24const_host_device_scalarIT1_EES2_PKS2_PKT2_SB_S8_PKT4_PKT5_S6_PT6_21rocsparse_index_base_b,comdat
.Lfunc_end105:
	.size	_ZN9rocsparseL18bsrxmvn_4x4_kernelILj128ELj4Efii18rocsparse_bfloat16S1_fEEvT3_20rocsparse_direction_NS_24const_host_device_scalarIT1_EES2_PKS2_PKT2_SB_S8_PKT4_PKT5_S6_PT6_21rocsparse_index_base_b, .Lfunc_end105-_ZN9rocsparseL18bsrxmvn_4x4_kernelILj128ELj4Efii18rocsparse_bfloat16S1_fEEvT3_20rocsparse_direction_NS_24const_host_device_scalarIT1_EES2_PKS2_PKT2_SB_S8_PKT4_PKT5_S6_PT6_21rocsparse_index_base_b
                                        ; -- End function
	.set _ZN9rocsparseL18bsrxmvn_4x4_kernelILj128ELj4Efii18rocsparse_bfloat16S1_fEEvT3_20rocsparse_direction_NS_24const_host_device_scalarIT1_EES2_PKS2_PKT2_SB_S8_PKT4_PKT5_S6_PT6_21rocsparse_index_base_b.num_vgpr, 38
	.set _ZN9rocsparseL18bsrxmvn_4x4_kernelILj128ELj4Efii18rocsparse_bfloat16S1_fEEvT3_20rocsparse_direction_NS_24const_host_device_scalarIT1_EES2_PKS2_PKT2_SB_S8_PKT4_PKT5_S6_PT6_21rocsparse_index_base_b.num_agpr, 0
	.set _ZN9rocsparseL18bsrxmvn_4x4_kernelILj128ELj4Efii18rocsparse_bfloat16S1_fEEvT3_20rocsparse_direction_NS_24const_host_device_scalarIT1_EES2_PKS2_PKT2_SB_S8_PKT4_PKT5_S6_PT6_21rocsparse_index_base_b.numbered_sgpr, 22
	.set _ZN9rocsparseL18bsrxmvn_4x4_kernelILj128ELj4Efii18rocsparse_bfloat16S1_fEEvT3_20rocsparse_direction_NS_24const_host_device_scalarIT1_EES2_PKS2_PKT2_SB_S8_PKT4_PKT5_S6_PT6_21rocsparse_index_base_b.num_named_barrier, 0
	.set _ZN9rocsparseL18bsrxmvn_4x4_kernelILj128ELj4Efii18rocsparse_bfloat16S1_fEEvT3_20rocsparse_direction_NS_24const_host_device_scalarIT1_EES2_PKS2_PKT2_SB_S8_PKT4_PKT5_S6_PT6_21rocsparse_index_base_b.private_seg_size, 0
	.set _ZN9rocsparseL18bsrxmvn_4x4_kernelILj128ELj4Efii18rocsparse_bfloat16S1_fEEvT3_20rocsparse_direction_NS_24const_host_device_scalarIT1_EES2_PKS2_PKT2_SB_S8_PKT4_PKT5_S6_PT6_21rocsparse_index_base_b.uses_vcc, 1
	.set _ZN9rocsparseL18bsrxmvn_4x4_kernelILj128ELj4Efii18rocsparse_bfloat16S1_fEEvT3_20rocsparse_direction_NS_24const_host_device_scalarIT1_EES2_PKS2_PKT2_SB_S8_PKT4_PKT5_S6_PT6_21rocsparse_index_base_b.uses_flat_scratch, 0
	.set _ZN9rocsparseL18bsrxmvn_4x4_kernelILj128ELj4Efii18rocsparse_bfloat16S1_fEEvT3_20rocsparse_direction_NS_24const_host_device_scalarIT1_EES2_PKS2_PKT2_SB_S8_PKT4_PKT5_S6_PT6_21rocsparse_index_base_b.has_dyn_sized_stack, 0
	.set _ZN9rocsparseL18bsrxmvn_4x4_kernelILj128ELj4Efii18rocsparse_bfloat16S1_fEEvT3_20rocsparse_direction_NS_24const_host_device_scalarIT1_EES2_PKS2_PKT2_SB_S8_PKT4_PKT5_S6_PT6_21rocsparse_index_base_b.has_recursion, 0
	.set _ZN9rocsparseL18bsrxmvn_4x4_kernelILj128ELj4Efii18rocsparse_bfloat16S1_fEEvT3_20rocsparse_direction_NS_24const_host_device_scalarIT1_EES2_PKS2_PKT2_SB_S8_PKT4_PKT5_S6_PT6_21rocsparse_index_base_b.has_indirect_call, 0
	.section	.AMDGPU.csdata,"",@progbits
; Kernel info:
; codeLenInByte = 3888
; TotalNumSgprs: 26
; NumVgprs: 38
; ScratchSize: 0
; MemoryBound: 0
; FloatMode: 240
; IeeeMode: 1
; LDSByteSize: 0 bytes/workgroup (compile time only)
; SGPRBlocks: 3
; VGPRBlocks: 9
; NumSGPRsForWavesPerEU: 26
; NumVGPRsForWavesPerEU: 38
; Occupancy: 6
; WaveLimiterHint : 1
; COMPUTE_PGM_RSRC2:SCRATCH_EN: 0
; COMPUTE_PGM_RSRC2:USER_SGPR: 6
; COMPUTE_PGM_RSRC2:TRAP_HANDLER: 0
; COMPUTE_PGM_RSRC2:TGID_X_EN: 1
; COMPUTE_PGM_RSRC2:TGID_Y_EN: 0
; COMPUTE_PGM_RSRC2:TGID_Z_EN: 0
; COMPUTE_PGM_RSRC2:TIDIG_COMP_CNT: 0
	.section	.text._ZN9rocsparseL18bsrxmvn_4x4_kernelILj128ELj8Efii18rocsparse_bfloat16S1_fEEvT3_20rocsparse_direction_NS_24const_host_device_scalarIT1_EES2_PKS2_PKT2_SB_S8_PKT4_PKT5_S6_PT6_21rocsparse_index_base_b,"axG",@progbits,_ZN9rocsparseL18bsrxmvn_4x4_kernelILj128ELj8Efii18rocsparse_bfloat16S1_fEEvT3_20rocsparse_direction_NS_24const_host_device_scalarIT1_EES2_PKS2_PKT2_SB_S8_PKT4_PKT5_S6_PT6_21rocsparse_index_base_b,comdat
	.globl	_ZN9rocsparseL18bsrxmvn_4x4_kernelILj128ELj8Efii18rocsparse_bfloat16S1_fEEvT3_20rocsparse_direction_NS_24const_host_device_scalarIT1_EES2_PKS2_PKT2_SB_S8_PKT4_PKT5_S6_PT6_21rocsparse_index_base_b ; -- Begin function _ZN9rocsparseL18bsrxmvn_4x4_kernelILj128ELj8Efii18rocsparse_bfloat16S1_fEEvT3_20rocsparse_direction_NS_24const_host_device_scalarIT1_EES2_PKS2_PKT2_SB_S8_PKT4_PKT5_S6_PT6_21rocsparse_index_base_b
	.p2align	8
	.type	_ZN9rocsparseL18bsrxmvn_4x4_kernelILj128ELj8Efii18rocsparse_bfloat16S1_fEEvT3_20rocsparse_direction_NS_24const_host_device_scalarIT1_EES2_PKS2_PKT2_SB_S8_PKT4_PKT5_S6_PT6_21rocsparse_index_base_b,@function
_ZN9rocsparseL18bsrxmvn_4x4_kernelILj128ELj8Efii18rocsparse_bfloat16S1_fEEvT3_20rocsparse_direction_NS_24const_host_device_scalarIT1_EES2_PKS2_PKT2_SB_S8_PKT4_PKT5_S6_PT6_21rocsparse_index_base_b: ; @_ZN9rocsparseL18bsrxmvn_4x4_kernelILj128ELj8Efii18rocsparse_bfloat16S1_fEEvT3_20rocsparse_direction_NS_24const_host_device_scalarIT1_EES2_PKS2_PKT2_SB_S8_PKT4_PKT5_S6_PT6_21rocsparse_index_base_b
; %bb.0:
	s_load_dwordx2 s[20:21], s[4:5], 0x58
	s_load_dwordx2 s[18:19], s[4:5], 0x8
	;; [unrolled: 1-line block ×3, first 2 shown]
	s_waitcnt lgkmcnt(0)
	s_bitcmp1_b32 s21, 0
	s_cselect_b64 s[2:3], -1, 0
	s_xor_b64 s[0:1], s[2:3], -1
	s_and_b64 vcc, exec, s[2:3]
	s_cbranch_vccnz .LBB106_2
; %bb.1:
	s_load_dword s18, s[18:19], 0x0
.LBB106_2:
	s_andn2_b64 vcc, exec, s[0:1]
	s_cbranch_vccnz .LBB106_4
; %bb.3:
	s_load_dword s16, s[16:17], 0x0
.LBB106_4:
	s_waitcnt lgkmcnt(0)
	v_cmp_neq_f32_e64 s[0:1], s18, 0
	v_cmp_neq_f32_e64 s[2:3], s16, 1.0
	s_or_b64 s[0:1], s[0:1], s[2:3]
	s_andn2_b64 vcc, exec, s[0:1]
	s_cbranch_vccnz .LBB106_10
; %bb.5:
	s_load_dwordx2 s[8:9], s[4:5], 0x18
	s_load_dwordx2 s[0:1], s[4:5], 0x0
	v_lshrrev_b32_e32 v1, 3, v0
	v_lshl_or_b32 v4, s6, 4, v1
	s_mov_b64 s[2:3], 0
	s_waitcnt lgkmcnt(0)
	s_cmp_lg_u64 s[8:9], 0
	s_cbranch_scc0 .LBB106_11
; %bb.6:
	s_load_dword s6, s[4:5], 0x10
                                        ; implicit-def: $vgpr1
	s_waitcnt lgkmcnt(0)
	v_cmp_gt_i32_e32 vcc, s6, v4
	s_and_saveexec_b64 s[6:7], vcc
	s_xor_b64 s[6:7], exec, s[6:7]
	s_cbranch_execz .LBB106_8
; %bb.7:
	v_ashrrev_i32_e32 v5, 31, v4
	v_lshlrev_b64 v[1:2], 2, v[4:5]
	v_mov_b32_e32 v3, s9
	v_add_co_u32_e32 v1, vcc, s8, v1
	v_addc_co_u32_e32 v2, vcc, v3, v2, vcc
	global_load_dword v1, v[1:2], off
	s_mov_b64 s[2:3], exec
	s_waitcnt vmcnt(0)
	v_subrev_u32_e32 v1, s20, v1
.LBB106_8:
	s_or_b64 exec, exec, s[6:7]
	s_branch .LBB106_12
.LBB106_9:
	v_cmp_gt_i32_e32 vcc, s0, v4
	s_andn2_b64 s[2:3], s[2:3], exec
	s_and_b64 s[6:7], vcc, exec
	s_or_b64 s[2:3], s[2:3], s[6:7]
	s_and_saveexec_b64 s[6:7], s[2:3]
	s_cbranch_execnz .LBB106_13
.LBB106_10:
	s_endpgm
.LBB106_11:
                                        ; implicit-def: $vgpr1
	s_cbranch_execnz .LBB106_9
.LBB106_12:
	v_mov_b32_e32 v4, v1
	s_and_saveexec_b64 s[6:7], s[2:3]
	s_cbranch_execz .LBB106_10
.LBB106_13:
	s_load_dwordx8 s[8:15], s[4:5], 0x20
	v_ashrrev_i32_e32 v5, 31, v4
	v_lshlrev_b64 v[1:2], 2, v[4:5]
	v_and_b32_e32 v11, 7, v0
	s_load_dwordx2 s[6:7], s[4:5], 0x40
	s_waitcnt lgkmcnt(0)
	v_mov_b32_e32 v3, s9
	v_add_co_u32_e32 v5, vcc, s8, v1
	v_addc_co_u32_e32 v6, vcc, v3, v2, vcc
	v_add_co_u32_e32 v3, vcc, 4, v5
	global_load_dword v17, v[5:6], off
	v_addc_co_u32_e32 v5, vcc, 0, v6, vcc
	v_mov_b32_e32 v6, s11
	v_add_co_u32_e32 v1, vcc, s10, v1
	s_cmp_eq_u64 s[10:11], 0
	v_addc_co_u32_e32 v2, vcc, v6, v2, vcc
	s_cselect_b64 vcc, -1, 0
	v_cndmask_b32_e32 v2, v2, v5, vcc
	v_cndmask_b32_e32 v1, v1, v3, vcc
	global_load_dword v1, v[1:2], off
	v_mov_b32_e32 v5, s15
	s_cmp_eq_u32 s1, 1
	s_waitcnt vmcnt(1)
	v_subrev_u32_e32 v0, s20, v17
	v_add_u32_e32 v0, v0, v11
	s_waitcnt vmcnt(0)
	v_subrev_u32_e32 v12, s20, v1
	v_ashrrev_i32_e32 v1, 31, v0
	v_lshlrev_b64 v[2:3], 5, v[0:1]
	v_cmp_lt_i32_e64 s[0:1], v0, v12
	v_add_co_u32_e32 v2, vcc, s14, v2
	v_addc_co_u32_e32 v3, vcc, v5, v3, vcc
	s_cbranch_scc1 .LBB106_25
; %bb.14:
	v_mov_b32_e32 v13, 0
	v_mov_b32_e32 v14, 0
	;; [unrolled: 1-line block ×4, first 2 shown]
	s_and_saveexec_b64 s[8:9], s[0:1]
	s_cbranch_execz .LBB106_24
; %bb.15:
	v_add_u32_e32 v1, v17, v11
	v_subrev_u32_e32 v1, s20, v1
	v_add_u32_e32 v1, 8, v1
	v_max_i32_e32 v1, v1, v12
	v_not_b32_e32 v5, v17
	v_add3_u32 v1, s20, v1, v5
	v_sub_u32_e32 v1, v1, v11
	v_and_b32_e32 v5, 24, v1
	v_mov_b32_e32 v8, v3
	v_cmp_ne_u32_e32 vcc, 24, v5
	v_mov_b32_e32 v15, 0
	v_mov_b32_e32 v16, 0
	;; [unrolled: 1-line block ×6, first 2 shown]
	s_and_saveexec_b64 s[10:11], vcc
	s_cbranch_execz .LBB106_19
; %bb.16:
	v_lshrrev_b32_e32 v5, 3, v1
	v_add_u32_e32 v5, 1, v5
	v_and_b32_e32 v5, 3, v5
	v_mov_b32_e32 v8, v3
	v_sub_u32_e32 v9, 0, v5
	v_mov_b32_e32 v13, 0
	s_mov_b64 s[14:15], 0
	v_mov_b32_e32 v10, s13
	v_mov_b32_e32 v18, s7
	;; [unrolled: 1-line block ×7, first 2 shown]
.LBB106_17:                             ; =>This Inner Loop Header: Depth=1
	v_ashrrev_i32_e32 v6, 31, v5
	v_lshlrev_b64 v[19:20], 2, v[5:6]
	v_add_co_u32_e64 v9, s[2:3], 1, v9
	v_add_co_u32_e32 v27, vcc, s12, v19
	v_addc_co_u32_e32 v28, vcc, v10, v20, vcc
	global_load_dword v6, v[27:28], off
	global_load_dwordx4 v[19:22], v[7:8], off
	global_load_dwordx4 v[23:26], v[7:8], off offset:16
	v_add_u32_e32 v5, 8, v5
	s_or_b64 s[14:15], s[2:3], s[14:15]
	s_waitcnt vmcnt(2)
	v_subrev_u32_e32 v6, s20, v6
	v_lshlrev_b32_e32 v27, 2, v6
	v_ashrrev_i32_e32 v28, 31, v27
	v_lshlrev_b64 v[27:28], 1, v[27:28]
	s_waitcnt vmcnt(1)
	v_lshlrev_b32_e32 v6, 16, v19
	v_add_co_u32_e32 v27, vcc, s6, v27
	v_addc_co_u32_e32 v28, vcc, v18, v28, vcc
	global_load_dwordx2 v[27:28], v[27:28], off
	v_lshlrev_b32_e32 v30, 16, v21
	s_waitcnt vmcnt(1)
	v_lshlrev_b32_e32 v32, 16, v23
	v_lshlrev_b32_e32 v34, 16, v25
	v_and_b32_e32 v19, 0xffff0000, v19
	v_and_b32_e32 v21, 0xffff0000, v21
	;; [unrolled: 1-line block ×4, first 2 shown]
	v_lshlrev_b32_e32 v29, 16, v20
	v_lshlrev_b32_e32 v31, 16, v22
	;; [unrolled: 1-line block ×4, first 2 shown]
	v_add_co_u32_e32 v7, vcc, 0x100, v7
	v_and_b32_e32 v20, 0xffff0000, v20
	v_and_b32_e32 v22, 0xffff0000, v22
	;; [unrolled: 1-line block ×4, first 2 shown]
	v_addc_co_u32_e32 v8, vcc, 0, v8, vcc
	s_waitcnt vmcnt(0)
	v_lshlrev_b32_e32 v36, 16, v27
	v_and_b32_e32 v27, 0xffff0000, v27
	v_fmac_f32_e32 v15, v6, v36
	v_fmac_f32_e32 v16, v30, v36
	;; [unrolled: 1-line block ×4, first 2 shown]
	v_lshlrev_b32_e32 v37, 16, v28
	v_fmac_f32_e32 v15, v19, v27
	v_fmac_f32_e32 v16, v21, v27
	;; [unrolled: 1-line block ×4, first 2 shown]
	v_and_b32_e32 v28, 0xffff0000, v28
	v_fmac_f32_e32 v15, v29, v37
	v_fmac_f32_e32 v16, v31, v37
	;; [unrolled: 1-line block ×8, first 2 shown]
	s_andn2_b64 exec, exec, s[14:15]
	s_cbranch_execnz .LBB106_17
; %bb.18:
	s_or_b64 exec, exec, s[14:15]
.LBB106_19:
	s_or_b64 exec, exec, s[10:11]
	v_cmp_lt_u32_e32 vcc, 23, v1
	s_and_saveexec_b64 s[2:3], vcc
	s_cbranch_execz .LBB106_23
; %bb.20:
	s_mov_b64 s[10:11], 0
	v_mov_b32_e32 v1, s13
	v_mov_b32_e32 v18, s7
.LBB106_21:                             ; =>This Inner Loop Header: Depth=1
	v_ashrrev_i32_e32 v6, 31, v5
	v_lshlrev_b64 v[9:10], 2, v[5:6]
	global_load_dwordx4 v[19:22], v[7:8], off
	v_add_co_u32_e32 v9, vcc, s12, v9
	v_addc_co_u32_e32 v10, vcc, v1, v10, vcc
	global_load_dword v6, v[9:10], off
	v_add_u32_e32 v5, 32, v5
	s_waitcnt vmcnt(0)
	v_subrev_u32_e32 v6, s20, v6
	v_lshlrev_b32_e32 v23, 2, v6
	v_ashrrev_i32_e32 v24, 31, v23
	v_lshlrev_b64 v[23:24], 1, v[23:24]
	v_lshlrev_b32_e32 v6, 16, v19
	v_add_co_u32_e32 v23, vcc, s6, v23
	v_addc_co_u32_e32 v24, vcc, v18, v24, vcc
	global_load_dwordx2 v[23:24], v[23:24], off
	s_waitcnt vmcnt(0)
	v_lshlrev_b32_e32 v25, 16, v23
	v_fmac_f32_e32 v15, v6, v25
	v_and_b32_e32 v6, 0xffff0000, v19
	v_and_b32_e32 v23, 0xffff0000, v23
	v_fmac_f32_e32 v15, v6, v23
	v_lshlrev_b32_e32 v6, 16, v20
	v_lshlrev_b32_e32 v26, 16, v24
	v_fmac_f32_e32 v15, v6, v26
	v_and_b32_e32 v6, 0xffff0000, v20
	v_and_b32_e32 v24, 0xffff0000, v24
	v_fmac_f32_e32 v15, v6, v24
	v_lshlrev_b32_e32 v6, 16, v21
	v_fmac_f32_e32 v16, v6, v25
	v_and_b32_e32 v6, 0xffff0000, v21
	v_fmac_f32_e32 v16, v6, v23
	v_lshlrev_b32_e32 v6, 16, v22
	v_fmac_f32_e32 v16, v6, v26
	v_and_b32_e32 v6, 0xffff0000, v22
	global_load_dwordx4 v[19:22], v[7:8], off offset:16
	v_fmac_f32_e32 v16, v6, v24
	s_waitcnt vmcnt(0)
	v_lshlrev_b32_e32 v6, 16, v19
	v_fmac_f32_e32 v14, v6, v25
	v_and_b32_e32 v6, 0xffff0000, v19
	v_fmac_f32_e32 v14, v6, v23
	v_lshlrev_b32_e32 v6, 16, v20
	v_fmac_f32_e32 v14, v6, v26
	v_and_b32_e32 v6, 0xffff0000, v20
	v_fmac_f32_e32 v14, v6, v24
	v_lshlrev_b32_e32 v6, 16, v21
	v_fmac_f32_e32 v13, v6, v25
	v_and_b32_e32 v6, 0xffff0000, v21
	v_fmac_f32_e32 v13, v6, v23
	v_lshlrev_b32_e32 v6, 16, v22
	v_fmac_f32_e32 v13, v6, v26
	v_and_b32_e32 v6, 0xffff0000, v22
	v_fmac_f32_e32 v13, v6, v24
	global_load_dword v6, v[9:10], off offset:32
	global_load_dwordx4 v[19:22], v[7:8], off offset:256
	s_waitcnt vmcnt(1)
	v_subrev_u32_e32 v6, s20, v6
	v_lshlrev_b32_e32 v23, 2, v6
	v_ashrrev_i32_e32 v24, 31, v23
	v_lshlrev_b64 v[23:24], 1, v[23:24]
	s_waitcnt vmcnt(0)
	v_lshlrev_b32_e32 v6, 16, v19
	v_add_co_u32_e32 v23, vcc, s6, v23
	v_addc_co_u32_e32 v24, vcc, v18, v24, vcc
	global_load_dwordx2 v[23:24], v[23:24], off
	s_waitcnt vmcnt(0)
	v_lshlrev_b32_e32 v25, 16, v23
	v_fmac_f32_e32 v15, v6, v25
	v_and_b32_e32 v6, 0xffff0000, v19
	v_and_b32_e32 v23, 0xffff0000, v23
	v_fmac_f32_e32 v15, v6, v23
	v_lshlrev_b32_e32 v6, 16, v20
	v_lshlrev_b32_e32 v26, 16, v24
	v_fmac_f32_e32 v15, v6, v26
	v_and_b32_e32 v6, 0xffff0000, v20
	v_and_b32_e32 v24, 0xffff0000, v24
	v_fmac_f32_e32 v15, v6, v24
	v_lshlrev_b32_e32 v6, 16, v21
	v_fmac_f32_e32 v16, v6, v25
	v_and_b32_e32 v6, 0xffff0000, v21
	v_fmac_f32_e32 v16, v6, v23
	v_lshlrev_b32_e32 v6, 16, v22
	v_fmac_f32_e32 v16, v6, v26
	v_and_b32_e32 v6, 0xffff0000, v22
	global_load_dwordx4 v[19:22], v[7:8], off offset:272
	v_fmac_f32_e32 v16, v6, v24
	s_waitcnt vmcnt(0)
	v_lshlrev_b32_e32 v6, 16, v19
	v_fmac_f32_e32 v14, v6, v25
	v_and_b32_e32 v6, 0xffff0000, v19
	v_fmac_f32_e32 v14, v6, v23
	v_lshlrev_b32_e32 v6, 16, v20
	v_fmac_f32_e32 v14, v6, v26
	v_and_b32_e32 v6, 0xffff0000, v20
	v_fmac_f32_e32 v14, v6, v24
	v_lshlrev_b32_e32 v6, 16, v21
	v_fmac_f32_e32 v13, v6, v25
	v_and_b32_e32 v6, 0xffff0000, v21
	v_fmac_f32_e32 v13, v6, v23
	v_lshlrev_b32_e32 v6, 16, v22
	v_fmac_f32_e32 v13, v6, v26
	v_and_b32_e32 v6, 0xffff0000, v22
	v_fmac_f32_e32 v13, v6, v24
	global_load_dword v6, v[9:10], off offset:64
	global_load_dwordx4 v[19:22], v[7:8], off offset:512
	s_waitcnt vmcnt(1)
	v_subrev_u32_e32 v6, s20, v6
	v_lshlrev_b32_e32 v23, 2, v6
	v_ashrrev_i32_e32 v24, 31, v23
	v_lshlrev_b64 v[23:24], 1, v[23:24]
	s_waitcnt vmcnt(0)
	;; [unrolled: 50-line block ×3, first 2 shown]
	v_lshlrev_b32_e32 v6, 16, v19
	v_add_co_u32_e32 v9, vcc, s6, v9
	v_addc_co_u32_e32 v10, vcc, v18, v10, vcc
	global_load_dwordx2 v[9:10], v[9:10], off
	s_waitcnt vmcnt(0)
	v_lshlrev_b32_e32 v23, 16, v9
	v_fmac_f32_e32 v15, v6, v23
	v_and_b32_e32 v6, 0xffff0000, v19
	v_and_b32_e32 v9, 0xffff0000, v9
	v_fmac_f32_e32 v15, v6, v9
	v_lshlrev_b32_e32 v6, 16, v20
	v_lshlrev_b32_e32 v24, 16, v10
	v_fmac_f32_e32 v15, v6, v24
	v_and_b32_e32 v6, 0xffff0000, v20
	v_and_b32_e32 v10, 0xffff0000, v10
	v_fmac_f32_e32 v15, v6, v10
	v_lshlrev_b32_e32 v6, 16, v21
	v_fmac_f32_e32 v16, v6, v23
	v_and_b32_e32 v6, 0xffff0000, v21
	v_fmac_f32_e32 v16, v6, v9
	v_lshlrev_b32_e32 v6, 16, v22
	v_fmac_f32_e32 v16, v6, v24
	v_and_b32_e32 v6, 0xffff0000, v22
	global_load_dwordx4 v[19:22], v[7:8], off offset:784
	v_fmac_f32_e32 v16, v6, v10
	v_add_co_u32_e32 v7, vcc, 0x400, v7
	v_addc_co_u32_e32 v8, vcc, 0, v8, vcc
	v_cmp_ge_i32_e32 vcc, v5, v12
	s_or_b64 s[10:11], vcc, s[10:11]
	s_waitcnt vmcnt(0)
	v_lshlrev_b32_e32 v6, 16, v19
	v_fmac_f32_e32 v14, v6, v23
	v_and_b32_e32 v6, 0xffff0000, v19
	v_fmac_f32_e32 v14, v6, v9
	v_lshlrev_b32_e32 v6, 16, v20
	v_fmac_f32_e32 v14, v6, v24
	v_and_b32_e32 v6, 0xffff0000, v20
	v_fmac_f32_e32 v14, v6, v10
	;; [unrolled: 4-line block ×4, first 2 shown]
	s_andn2_b64 exec, exec, s[10:11]
	s_cbranch_execnz .LBB106_21
; %bb.22:
	s_or_b64 exec, exec, s[10:11]
.LBB106_23:
	s_or_b64 exec, exec, s[2:3]
.LBB106_24:
	s_or_b64 exec, exec, s[8:9]
	s_cbranch_execz .LBB106_26
	s_branch .LBB106_37
.LBB106_25:
                                        ; implicit-def: $vgpr13
                                        ; implicit-def: $vgpr14
                                        ; implicit-def: $vgpr16
                                        ; implicit-def: $vgpr15
.LBB106_26:
	v_mov_b32_e32 v13, 0
	v_mov_b32_e32 v14, 0
	;; [unrolled: 1-line block ×4, first 2 shown]
	s_and_saveexec_b64 s[2:3], s[0:1]
	s_cbranch_execz .LBB106_36
; %bb.27:
	v_add_u32_e32 v1, v17, v11
	v_subrev_u32_e32 v1, s20, v1
	v_add_u32_e32 v1, 8, v1
	v_max_i32_e32 v1, v1, v12
	v_not_b32_e32 v5, v17
	v_add3_u32 v1, s20, v1, v5
	v_sub_u32_e32 v5, v1, v11
	v_and_b32_e32 v1, 24, v5
	v_cmp_ne_u32_e32 vcc, 24, v1
	v_mov_b32_e32 v15, 0
	v_mov_b32_e32 v16, 0
	v_mov_b32_e32 v14, 0
	v_mov_b32_e32 v13, 0
	s_and_saveexec_b64 s[8:9], vcc
	s_cbranch_execz .LBB106_31
; %bb.28:
	v_lshrrev_b32_e32 v1, 3, v5
	v_add_u32_e32 v1, 1, v1
	v_and_b32_e32 v1, 3, v1
	v_sub_u32_e32 v6, 0, v1
	v_mov_b32_e32 v13, 0
	s_mov_b64 s[10:11], 0
	v_mov_b32_e32 v7, s13
	v_mov_b32_e32 v8, s7
	;; [unrolled: 1-line block ×5, first 2 shown]
.LBB106_29:                             ; =>This Inner Loop Header: Depth=1
	v_ashrrev_i32_e32 v1, 31, v0
	v_lshlrev_b64 v[9:10], 2, v[0:1]
	v_add_co_u32_e64 v6, s[0:1], 1, v6
	v_add_co_u32_e32 v9, vcc, s12, v9
	v_addc_co_u32_e32 v10, vcc, v7, v10, vcc
	global_load_dword v1, v[9:10], off
	global_load_dwordx4 v[17:20], v[2:3], off
	v_add_u32_e32 v0, 8, v0
	s_or_b64 s[10:11], s[0:1], s[10:11]
	s_waitcnt vmcnt(1)
	v_subrev_u32_e32 v1, s20, v1
	v_lshlrev_b32_e32 v9, 2, v1
	v_ashrrev_i32_e32 v10, 31, v9
	v_lshlrev_b64 v[9:10], 1, v[9:10]
	s_waitcnt vmcnt(0)
	v_lshlrev_b32_e32 v1, 16, v17
	v_add_co_u32_e32 v9, vcc, s6, v9
	v_addc_co_u32_e32 v10, vcc, v8, v10, vcc
	global_load_dwordx2 v[25:26], v[9:10], off
	global_load_dwordx4 v[21:24], v[2:3], off offset:16
	v_and_b32_e32 v9, 0xffff0000, v17
	v_lshlrev_b32_e32 v10, 16, v18
	v_and_b32_e32 v17, 0xffff0000, v18
	v_lshlrev_b32_e32 v18, 16, v19
	v_and_b32_e32 v19, 0xffff0000, v19
	v_lshlrev_b32_e32 v27, 16, v20
	v_and_b32_e32 v20, 0xffff0000, v20
	v_add_co_u32_e32 v2, vcc, 0x100, v2
	v_addc_co_u32_e32 v3, vcc, 0, v3, vcc
	s_waitcnt vmcnt(1)
	v_lshlrev_b32_e32 v32, 16, v25
	v_and_b32_e32 v25, 0xffff0000, v25
	v_fmac_f32_e32 v15, v1, v32
	v_fmac_f32_e32 v16, v9, v32
	;; [unrolled: 1-line block ×4, first 2 shown]
	s_waitcnt vmcnt(0)
	v_lshlrev_b32_e32 v28, 16, v21
	v_and_b32_e32 v21, 0xffff0000, v21
	v_lshlrev_b32_e32 v29, 16, v22
	v_and_b32_e32 v22, 0xffff0000, v22
	v_lshlrev_b32_e32 v33, 16, v26
	v_fmac_f32_e32 v15, v18, v25
	v_fmac_f32_e32 v16, v19, v25
	;; [unrolled: 1-line block ×4, first 2 shown]
	v_lshlrev_b32_e32 v30, 16, v23
	v_and_b32_e32 v23, 0xffff0000, v23
	v_lshlrev_b32_e32 v31, 16, v24
	v_and_b32_e32 v24, 0xffff0000, v24
	v_and_b32_e32 v26, 0xffff0000, v26
	v_fmac_f32_e32 v15, v28, v33
	v_fmac_f32_e32 v16, v21, v33
	;; [unrolled: 1-line block ×8, first 2 shown]
	s_andn2_b64 exec, exec, s[10:11]
	s_cbranch_execnz .LBB106_29
; %bb.30:
	s_or_b64 exec, exec, s[10:11]
.LBB106_31:
	s_or_b64 exec, exec, s[8:9]
	v_cmp_lt_u32_e32 vcc, 23, v5
	s_and_saveexec_b64 s[0:1], vcc
	s_cbranch_execz .LBB106_35
; %bb.32:
	s_mov_b64 s[8:9], 0
	v_mov_b32_e32 v7, s13
	v_mov_b32_e32 v8, s7
.LBB106_33:                             ; =>This Inner Loop Header: Depth=1
	v_ashrrev_i32_e32 v1, 31, v0
	v_lshlrev_b64 v[5:6], 2, v[0:1]
	global_load_dwordx4 v[17:20], v[2:3], off
	v_add_co_u32_e32 v5, vcc, s12, v5
	v_addc_co_u32_e32 v6, vcc, v7, v6, vcc
	global_load_dword v1, v[5:6], off
	v_add_u32_e32 v0, 32, v0
	s_waitcnt vmcnt(0)
	v_subrev_u32_e32 v1, s20, v1
	v_lshlrev_b32_e32 v9, 2, v1
	v_ashrrev_i32_e32 v10, 31, v9
	v_lshlrev_b64 v[9:10], 1, v[9:10]
	v_lshlrev_b32_e32 v1, 16, v17
	v_add_co_u32_e32 v9, vcc, s6, v9
	v_addc_co_u32_e32 v10, vcc, v8, v10, vcc
	global_load_dwordx2 v[9:10], v[9:10], off
	s_waitcnt vmcnt(0)
	v_lshlrev_b32_e32 v21, 16, v9
	v_fmac_f32_e32 v15, v1, v21
	v_and_b32_e32 v1, 0xffff0000, v17
	v_fmac_f32_e32 v16, v1, v21
	v_lshlrev_b32_e32 v1, 16, v18
	v_fmac_f32_e32 v14, v1, v21
	v_and_b32_e32 v1, 0xffff0000, v18
	v_fmac_f32_e32 v13, v1, v21
	v_lshlrev_b32_e32 v1, 16, v19
	v_and_b32_e32 v9, 0xffff0000, v9
	v_fmac_f32_e32 v15, v1, v9
	v_and_b32_e32 v1, 0xffff0000, v19
	v_fmac_f32_e32 v16, v1, v9
	v_lshlrev_b32_e32 v1, 16, v20
	v_fmac_f32_e32 v14, v1, v9
	v_and_b32_e32 v1, 0xffff0000, v20
	global_load_dwordx4 v[17:20], v[2:3], off offset:16
	v_fmac_f32_e32 v13, v1, v9
	v_lshlrev_b32_e32 v9, 16, v10
	s_waitcnt vmcnt(0)
	v_lshlrev_b32_e32 v1, 16, v17
	v_fmac_f32_e32 v15, v1, v9
	v_and_b32_e32 v1, 0xffff0000, v17
	v_fmac_f32_e32 v16, v1, v9
	v_lshlrev_b32_e32 v1, 16, v18
	v_fmac_f32_e32 v14, v1, v9
	v_and_b32_e32 v1, 0xffff0000, v18
	v_fmac_f32_e32 v13, v1, v9
	v_lshlrev_b32_e32 v1, 16, v19
	v_and_b32_e32 v9, 0xffff0000, v10
	v_fmac_f32_e32 v15, v1, v9
	v_and_b32_e32 v1, 0xffff0000, v19
	v_fmac_f32_e32 v16, v1, v9
	v_lshlrev_b32_e32 v1, 16, v20
	v_fmac_f32_e32 v14, v1, v9
	v_and_b32_e32 v1, 0xffff0000, v20
	v_fmac_f32_e32 v13, v1, v9
	global_load_dword v1, v[5:6], off offset:32
	global_load_dwordx4 v[17:20], v[2:3], off offset:256
	s_waitcnt vmcnt(1)
	v_subrev_u32_e32 v1, s20, v1
	v_lshlrev_b32_e32 v9, 2, v1
	v_ashrrev_i32_e32 v10, 31, v9
	v_lshlrev_b64 v[9:10], 1, v[9:10]
	s_waitcnt vmcnt(0)
	v_lshlrev_b32_e32 v1, 16, v17
	v_add_co_u32_e32 v9, vcc, s6, v9
	v_addc_co_u32_e32 v10, vcc, v8, v10, vcc
	global_load_dwordx2 v[9:10], v[9:10], off
	s_waitcnt vmcnt(0)
	v_lshlrev_b32_e32 v21, 16, v9
	v_fmac_f32_e32 v15, v1, v21
	v_and_b32_e32 v1, 0xffff0000, v17
	v_fmac_f32_e32 v16, v1, v21
	v_lshlrev_b32_e32 v1, 16, v18
	v_fmac_f32_e32 v14, v1, v21
	v_and_b32_e32 v1, 0xffff0000, v18
	v_fmac_f32_e32 v13, v1, v21
	v_lshlrev_b32_e32 v1, 16, v19
	v_and_b32_e32 v9, 0xffff0000, v9
	v_fmac_f32_e32 v15, v1, v9
	v_and_b32_e32 v1, 0xffff0000, v19
	v_fmac_f32_e32 v16, v1, v9
	v_lshlrev_b32_e32 v1, 16, v20
	v_fmac_f32_e32 v14, v1, v9
	v_and_b32_e32 v1, 0xffff0000, v20
	global_load_dwordx4 v[17:20], v[2:3], off offset:272
	v_fmac_f32_e32 v13, v1, v9
	v_lshlrev_b32_e32 v9, 16, v10
	s_waitcnt vmcnt(0)
	v_lshlrev_b32_e32 v1, 16, v17
	v_fmac_f32_e32 v15, v1, v9
	v_and_b32_e32 v1, 0xffff0000, v17
	v_fmac_f32_e32 v16, v1, v9
	v_lshlrev_b32_e32 v1, 16, v18
	v_fmac_f32_e32 v14, v1, v9
	v_and_b32_e32 v1, 0xffff0000, v18
	v_fmac_f32_e32 v13, v1, v9
	v_lshlrev_b32_e32 v1, 16, v19
	v_and_b32_e32 v9, 0xffff0000, v10
	v_fmac_f32_e32 v15, v1, v9
	v_and_b32_e32 v1, 0xffff0000, v19
	v_fmac_f32_e32 v16, v1, v9
	v_lshlrev_b32_e32 v1, 16, v20
	v_fmac_f32_e32 v14, v1, v9
	v_and_b32_e32 v1, 0xffff0000, v20
	v_fmac_f32_e32 v13, v1, v9
	global_load_dword v1, v[5:6], off offset:64
	global_load_dwordx4 v[17:20], v[2:3], off offset:512
	s_waitcnt vmcnt(1)
	v_subrev_u32_e32 v1, s20, v1
	v_lshlrev_b32_e32 v9, 2, v1
	v_ashrrev_i32_e32 v10, 31, v9
	v_lshlrev_b64 v[9:10], 1, v[9:10]
	s_waitcnt vmcnt(0)
	;; [unrolled: 50-line block ×3, first 2 shown]
	v_lshlrev_b32_e32 v1, 16, v17
	v_add_co_u32_e32 v5, vcc, s6, v5
	v_addc_co_u32_e32 v6, vcc, v8, v6, vcc
	global_load_dwordx2 v[5:6], v[5:6], off
	s_waitcnt vmcnt(0)
	v_lshlrev_b32_e32 v9, 16, v5
	v_fmac_f32_e32 v15, v1, v9
	v_and_b32_e32 v1, 0xffff0000, v17
	v_fmac_f32_e32 v16, v1, v9
	v_lshlrev_b32_e32 v1, 16, v18
	v_fmac_f32_e32 v14, v1, v9
	v_and_b32_e32 v1, 0xffff0000, v18
	v_fmac_f32_e32 v13, v1, v9
	v_lshlrev_b32_e32 v1, 16, v19
	v_and_b32_e32 v5, 0xffff0000, v5
	v_fmac_f32_e32 v15, v1, v5
	v_and_b32_e32 v1, 0xffff0000, v19
	v_fmac_f32_e32 v16, v1, v5
	v_lshlrev_b32_e32 v1, 16, v20
	v_fmac_f32_e32 v14, v1, v5
	v_and_b32_e32 v1, 0xffff0000, v20
	global_load_dwordx4 v[17:20], v[2:3], off offset:784
	v_fmac_f32_e32 v13, v1, v5
	v_lshlrev_b32_e32 v5, 16, v6
	v_add_co_u32_e32 v2, vcc, 0x400, v2
	v_addc_co_u32_e32 v3, vcc, 0, v3, vcc
	v_cmp_ge_i32_e32 vcc, v0, v12
	s_or_b64 s[8:9], vcc, s[8:9]
	s_waitcnt vmcnt(0)
	v_lshlrev_b32_e32 v1, 16, v17
	v_fmac_f32_e32 v15, v1, v5
	v_and_b32_e32 v1, 0xffff0000, v17
	v_fmac_f32_e32 v16, v1, v5
	v_lshlrev_b32_e32 v1, 16, v18
	v_fmac_f32_e32 v14, v1, v5
	v_and_b32_e32 v1, 0xffff0000, v18
	v_fmac_f32_e32 v13, v1, v5
	v_lshlrev_b32_e32 v1, 16, v19
	v_and_b32_e32 v5, 0xffff0000, v6
	v_fmac_f32_e32 v15, v1, v5
	v_and_b32_e32 v1, 0xffff0000, v19
	v_fmac_f32_e32 v16, v1, v5
	v_lshlrev_b32_e32 v1, 16, v20
	v_fmac_f32_e32 v14, v1, v5
	v_and_b32_e32 v1, 0xffff0000, v20
	v_fmac_f32_e32 v13, v1, v5
	s_andn2_b64 exec, exec, s[8:9]
	s_cbranch_execnz .LBB106_33
; %bb.34:
	s_or_b64 exec, exec, s[8:9]
.LBB106_35:
	s_or_b64 exec, exec, s[0:1]
.LBB106_36:
	s_or_b64 exec, exec, s[2:3]
.LBB106_37:
	v_mov_b32_dpp v0, v15 row_shr:1 row_mask:0xf bank_mask:0xf
	v_mov_b32_dpp v2, v16 row_shr:1 row_mask:0xf bank_mask:0xf
	;; [unrolled: 1-line block ×4, first 2 shown]
	v_add_f32_e32 v0, v15, v0
	v_add_f32_e32 v2, v16, v2
	;; [unrolled: 1-line block ×4, first 2 shown]
	v_mov_b32_dpp v1, v0 row_shr:2 row_mask:0xf bank_mask:0xf
	v_mov_b32_dpp v3, v2 row_shr:2 row_mask:0xf bank_mask:0xf
	;; [unrolled: 1-line block ×4, first 2 shown]
	v_add_f32_e32 v0, v0, v1
	v_add_f32_e32 v2, v2, v3
	;; [unrolled: 1-line block ×4, first 2 shown]
	v_mov_b32_dpp v1, v0 row_shr:4 row_mask:0xf bank_mask:0xe
	v_mov_b32_dpp v3, v2 row_shr:4 row_mask:0xf bank_mask:0xe
	;; [unrolled: 1-line block ×4, first 2 shown]
	v_cmp_eq_u32_e32 vcc, 7, v11
	s_and_b64 exec, exec, vcc
	s_cbranch_execz .LBB106_10
; %bb.38:
	s_load_dwordx2 s[0:1], s[4:5], 0x50
	v_add_f32_e32 v0, v0, v1
	v_add_f32_e32 v1, v2, v3
	;; [unrolled: 1-line block ×4, first 2 shown]
	v_cmp_eq_f32_e64 s[2:3], s16, 0
	s_and_b64 vcc, exec, s[2:3]
	v_mul_f32_e32 v0, s18, v0
	v_mul_f32_e32 v1, s18, v1
	;; [unrolled: 1-line block ×4, first 2 shown]
	v_lshlrev_b32_e32 v4, 2, v4
	s_cbranch_vccz .LBB106_40
; %bb.39:
	v_ashrrev_i32_e32 v5, 31, v4
	v_lshlrev_b64 v[5:6], 2, v[4:5]
	s_waitcnt lgkmcnt(0)
	v_mov_b32_e32 v7, s1
	v_add_co_u32_e32 v5, vcc, s0, v5
	v_addc_co_u32_e32 v6, vcc, v7, v6, vcc
	global_store_dwordx4 v[5:6], v[0:3], off
	s_cbranch_execnz .LBB106_10
	s_branch .LBB106_41
.LBB106_40:
.LBB106_41:
	v_ashrrev_i32_e32 v5, 31, v4
	v_lshlrev_b64 v[4:5], 2, v[4:5]
	s_waitcnt lgkmcnt(0)
	v_mov_b32_e32 v6, s1
	v_add_co_u32_e32 v8, vcc, s0, v4
	v_addc_co_u32_e32 v9, vcc, v6, v5, vcc
	global_load_dwordx4 v[4:7], v[8:9], off
	s_waitcnt vmcnt(0)
	v_fmac_f32_e32 v0, s16, v4
	v_fmac_f32_e32 v1, s16, v5
	;; [unrolled: 1-line block ×4, first 2 shown]
	global_store_dwordx4 v[8:9], v[0:3], off
	s_endpgm
	.section	.rodata,"a",@progbits
	.p2align	6, 0x0
	.amdhsa_kernel _ZN9rocsparseL18bsrxmvn_4x4_kernelILj128ELj8Efii18rocsparse_bfloat16S1_fEEvT3_20rocsparse_direction_NS_24const_host_device_scalarIT1_EES2_PKS2_PKT2_SB_S8_PKT4_PKT5_S6_PT6_21rocsparse_index_base_b
		.amdhsa_group_segment_fixed_size 0
		.amdhsa_private_segment_fixed_size 0
		.amdhsa_kernarg_size 96
		.amdhsa_user_sgpr_count 6
		.amdhsa_user_sgpr_private_segment_buffer 1
		.amdhsa_user_sgpr_dispatch_ptr 0
		.amdhsa_user_sgpr_queue_ptr 0
		.amdhsa_user_sgpr_kernarg_segment_ptr 1
		.amdhsa_user_sgpr_dispatch_id 0
		.amdhsa_user_sgpr_flat_scratch_init 0
		.amdhsa_user_sgpr_private_segment_size 0
		.amdhsa_uses_dynamic_stack 0
		.amdhsa_system_sgpr_private_segment_wavefront_offset 0
		.amdhsa_system_sgpr_workgroup_id_x 1
		.amdhsa_system_sgpr_workgroup_id_y 0
		.amdhsa_system_sgpr_workgroup_id_z 0
		.amdhsa_system_sgpr_workgroup_info 0
		.amdhsa_system_vgpr_workitem_id 0
		.amdhsa_next_free_vgpr 38
		.amdhsa_next_free_sgpr 22
		.amdhsa_reserve_vcc 1
		.amdhsa_reserve_flat_scratch 0
		.amdhsa_float_round_mode_32 0
		.amdhsa_float_round_mode_16_64 0
		.amdhsa_float_denorm_mode_32 3
		.amdhsa_float_denorm_mode_16_64 3
		.amdhsa_dx10_clamp 1
		.amdhsa_ieee_mode 1
		.amdhsa_fp16_overflow 0
		.amdhsa_exception_fp_ieee_invalid_op 0
		.amdhsa_exception_fp_denorm_src 0
		.amdhsa_exception_fp_ieee_div_zero 0
		.amdhsa_exception_fp_ieee_overflow 0
		.amdhsa_exception_fp_ieee_underflow 0
		.amdhsa_exception_fp_ieee_inexact 0
		.amdhsa_exception_int_div_zero 0
	.end_amdhsa_kernel
	.section	.text._ZN9rocsparseL18bsrxmvn_4x4_kernelILj128ELj8Efii18rocsparse_bfloat16S1_fEEvT3_20rocsparse_direction_NS_24const_host_device_scalarIT1_EES2_PKS2_PKT2_SB_S8_PKT4_PKT5_S6_PT6_21rocsparse_index_base_b,"axG",@progbits,_ZN9rocsparseL18bsrxmvn_4x4_kernelILj128ELj8Efii18rocsparse_bfloat16S1_fEEvT3_20rocsparse_direction_NS_24const_host_device_scalarIT1_EES2_PKS2_PKT2_SB_S8_PKT4_PKT5_S6_PT6_21rocsparse_index_base_b,comdat
.Lfunc_end106:
	.size	_ZN9rocsparseL18bsrxmvn_4x4_kernelILj128ELj8Efii18rocsparse_bfloat16S1_fEEvT3_20rocsparse_direction_NS_24const_host_device_scalarIT1_EES2_PKS2_PKT2_SB_S8_PKT4_PKT5_S6_PT6_21rocsparse_index_base_b, .Lfunc_end106-_ZN9rocsparseL18bsrxmvn_4x4_kernelILj128ELj8Efii18rocsparse_bfloat16S1_fEEvT3_20rocsparse_direction_NS_24const_host_device_scalarIT1_EES2_PKS2_PKT2_SB_S8_PKT4_PKT5_S6_PT6_21rocsparse_index_base_b
                                        ; -- End function
	.set _ZN9rocsparseL18bsrxmvn_4x4_kernelILj128ELj8Efii18rocsparse_bfloat16S1_fEEvT3_20rocsparse_direction_NS_24const_host_device_scalarIT1_EES2_PKS2_PKT2_SB_S8_PKT4_PKT5_S6_PT6_21rocsparse_index_base_b.num_vgpr, 38
	.set _ZN9rocsparseL18bsrxmvn_4x4_kernelILj128ELj8Efii18rocsparse_bfloat16S1_fEEvT3_20rocsparse_direction_NS_24const_host_device_scalarIT1_EES2_PKS2_PKT2_SB_S8_PKT4_PKT5_S6_PT6_21rocsparse_index_base_b.num_agpr, 0
	.set _ZN9rocsparseL18bsrxmvn_4x4_kernelILj128ELj8Efii18rocsparse_bfloat16S1_fEEvT3_20rocsparse_direction_NS_24const_host_device_scalarIT1_EES2_PKS2_PKT2_SB_S8_PKT4_PKT5_S6_PT6_21rocsparse_index_base_b.numbered_sgpr, 22
	.set _ZN9rocsparseL18bsrxmvn_4x4_kernelILj128ELj8Efii18rocsparse_bfloat16S1_fEEvT3_20rocsparse_direction_NS_24const_host_device_scalarIT1_EES2_PKS2_PKT2_SB_S8_PKT4_PKT5_S6_PT6_21rocsparse_index_base_b.num_named_barrier, 0
	.set _ZN9rocsparseL18bsrxmvn_4x4_kernelILj128ELj8Efii18rocsparse_bfloat16S1_fEEvT3_20rocsparse_direction_NS_24const_host_device_scalarIT1_EES2_PKS2_PKT2_SB_S8_PKT4_PKT5_S6_PT6_21rocsparse_index_base_b.private_seg_size, 0
	.set _ZN9rocsparseL18bsrxmvn_4x4_kernelILj128ELj8Efii18rocsparse_bfloat16S1_fEEvT3_20rocsparse_direction_NS_24const_host_device_scalarIT1_EES2_PKS2_PKT2_SB_S8_PKT4_PKT5_S6_PT6_21rocsparse_index_base_b.uses_vcc, 1
	.set _ZN9rocsparseL18bsrxmvn_4x4_kernelILj128ELj8Efii18rocsparse_bfloat16S1_fEEvT3_20rocsparse_direction_NS_24const_host_device_scalarIT1_EES2_PKS2_PKT2_SB_S8_PKT4_PKT5_S6_PT6_21rocsparse_index_base_b.uses_flat_scratch, 0
	.set _ZN9rocsparseL18bsrxmvn_4x4_kernelILj128ELj8Efii18rocsparse_bfloat16S1_fEEvT3_20rocsparse_direction_NS_24const_host_device_scalarIT1_EES2_PKS2_PKT2_SB_S8_PKT4_PKT5_S6_PT6_21rocsparse_index_base_b.has_dyn_sized_stack, 0
	.set _ZN9rocsparseL18bsrxmvn_4x4_kernelILj128ELj8Efii18rocsparse_bfloat16S1_fEEvT3_20rocsparse_direction_NS_24const_host_device_scalarIT1_EES2_PKS2_PKT2_SB_S8_PKT4_PKT5_S6_PT6_21rocsparse_index_base_b.has_recursion, 0
	.set _ZN9rocsparseL18bsrxmvn_4x4_kernelILj128ELj8Efii18rocsparse_bfloat16S1_fEEvT3_20rocsparse_direction_NS_24const_host_device_scalarIT1_EES2_PKS2_PKT2_SB_S8_PKT4_PKT5_S6_PT6_21rocsparse_index_base_b.has_indirect_call, 0
	.section	.AMDGPU.csdata,"",@progbits
; Kernel info:
; codeLenInByte = 3936
; TotalNumSgprs: 26
; NumVgprs: 38
; ScratchSize: 0
; MemoryBound: 0
; FloatMode: 240
; IeeeMode: 1
; LDSByteSize: 0 bytes/workgroup (compile time only)
; SGPRBlocks: 3
; VGPRBlocks: 9
; NumSGPRsForWavesPerEU: 26
; NumVGPRsForWavesPerEU: 38
; Occupancy: 6
; WaveLimiterHint : 1
; COMPUTE_PGM_RSRC2:SCRATCH_EN: 0
; COMPUTE_PGM_RSRC2:USER_SGPR: 6
; COMPUTE_PGM_RSRC2:TRAP_HANDLER: 0
; COMPUTE_PGM_RSRC2:TGID_X_EN: 1
; COMPUTE_PGM_RSRC2:TGID_Y_EN: 0
; COMPUTE_PGM_RSRC2:TGID_Z_EN: 0
; COMPUTE_PGM_RSRC2:TIDIG_COMP_CNT: 0
	.section	.text._ZN9rocsparseL18bsrxmvn_4x4_kernelILj128ELj16Efii18rocsparse_bfloat16S1_fEEvT3_20rocsparse_direction_NS_24const_host_device_scalarIT1_EES2_PKS2_PKT2_SB_S8_PKT4_PKT5_S6_PT6_21rocsparse_index_base_b,"axG",@progbits,_ZN9rocsparseL18bsrxmvn_4x4_kernelILj128ELj16Efii18rocsparse_bfloat16S1_fEEvT3_20rocsparse_direction_NS_24const_host_device_scalarIT1_EES2_PKS2_PKT2_SB_S8_PKT4_PKT5_S6_PT6_21rocsparse_index_base_b,comdat
	.globl	_ZN9rocsparseL18bsrxmvn_4x4_kernelILj128ELj16Efii18rocsparse_bfloat16S1_fEEvT3_20rocsparse_direction_NS_24const_host_device_scalarIT1_EES2_PKS2_PKT2_SB_S8_PKT4_PKT5_S6_PT6_21rocsparse_index_base_b ; -- Begin function _ZN9rocsparseL18bsrxmvn_4x4_kernelILj128ELj16Efii18rocsparse_bfloat16S1_fEEvT3_20rocsparse_direction_NS_24const_host_device_scalarIT1_EES2_PKS2_PKT2_SB_S8_PKT4_PKT5_S6_PT6_21rocsparse_index_base_b
	.p2align	8
	.type	_ZN9rocsparseL18bsrxmvn_4x4_kernelILj128ELj16Efii18rocsparse_bfloat16S1_fEEvT3_20rocsparse_direction_NS_24const_host_device_scalarIT1_EES2_PKS2_PKT2_SB_S8_PKT4_PKT5_S6_PT6_21rocsparse_index_base_b,@function
_ZN9rocsparseL18bsrxmvn_4x4_kernelILj128ELj16Efii18rocsparse_bfloat16S1_fEEvT3_20rocsparse_direction_NS_24const_host_device_scalarIT1_EES2_PKS2_PKT2_SB_S8_PKT4_PKT5_S6_PT6_21rocsparse_index_base_b: ; @_ZN9rocsparseL18bsrxmvn_4x4_kernelILj128ELj16Efii18rocsparse_bfloat16S1_fEEvT3_20rocsparse_direction_NS_24const_host_device_scalarIT1_EES2_PKS2_PKT2_SB_S8_PKT4_PKT5_S6_PT6_21rocsparse_index_base_b
; %bb.0:
	s_load_dwordx2 s[20:21], s[4:5], 0x58
	s_load_dwordx2 s[18:19], s[4:5], 0x8
	;; [unrolled: 1-line block ×3, first 2 shown]
	s_waitcnt lgkmcnt(0)
	s_bitcmp1_b32 s21, 0
	s_cselect_b64 s[2:3], -1, 0
	s_xor_b64 s[0:1], s[2:3], -1
	s_and_b64 vcc, exec, s[2:3]
	s_cbranch_vccnz .LBB107_2
; %bb.1:
	s_load_dword s18, s[18:19], 0x0
.LBB107_2:
	s_andn2_b64 vcc, exec, s[0:1]
	s_cbranch_vccnz .LBB107_4
; %bb.3:
	s_load_dword s16, s[16:17], 0x0
.LBB107_4:
	s_waitcnt lgkmcnt(0)
	v_cmp_neq_f32_e64 s[0:1], s18, 0
	v_cmp_neq_f32_e64 s[2:3], s16, 1.0
	s_or_b64 s[0:1], s[0:1], s[2:3]
	s_andn2_b64 vcc, exec, s[0:1]
	s_cbranch_vccnz .LBB107_10
; %bb.5:
	s_load_dwordx2 s[8:9], s[4:5], 0x18
	s_load_dwordx2 s[0:1], s[4:5], 0x0
	v_lshrrev_b32_e32 v1, 4, v0
	v_lshl_or_b32 v4, s6, 3, v1
	s_mov_b64 s[2:3], 0
	s_waitcnt lgkmcnt(0)
	s_cmp_lg_u64 s[8:9], 0
	s_cbranch_scc0 .LBB107_11
; %bb.6:
	s_load_dword s6, s[4:5], 0x10
                                        ; implicit-def: $vgpr1
	s_waitcnt lgkmcnt(0)
	v_cmp_gt_i32_e32 vcc, s6, v4
	s_and_saveexec_b64 s[6:7], vcc
	s_xor_b64 s[6:7], exec, s[6:7]
	s_cbranch_execz .LBB107_8
; %bb.7:
	v_ashrrev_i32_e32 v5, 31, v4
	v_lshlrev_b64 v[1:2], 2, v[4:5]
	v_mov_b32_e32 v3, s9
	v_add_co_u32_e32 v1, vcc, s8, v1
	v_addc_co_u32_e32 v2, vcc, v3, v2, vcc
	global_load_dword v1, v[1:2], off
	s_mov_b64 s[2:3], exec
	s_waitcnt vmcnt(0)
	v_subrev_u32_e32 v1, s20, v1
.LBB107_8:
	s_or_b64 exec, exec, s[6:7]
	s_branch .LBB107_12
.LBB107_9:
	v_cmp_gt_i32_e32 vcc, s0, v4
	s_andn2_b64 s[2:3], s[2:3], exec
	s_and_b64 s[6:7], vcc, exec
	s_or_b64 s[2:3], s[2:3], s[6:7]
	s_and_saveexec_b64 s[6:7], s[2:3]
	s_cbranch_execnz .LBB107_13
.LBB107_10:
	s_endpgm
.LBB107_11:
                                        ; implicit-def: $vgpr1
	s_cbranch_execnz .LBB107_9
.LBB107_12:
	v_mov_b32_e32 v4, v1
	s_and_saveexec_b64 s[6:7], s[2:3]
	s_cbranch_execz .LBB107_10
.LBB107_13:
	s_load_dwordx8 s[8:15], s[4:5], 0x20
	v_ashrrev_i32_e32 v5, 31, v4
	v_lshlrev_b64 v[1:2], 2, v[4:5]
	v_and_b32_e32 v11, 15, v0
	s_load_dwordx2 s[6:7], s[4:5], 0x40
	s_waitcnt lgkmcnt(0)
	v_mov_b32_e32 v3, s9
	v_add_co_u32_e32 v5, vcc, s8, v1
	v_addc_co_u32_e32 v6, vcc, v3, v2, vcc
	v_add_co_u32_e32 v3, vcc, 4, v5
	global_load_dword v17, v[5:6], off
	v_addc_co_u32_e32 v5, vcc, 0, v6, vcc
	v_mov_b32_e32 v6, s11
	v_add_co_u32_e32 v1, vcc, s10, v1
	s_cmp_eq_u64 s[10:11], 0
	v_addc_co_u32_e32 v2, vcc, v6, v2, vcc
	s_cselect_b64 vcc, -1, 0
	v_cndmask_b32_e32 v2, v2, v5, vcc
	v_cndmask_b32_e32 v1, v1, v3, vcc
	global_load_dword v1, v[1:2], off
	v_mov_b32_e32 v5, s15
	s_cmp_eq_u32 s1, 1
	s_waitcnt vmcnt(1)
	v_subrev_u32_e32 v0, s20, v17
	v_add_u32_e32 v0, v0, v11
	s_waitcnt vmcnt(0)
	v_subrev_u32_e32 v12, s20, v1
	v_ashrrev_i32_e32 v1, 31, v0
	v_lshlrev_b64 v[2:3], 5, v[0:1]
	v_cmp_lt_i32_e64 s[0:1], v0, v12
	v_add_co_u32_e32 v2, vcc, s14, v2
	v_addc_co_u32_e32 v3, vcc, v5, v3, vcc
	s_cbranch_scc1 .LBB107_25
; %bb.14:
	v_mov_b32_e32 v13, 0
	v_mov_b32_e32 v14, 0
	;; [unrolled: 1-line block ×4, first 2 shown]
	s_and_saveexec_b64 s[8:9], s[0:1]
	s_cbranch_execz .LBB107_24
; %bb.15:
	v_add_u32_e32 v1, v17, v11
	v_subrev_u32_e32 v1, s20, v1
	v_add_u32_e32 v1, 16, v1
	v_max_i32_e32 v1, v1, v12
	v_not_b32_e32 v5, v17
	v_add3_u32 v1, s20, v1, v5
	v_sub_u32_e32 v1, v1, v11
	v_and_b32_e32 v5, 48, v1
	v_mov_b32_e32 v8, v3
	v_cmp_ne_u32_e32 vcc, 48, v5
	v_mov_b32_e32 v16, 0
	v_mov_b32_e32 v15, 0
	v_mov_b32_e32 v14, 0
	v_mov_b32_e32 v13, 0
	v_mov_b32_e32 v5, v0
	v_mov_b32_e32 v7, v2
	s_and_saveexec_b64 s[10:11], vcc
	s_cbranch_execz .LBB107_19
; %bb.16:
	v_lshrrev_b32_e32 v5, 4, v1
	v_add_u32_e32 v5, 1, v5
	v_and_b32_e32 v5, 3, v5
	v_mov_b32_e32 v8, v3
	v_sub_u32_e32 v9, 0, v5
	v_mov_b32_e32 v13, 0
	s_mov_b64 s[14:15], 0
	v_mov_b32_e32 v10, s13
	v_mov_b32_e32 v18, s7
	v_mov_b32_e32 v7, v2
	v_mov_b32_e32 v5, v0
	v_mov_b32_e32 v14, 0
	v_mov_b32_e32 v15, 0
	v_mov_b32_e32 v16, 0
.LBB107_17:                             ; =>This Inner Loop Header: Depth=1
	v_ashrrev_i32_e32 v6, 31, v5
	v_lshlrev_b64 v[19:20], 2, v[5:6]
	v_add_co_u32_e64 v9, s[2:3], 1, v9
	v_add_co_u32_e32 v27, vcc, s12, v19
	v_addc_co_u32_e32 v28, vcc, v10, v20, vcc
	global_load_dword v6, v[27:28], off
	global_load_dwordx4 v[19:22], v[7:8], off
	global_load_dwordx4 v[23:26], v[7:8], off offset:16
	v_add_u32_e32 v5, 16, v5
	s_or_b64 s[14:15], s[2:3], s[14:15]
	s_waitcnt vmcnt(2)
	v_subrev_u32_e32 v6, s20, v6
	v_lshlrev_b32_e32 v27, 2, v6
	v_ashrrev_i32_e32 v28, 31, v27
	v_lshlrev_b64 v[27:28], 1, v[27:28]
	s_waitcnt vmcnt(1)
	v_lshlrev_b32_e32 v6, 16, v19
	v_add_co_u32_e32 v27, vcc, s6, v27
	v_addc_co_u32_e32 v28, vcc, v18, v28, vcc
	global_load_dwordx2 v[27:28], v[27:28], off
	v_lshlrev_b32_e32 v30, 16, v21
	s_waitcnt vmcnt(1)
	v_lshlrev_b32_e32 v32, 16, v23
	v_lshlrev_b32_e32 v34, 16, v25
	v_and_b32_e32 v19, 0xffff0000, v19
	v_and_b32_e32 v21, 0xffff0000, v21
	;; [unrolled: 1-line block ×4, first 2 shown]
	v_lshlrev_b32_e32 v29, 16, v20
	v_lshlrev_b32_e32 v31, 16, v22
	;; [unrolled: 1-line block ×4, first 2 shown]
	v_add_co_u32_e32 v7, vcc, 0x200, v7
	v_and_b32_e32 v20, 0xffff0000, v20
	v_and_b32_e32 v22, 0xffff0000, v22
	;; [unrolled: 1-line block ×4, first 2 shown]
	v_addc_co_u32_e32 v8, vcc, 0, v8, vcc
	s_waitcnt vmcnt(0)
	v_lshlrev_b32_e32 v36, 16, v27
	v_and_b32_e32 v27, 0xffff0000, v27
	v_fmac_f32_e32 v16, v6, v36
	v_fmac_f32_e32 v15, v30, v36
	;; [unrolled: 1-line block ×4, first 2 shown]
	v_lshlrev_b32_e32 v37, 16, v28
	v_fmac_f32_e32 v16, v19, v27
	v_fmac_f32_e32 v15, v21, v27
	;; [unrolled: 1-line block ×4, first 2 shown]
	v_and_b32_e32 v28, 0xffff0000, v28
	v_fmac_f32_e32 v16, v29, v37
	v_fmac_f32_e32 v15, v31, v37
	v_fmac_f32_e32 v14, v33, v37
	v_fmac_f32_e32 v13, v35, v37
	v_fmac_f32_e32 v16, v20, v28
	v_fmac_f32_e32 v15, v22, v28
	v_fmac_f32_e32 v14, v24, v28
	v_fmac_f32_e32 v13, v26, v28
	s_andn2_b64 exec, exec, s[14:15]
	s_cbranch_execnz .LBB107_17
; %bb.18:
	s_or_b64 exec, exec, s[14:15]
.LBB107_19:
	s_or_b64 exec, exec, s[10:11]
	v_cmp_lt_u32_e32 vcc, 47, v1
	s_and_saveexec_b64 s[2:3], vcc
	s_cbranch_execz .LBB107_23
; %bb.20:
	s_mov_b64 s[10:11], 0
	v_mov_b32_e32 v1, s13
	v_mov_b32_e32 v18, s7
.LBB107_21:                             ; =>This Inner Loop Header: Depth=1
	v_ashrrev_i32_e32 v6, 31, v5
	v_lshlrev_b64 v[9:10], 2, v[5:6]
	global_load_dwordx4 v[19:22], v[7:8], off
	v_add_co_u32_e32 v9, vcc, s12, v9
	v_addc_co_u32_e32 v10, vcc, v1, v10, vcc
	global_load_dword v6, v[9:10], off
	v_add_u32_e32 v5, 64, v5
	s_waitcnt vmcnt(0)
	v_subrev_u32_e32 v6, s20, v6
	v_lshlrev_b32_e32 v23, 2, v6
	v_ashrrev_i32_e32 v24, 31, v23
	v_lshlrev_b64 v[23:24], 1, v[23:24]
	v_lshlrev_b32_e32 v6, 16, v19
	v_add_co_u32_e32 v23, vcc, s6, v23
	v_addc_co_u32_e32 v24, vcc, v18, v24, vcc
	global_load_dwordx2 v[23:24], v[23:24], off
	s_waitcnt vmcnt(0)
	v_lshlrev_b32_e32 v25, 16, v23
	v_fmac_f32_e32 v16, v6, v25
	v_and_b32_e32 v6, 0xffff0000, v19
	v_and_b32_e32 v23, 0xffff0000, v23
	v_fmac_f32_e32 v16, v6, v23
	v_lshlrev_b32_e32 v6, 16, v20
	v_lshlrev_b32_e32 v26, 16, v24
	v_fmac_f32_e32 v16, v6, v26
	v_and_b32_e32 v6, 0xffff0000, v20
	v_and_b32_e32 v24, 0xffff0000, v24
	v_fmac_f32_e32 v16, v6, v24
	v_lshlrev_b32_e32 v6, 16, v21
	v_fmac_f32_e32 v15, v6, v25
	v_and_b32_e32 v6, 0xffff0000, v21
	v_fmac_f32_e32 v15, v6, v23
	v_lshlrev_b32_e32 v6, 16, v22
	v_fmac_f32_e32 v15, v6, v26
	v_and_b32_e32 v6, 0xffff0000, v22
	global_load_dwordx4 v[19:22], v[7:8], off offset:16
	v_fmac_f32_e32 v15, v6, v24
	s_waitcnt vmcnt(0)
	v_lshlrev_b32_e32 v6, 16, v19
	v_fmac_f32_e32 v14, v6, v25
	v_and_b32_e32 v6, 0xffff0000, v19
	v_fmac_f32_e32 v14, v6, v23
	v_lshlrev_b32_e32 v6, 16, v20
	v_fmac_f32_e32 v14, v6, v26
	v_and_b32_e32 v6, 0xffff0000, v20
	v_fmac_f32_e32 v14, v6, v24
	v_lshlrev_b32_e32 v6, 16, v21
	v_fmac_f32_e32 v13, v6, v25
	v_and_b32_e32 v6, 0xffff0000, v21
	v_fmac_f32_e32 v13, v6, v23
	v_lshlrev_b32_e32 v6, 16, v22
	v_fmac_f32_e32 v13, v6, v26
	v_and_b32_e32 v6, 0xffff0000, v22
	v_fmac_f32_e32 v13, v6, v24
	global_load_dword v6, v[9:10], off offset:64
	global_load_dwordx4 v[19:22], v[7:8], off offset:512
	s_waitcnt vmcnt(1)
	v_subrev_u32_e32 v6, s20, v6
	v_lshlrev_b32_e32 v23, 2, v6
	v_ashrrev_i32_e32 v24, 31, v23
	v_lshlrev_b64 v[23:24], 1, v[23:24]
	s_waitcnt vmcnt(0)
	v_lshlrev_b32_e32 v6, 16, v19
	v_add_co_u32_e32 v23, vcc, s6, v23
	v_addc_co_u32_e32 v24, vcc, v18, v24, vcc
	global_load_dwordx2 v[23:24], v[23:24], off
	s_waitcnt vmcnt(0)
	v_lshlrev_b32_e32 v25, 16, v23
	v_fmac_f32_e32 v16, v6, v25
	v_and_b32_e32 v6, 0xffff0000, v19
	v_and_b32_e32 v23, 0xffff0000, v23
	v_fmac_f32_e32 v16, v6, v23
	v_lshlrev_b32_e32 v6, 16, v20
	v_lshlrev_b32_e32 v26, 16, v24
	v_fmac_f32_e32 v16, v6, v26
	v_and_b32_e32 v6, 0xffff0000, v20
	v_and_b32_e32 v24, 0xffff0000, v24
	v_fmac_f32_e32 v16, v6, v24
	v_lshlrev_b32_e32 v6, 16, v21
	v_fmac_f32_e32 v15, v6, v25
	v_and_b32_e32 v6, 0xffff0000, v21
	v_fmac_f32_e32 v15, v6, v23
	v_lshlrev_b32_e32 v6, 16, v22
	v_fmac_f32_e32 v15, v6, v26
	v_and_b32_e32 v6, 0xffff0000, v22
	global_load_dwordx4 v[19:22], v[7:8], off offset:528
	v_fmac_f32_e32 v15, v6, v24
	s_waitcnt vmcnt(0)
	v_lshlrev_b32_e32 v6, 16, v19
	v_fmac_f32_e32 v14, v6, v25
	v_and_b32_e32 v6, 0xffff0000, v19
	v_fmac_f32_e32 v14, v6, v23
	v_lshlrev_b32_e32 v6, 16, v20
	v_fmac_f32_e32 v14, v6, v26
	v_and_b32_e32 v6, 0xffff0000, v20
	v_fmac_f32_e32 v14, v6, v24
	v_lshlrev_b32_e32 v6, 16, v21
	v_fmac_f32_e32 v13, v6, v25
	v_and_b32_e32 v6, 0xffff0000, v21
	v_fmac_f32_e32 v13, v6, v23
	v_lshlrev_b32_e32 v6, 16, v22
	v_fmac_f32_e32 v13, v6, v26
	v_and_b32_e32 v6, 0xffff0000, v22
	v_fmac_f32_e32 v13, v6, v24
	global_load_dword v6, v[9:10], off offset:128
	global_load_dwordx4 v[19:22], v[7:8], off offset:1024
	s_waitcnt vmcnt(1)
	v_subrev_u32_e32 v6, s20, v6
	v_lshlrev_b32_e32 v23, 2, v6
	v_ashrrev_i32_e32 v24, 31, v23
	v_lshlrev_b64 v[23:24], 1, v[23:24]
	s_waitcnt vmcnt(0)
	;; [unrolled: 50-line block ×3, first 2 shown]
	v_lshlrev_b32_e32 v6, 16, v19
	v_add_co_u32_e32 v9, vcc, s6, v9
	v_addc_co_u32_e32 v10, vcc, v18, v10, vcc
	global_load_dwordx2 v[9:10], v[9:10], off
	s_waitcnt vmcnt(0)
	v_lshlrev_b32_e32 v23, 16, v9
	v_fmac_f32_e32 v16, v6, v23
	v_and_b32_e32 v6, 0xffff0000, v19
	v_and_b32_e32 v9, 0xffff0000, v9
	v_fmac_f32_e32 v16, v6, v9
	v_lshlrev_b32_e32 v6, 16, v20
	v_lshlrev_b32_e32 v24, 16, v10
	v_fmac_f32_e32 v16, v6, v24
	v_and_b32_e32 v6, 0xffff0000, v20
	v_and_b32_e32 v10, 0xffff0000, v10
	v_fmac_f32_e32 v16, v6, v10
	v_lshlrev_b32_e32 v6, 16, v21
	v_fmac_f32_e32 v15, v6, v23
	v_and_b32_e32 v6, 0xffff0000, v21
	v_fmac_f32_e32 v15, v6, v9
	v_lshlrev_b32_e32 v6, 16, v22
	v_fmac_f32_e32 v15, v6, v24
	v_and_b32_e32 v6, 0xffff0000, v22
	global_load_dwordx4 v[19:22], v[7:8], off offset:1552
	v_fmac_f32_e32 v15, v6, v10
	v_add_co_u32_e32 v7, vcc, 0x800, v7
	v_addc_co_u32_e32 v8, vcc, 0, v8, vcc
	v_cmp_ge_i32_e32 vcc, v5, v12
	s_or_b64 s[10:11], vcc, s[10:11]
	s_waitcnt vmcnt(0)
	v_lshlrev_b32_e32 v6, 16, v19
	v_fmac_f32_e32 v14, v6, v23
	v_and_b32_e32 v6, 0xffff0000, v19
	v_fmac_f32_e32 v14, v6, v9
	v_lshlrev_b32_e32 v6, 16, v20
	v_fmac_f32_e32 v14, v6, v24
	v_and_b32_e32 v6, 0xffff0000, v20
	v_fmac_f32_e32 v14, v6, v10
	;; [unrolled: 4-line block ×4, first 2 shown]
	s_andn2_b64 exec, exec, s[10:11]
	s_cbranch_execnz .LBB107_21
; %bb.22:
	s_or_b64 exec, exec, s[10:11]
.LBB107_23:
	s_or_b64 exec, exec, s[2:3]
.LBB107_24:
	s_or_b64 exec, exec, s[8:9]
	s_cbranch_execz .LBB107_26
	s_branch .LBB107_37
.LBB107_25:
                                        ; implicit-def: $vgpr13
                                        ; implicit-def: $vgpr14
                                        ; implicit-def: $vgpr15
                                        ; implicit-def: $vgpr16
.LBB107_26:
	v_mov_b32_e32 v13, 0
	v_mov_b32_e32 v14, 0
	;; [unrolled: 1-line block ×4, first 2 shown]
	s_and_saveexec_b64 s[2:3], s[0:1]
	s_cbranch_execz .LBB107_36
; %bb.27:
	v_add_u32_e32 v1, v17, v11
	v_subrev_u32_e32 v1, s20, v1
	v_add_u32_e32 v1, 16, v1
	v_max_i32_e32 v1, v1, v12
	v_not_b32_e32 v5, v17
	v_add3_u32 v1, s20, v1, v5
	v_sub_u32_e32 v5, v1, v11
	v_and_b32_e32 v1, 48, v5
	v_cmp_ne_u32_e32 vcc, 48, v1
	v_mov_b32_e32 v16, 0
	v_mov_b32_e32 v15, 0
	;; [unrolled: 1-line block ×4, first 2 shown]
	s_and_saveexec_b64 s[8:9], vcc
	s_cbranch_execz .LBB107_31
; %bb.28:
	v_lshrrev_b32_e32 v1, 4, v5
	v_add_u32_e32 v1, 1, v1
	v_and_b32_e32 v1, 3, v1
	v_sub_u32_e32 v6, 0, v1
	v_mov_b32_e32 v13, 0
	s_mov_b64 s[10:11], 0
	v_mov_b32_e32 v7, s13
	v_mov_b32_e32 v8, s7
	;; [unrolled: 1-line block ×5, first 2 shown]
.LBB107_29:                             ; =>This Inner Loop Header: Depth=1
	v_ashrrev_i32_e32 v1, 31, v0
	v_lshlrev_b64 v[9:10], 2, v[0:1]
	v_add_co_u32_e64 v6, s[0:1], 1, v6
	v_add_co_u32_e32 v9, vcc, s12, v9
	v_addc_co_u32_e32 v10, vcc, v7, v10, vcc
	global_load_dword v1, v[9:10], off
	global_load_dwordx4 v[17:20], v[2:3], off
	v_add_u32_e32 v0, 16, v0
	s_or_b64 s[10:11], s[0:1], s[10:11]
	s_waitcnt vmcnt(1)
	v_subrev_u32_e32 v1, s20, v1
	v_lshlrev_b32_e32 v9, 2, v1
	v_ashrrev_i32_e32 v10, 31, v9
	v_lshlrev_b64 v[9:10], 1, v[9:10]
	s_waitcnt vmcnt(0)
	v_lshlrev_b32_e32 v1, 16, v17
	v_add_co_u32_e32 v9, vcc, s6, v9
	v_addc_co_u32_e32 v10, vcc, v8, v10, vcc
	global_load_dwordx2 v[25:26], v[9:10], off
	global_load_dwordx4 v[21:24], v[2:3], off offset:16
	v_and_b32_e32 v9, 0xffff0000, v17
	v_lshlrev_b32_e32 v10, 16, v18
	v_and_b32_e32 v17, 0xffff0000, v18
	v_lshlrev_b32_e32 v18, 16, v19
	;; [unrolled: 2-line block ×3, first 2 shown]
	v_and_b32_e32 v20, 0xffff0000, v20
	v_add_co_u32_e32 v2, vcc, 0x200, v2
	v_addc_co_u32_e32 v3, vcc, 0, v3, vcc
	s_waitcnt vmcnt(1)
	v_lshlrev_b32_e32 v32, 16, v25
	v_and_b32_e32 v25, 0xffff0000, v25
	v_fmac_f32_e32 v16, v1, v32
	v_fmac_f32_e32 v15, v9, v32
	;; [unrolled: 1-line block ×4, first 2 shown]
	s_waitcnt vmcnt(0)
	v_lshlrev_b32_e32 v28, 16, v21
	v_and_b32_e32 v21, 0xffff0000, v21
	v_lshlrev_b32_e32 v29, 16, v22
	v_and_b32_e32 v22, 0xffff0000, v22
	v_lshlrev_b32_e32 v33, 16, v26
	v_fmac_f32_e32 v16, v18, v25
	v_fmac_f32_e32 v15, v19, v25
	;; [unrolled: 1-line block ×4, first 2 shown]
	v_lshlrev_b32_e32 v30, 16, v23
	v_and_b32_e32 v23, 0xffff0000, v23
	v_lshlrev_b32_e32 v31, 16, v24
	v_and_b32_e32 v24, 0xffff0000, v24
	v_and_b32_e32 v26, 0xffff0000, v26
	v_fmac_f32_e32 v16, v28, v33
	v_fmac_f32_e32 v15, v21, v33
	;; [unrolled: 1-line block ×8, first 2 shown]
	s_andn2_b64 exec, exec, s[10:11]
	s_cbranch_execnz .LBB107_29
; %bb.30:
	s_or_b64 exec, exec, s[10:11]
.LBB107_31:
	s_or_b64 exec, exec, s[8:9]
	v_cmp_lt_u32_e32 vcc, 47, v5
	s_and_saveexec_b64 s[0:1], vcc
	s_cbranch_execz .LBB107_35
; %bb.32:
	s_mov_b64 s[8:9], 0
	v_mov_b32_e32 v7, s13
	v_mov_b32_e32 v8, s7
.LBB107_33:                             ; =>This Inner Loop Header: Depth=1
	v_ashrrev_i32_e32 v1, 31, v0
	v_lshlrev_b64 v[5:6], 2, v[0:1]
	global_load_dwordx4 v[17:20], v[2:3], off
	v_add_co_u32_e32 v5, vcc, s12, v5
	v_addc_co_u32_e32 v6, vcc, v7, v6, vcc
	global_load_dword v1, v[5:6], off
	v_add_u32_e32 v0, 64, v0
	s_waitcnt vmcnt(0)
	v_subrev_u32_e32 v1, s20, v1
	v_lshlrev_b32_e32 v9, 2, v1
	v_ashrrev_i32_e32 v10, 31, v9
	v_lshlrev_b64 v[9:10], 1, v[9:10]
	v_lshlrev_b32_e32 v1, 16, v17
	v_add_co_u32_e32 v9, vcc, s6, v9
	v_addc_co_u32_e32 v10, vcc, v8, v10, vcc
	global_load_dwordx2 v[9:10], v[9:10], off
	s_waitcnt vmcnt(0)
	v_lshlrev_b32_e32 v21, 16, v9
	v_fmac_f32_e32 v16, v1, v21
	v_and_b32_e32 v1, 0xffff0000, v17
	v_fmac_f32_e32 v15, v1, v21
	v_lshlrev_b32_e32 v1, 16, v18
	v_fmac_f32_e32 v14, v1, v21
	v_and_b32_e32 v1, 0xffff0000, v18
	v_fmac_f32_e32 v13, v1, v21
	v_lshlrev_b32_e32 v1, 16, v19
	v_and_b32_e32 v9, 0xffff0000, v9
	v_fmac_f32_e32 v16, v1, v9
	v_and_b32_e32 v1, 0xffff0000, v19
	v_fmac_f32_e32 v15, v1, v9
	v_lshlrev_b32_e32 v1, 16, v20
	v_fmac_f32_e32 v14, v1, v9
	v_and_b32_e32 v1, 0xffff0000, v20
	global_load_dwordx4 v[17:20], v[2:3], off offset:16
	v_fmac_f32_e32 v13, v1, v9
	v_lshlrev_b32_e32 v9, 16, v10
	s_waitcnt vmcnt(0)
	v_lshlrev_b32_e32 v1, 16, v17
	v_fmac_f32_e32 v16, v1, v9
	v_and_b32_e32 v1, 0xffff0000, v17
	v_fmac_f32_e32 v15, v1, v9
	v_lshlrev_b32_e32 v1, 16, v18
	v_fmac_f32_e32 v14, v1, v9
	v_and_b32_e32 v1, 0xffff0000, v18
	v_fmac_f32_e32 v13, v1, v9
	v_lshlrev_b32_e32 v1, 16, v19
	v_and_b32_e32 v9, 0xffff0000, v10
	v_fmac_f32_e32 v16, v1, v9
	v_and_b32_e32 v1, 0xffff0000, v19
	v_fmac_f32_e32 v15, v1, v9
	v_lshlrev_b32_e32 v1, 16, v20
	v_fmac_f32_e32 v14, v1, v9
	v_and_b32_e32 v1, 0xffff0000, v20
	v_fmac_f32_e32 v13, v1, v9
	global_load_dword v1, v[5:6], off offset:64
	global_load_dwordx4 v[17:20], v[2:3], off offset:512
	s_waitcnt vmcnt(1)
	v_subrev_u32_e32 v1, s20, v1
	v_lshlrev_b32_e32 v9, 2, v1
	v_ashrrev_i32_e32 v10, 31, v9
	v_lshlrev_b64 v[9:10], 1, v[9:10]
	s_waitcnt vmcnt(0)
	v_lshlrev_b32_e32 v1, 16, v17
	v_add_co_u32_e32 v9, vcc, s6, v9
	v_addc_co_u32_e32 v10, vcc, v8, v10, vcc
	global_load_dwordx2 v[9:10], v[9:10], off
	s_waitcnt vmcnt(0)
	v_lshlrev_b32_e32 v21, 16, v9
	v_fmac_f32_e32 v16, v1, v21
	v_and_b32_e32 v1, 0xffff0000, v17
	v_fmac_f32_e32 v15, v1, v21
	v_lshlrev_b32_e32 v1, 16, v18
	v_fmac_f32_e32 v14, v1, v21
	v_and_b32_e32 v1, 0xffff0000, v18
	v_fmac_f32_e32 v13, v1, v21
	v_lshlrev_b32_e32 v1, 16, v19
	v_and_b32_e32 v9, 0xffff0000, v9
	v_fmac_f32_e32 v16, v1, v9
	v_and_b32_e32 v1, 0xffff0000, v19
	v_fmac_f32_e32 v15, v1, v9
	v_lshlrev_b32_e32 v1, 16, v20
	v_fmac_f32_e32 v14, v1, v9
	v_and_b32_e32 v1, 0xffff0000, v20
	global_load_dwordx4 v[17:20], v[2:3], off offset:528
	v_fmac_f32_e32 v13, v1, v9
	v_lshlrev_b32_e32 v9, 16, v10
	s_waitcnt vmcnt(0)
	v_lshlrev_b32_e32 v1, 16, v17
	v_fmac_f32_e32 v16, v1, v9
	v_and_b32_e32 v1, 0xffff0000, v17
	v_fmac_f32_e32 v15, v1, v9
	v_lshlrev_b32_e32 v1, 16, v18
	v_fmac_f32_e32 v14, v1, v9
	v_and_b32_e32 v1, 0xffff0000, v18
	v_fmac_f32_e32 v13, v1, v9
	v_lshlrev_b32_e32 v1, 16, v19
	v_and_b32_e32 v9, 0xffff0000, v10
	v_fmac_f32_e32 v16, v1, v9
	v_and_b32_e32 v1, 0xffff0000, v19
	v_fmac_f32_e32 v15, v1, v9
	v_lshlrev_b32_e32 v1, 16, v20
	v_fmac_f32_e32 v14, v1, v9
	v_and_b32_e32 v1, 0xffff0000, v20
	v_fmac_f32_e32 v13, v1, v9
	global_load_dword v1, v[5:6], off offset:128
	global_load_dwordx4 v[17:20], v[2:3], off offset:1024
	s_waitcnt vmcnt(1)
	v_subrev_u32_e32 v1, s20, v1
	v_lshlrev_b32_e32 v9, 2, v1
	v_ashrrev_i32_e32 v10, 31, v9
	v_lshlrev_b64 v[9:10], 1, v[9:10]
	s_waitcnt vmcnt(0)
	;; [unrolled: 50-line block ×3, first 2 shown]
	v_lshlrev_b32_e32 v1, 16, v17
	v_add_co_u32_e32 v5, vcc, s6, v5
	v_addc_co_u32_e32 v6, vcc, v8, v6, vcc
	global_load_dwordx2 v[5:6], v[5:6], off
	s_waitcnt vmcnt(0)
	v_lshlrev_b32_e32 v9, 16, v5
	v_fmac_f32_e32 v16, v1, v9
	v_and_b32_e32 v1, 0xffff0000, v17
	v_fmac_f32_e32 v15, v1, v9
	v_lshlrev_b32_e32 v1, 16, v18
	v_fmac_f32_e32 v14, v1, v9
	v_and_b32_e32 v1, 0xffff0000, v18
	v_fmac_f32_e32 v13, v1, v9
	v_lshlrev_b32_e32 v1, 16, v19
	v_and_b32_e32 v5, 0xffff0000, v5
	v_fmac_f32_e32 v16, v1, v5
	v_and_b32_e32 v1, 0xffff0000, v19
	v_fmac_f32_e32 v15, v1, v5
	v_lshlrev_b32_e32 v1, 16, v20
	v_fmac_f32_e32 v14, v1, v5
	v_and_b32_e32 v1, 0xffff0000, v20
	global_load_dwordx4 v[17:20], v[2:3], off offset:1552
	v_fmac_f32_e32 v13, v1, v5
	v_lshlrev_b32_e32 v5, 16, v6
	v_add_co_u32_e32 v2, vcc, 0x800, v2
	v_addc_co_u32_e32 v3, vcc, 0, v3, vcc
	v_cmp_ge_i32_e32 vcc, v0, v12
	s_or_b64 s[8:9], vcc, s[8:9]
	s_waitcnt vmcnt(0)
	v_lshlrev_b32_e32 v1, 16, v17
	v_fmac_f32_e32 v16, v1, v5
	v_and_b32_e32 v1, 0xffff0000, v17
	v_fmac_f32_e32 v15, v1, v5
	v_lshlrev_b32_e32 v1, 16, v18
	v_fmac_f32_e32 v14, v1, v5
	v_and_b32_e32 v1, 0xffff0000, v18
	v_fmac_f32_e32 v13, v1, v5
	v_lshlrev_b32_e32 v1, 16, v19
	v_and_b32_e32 v5, 0xffff0000, v6
	v_fmac_f32_e32 v16, v1, v5
	v_and_b32_e32 v1, 0xffff0000, v19
	v_fmac_f32_e32 v15, v1, v5
	v_lshlrev_b32_e32 v1, 16, v20
	v_fmac_f32_e32 v14, v1, v5
	v_and_b32_e32 v1, 0xffff0000, v20
	v_fmac_f32_e32 v13, v1, v5
	s_andn2_b64 exec, exec, s[8:9]
	s_cbranch_execnz .LBB107_33
; %bb.34:
	s_or_b64 exec, exec, s[8:9]
.LBB107_35:
	s_or_b64 exec, exec, s[0:1]
.LBB107_36:
	s_or_b64 exec, exec, s[2:3]
.LBB107_37:
	v_mov_b32_dpp v0, v16 row_shr:1 row_mask:0xf bank_mask:0xf
	v_mov_b32_dpp v2, v15 row_shr:1 row_mask:0xf bank_mask:0xf
	v_mov_b32_dpp v5, v14 row_shr:1 row_mask:0xf bank_mask:0xf
	v_mov_b32_dpp v7, v13 row_shr:1 row_mask:0xf bank_mask:0xf
	v_add_f32_e32 v0, v16, v0
	v_add_f32_e32 v2, v15, v2
	v_add_f32_e32 v5, v14, v5
	v_add_f32_e32 v7, v13, v7
	v_mov_b32_dpp v1, v0 row_shr:2 row_mask:0xf bank_mask:0xf
	v_mov_b32_dpp v3, v2 row_shr:2 row_mask:0xf bank_mask:0xf
	v_mov_b32_dpp v6, v5 row_shr:2 row_mask:0xf bank_mask:0xf
	v_mov_b32_dpp v8, v7 row_shr:2 row_mask:0xf bank_mask:0xf
	v_add_f32_e32 v0, v0, v1
	v_add_f32_e32 v2, v2, v3
	v_add_f32_e32 v5, v5, v6
	v_add_f32_e32 v7, v7, v8
	;; [unrolled: 8-line block ×3, first 2 shown]
	v_mov_b32_dpp v1, v0 row_shr:8 row_mask:0xf bank_mask:0xc
	v_mov_b32_dpp v3, v2 row_shr:8 row_mask:0xf bank_mask:0xc
	;; [unrolled: 1-line block ×4, first 2 shown]
	v_cmp_eq_u32_e32 vcc, 15, v11
	s_and_b64 exec, exec, vcc
	s_cbranch_execz .LBB107_10
; %bb.38:
	s_load_dwordx2 s[0:1], s[4:5], 0x50
	v_add_f32_e32 v0, v0, v1
	v_add_f32_e32 v1, v2, v3
	;; [unrolled: 1-line block ×4, first 2 shown]
	v_cmp_eq_f32_e64 s[2:3], s16, 0
	s_and_b64 vcc, exec, s[2:3]
	v_mul_f32_e32 v0, s18, v0
	v_mul_f32_e32 v1, s18, v1
	v_mul_f32_e32 v2, s18, v2
	v_mul_f32_e32 v3, s18, v3
	v_lshlrev_b32_e32 v4, 2, v4
	s_cbranch_vccz .LBB107_40
; %bb.39:
	v_ashrrev_i32_e32 v5, 31, v4
	v_lshlrev_b64 v[5:6], 2, v[4:5]
	s_waitcnt lgkmcnt(0)
	v_mov_b32_e32 v7, s1
	v_add_co_u32_e32 v5, vcc, s0, v5
	v_addc_co_u32_e32 v6, vcc, v7, v6, vcc
	global_store_dwordx4 v[5:6], v[0:3], off
	s_cbranch_execnz .LBB107_10
	s_branch .LBB107_41
.LBB107_40:
.LBB107_41:
	v_ashrrev_i32_e32 v5, 31, v4
	v_lshlrev_b64 v[4:5], 2, v[4:5]
	s_waitcnt lgkmcnt(0)
	v_mov_b32_e32 v6, s1
	v_add_co_u32_e32 v8, vcc, s0, v4
	v_addc_co_u32_e32 v9, vcc, v6, v5, vcc
	global_load_dwordx4 v[4:7], v[8:9], off
	s_waitcnt vmcnt(0)
	v_fmac_f32_e32 v0, s16, v4
	v_fmac_f32_e32 v1, s16, v5
	;; [unrolled: 1-line block ×4, first 2 shown]
	global_store_dwordx4 v[8:9], v[0:3], off
	s_endpgm
	.section	.rodata,"a",@progbits
	.p2align	6, 0x0
	.amdhsa_kernel _ZN9rocsparseL18bsrxmvn_4x4_kernelILj128ELj16Efii18rocsparse_bfloat16S1_fEEvT3_20rocsparse_direction_NS_24const_host_device_scalarIT1_EES2_PKS2_PKT2_SB_S8_PKT4_PKT5_S6_PT6_21rocsparse_index_base_b
		.amdhsa_group_segment_fixed_size 0
		.amdhsa_private_segment_fixed_size 0
		.amdhsa_kernarg_size 96
		.amdhsa_user_sgpr_count 6
		.amdhsa_user_sgpr_private_segment_buffer 1
		.amdhsa_user_sgpr_dispatch_ptr 0
		.amdhsa_user_sgpr_queue_ptr 0
		.amdhsa_user_sgpr_kernarg_segment_ptr 1
		.amdhsa_user_sgpr_dispatch_id 0
		.amdhsa_user_sgpr_flat_scratch_init 0
		.amdhsa_user_sgpr_private_segment_size 0
		.amdhsa_uses_dynamic_stack 0
		.amdhsa_system_sgpr_private_segment_wavefront_offset 0
		.amdhsa_system_sgpr_workgroup_id_x 1
		.amdhsa_system_sgpr_workgroup_id_y 0
		.amdhsa_system_sgpr_workgroup_id_z 0
		.amdhsa_system_sgpr_workgroup_info 0
		.amdhsa_system_vgpr_workitem_id 0
		.amdhsa_next_free_vgpr 38
		.amdhsa_next_free_sgpr 22
		.amdhsa_reserve_vcc 1
		.amdhsa_reserve_flat_scratch 0
		.amdhsa_float_round_mode_32 0
		.amdhsa_float_round_mode_16_64 0
		.amdhsa_float_denorm_mode_32 3
		.amdhsa_float_denorm_mode_16_64 3
		.amdhsa_dx10_clamp 1
		.amdhsa_ieee_mode 1
		.amdhsa_fp16_overflow 0
		.amdhsa_exception_fp_ieee_invalid_op 0
		.amdhsa_exception_fp_denorm_src 0
		.amdhsa_exception_fp_ieee_div_zero 0
		.amdhsa_exception_fp_ieee_overflow 0
		.amdhsa_exception_fp_ieee_underflow 0
		.amdhsa_exception_fp_ieee_inexact 0
		.amdhsa_exception_int_div_zero 0
	.end_amdhsa_kernel
	.section	.text._ZN9rocsparseL18bsrxmvn_4x4_kernelILj128ELj16Efii18rocsparse_bfloat16S1_fEEvT3_20rocsparse_direction_NS_24const_host_device_scalarIT1_EES2_PKS2_PKT2_SB_S8_PKT4_PKT5_S6_PT6_21rocsparse_index_base_b,"axG",@progbits,_ZN9rocsparseL18bsrxmvn_4x4_kernelILj128ELj16Efii18rocsparse_bfloat16S1_fEEvT3_20rocsparse_direction_NS_24const_host_device_scalarIT1_EES2_PKS2_PKT2_SB_S8_PKT4_PKT5_S6_PT6_21rocsparse_index_base_b,comdat
.Lfunc_end107:
	.size	_ZN9rocsparseL18bsrxmvn_4x4_kernelILj128ELj16Efii18rocsparse_bfloat16S1_fEEvT3_20rocsparse_direction_NS_24const_host_device_scalarIT1_EES2_PKS2_PKT2_SB_S8_PKT4_PKT5_S6_PT6_21rocsparse_index_base_b, .Lfunc_end107-_ZN9rocsparseL18bsrxmvn_4x4_kernelILj128ELj16Efii18rocsparse_bfloat16S1_fEEvT3_20rocsparse_direction_NS_24const_host_device_scalarIT1_EES2_PKS2_PKT2_SB_S8_PKT4_PKT5_S6_PT6_21rocsparse_index_base_b
                                        ; -- End function
	.set _ZN9rocsparseL18bsrxmvn_4x4_kernelILj128ELj16Efii18rocsparse_bfloat16S1_fEEvT3_20rocsparse_direction_NS_24const_host_device_scalarIT1_EES2_PKS2_PKT2_SB_S8_PKT4_PKT5_S6_PT6_21rocsparse_index_base_b.num_vgpr, 38
	.set _ZN9rocsparseL18bsrxmvn_4x4_kernelILj128ELj16Efii18rocsparse_bfloat16S1_fEEvT3_20rocsparse_direction_NS_24const_host_device_scalarIT1_EES2_PKS2_PKT2_SB_S8_PKT4_PKT5_S6_PT6_21rocsparse_index_base_b.num_agpr, 0
	.set _ZN9rocsparseL18bsrxmvn_4x4_kernelILj128ELj16Efii18rocsparse_bfloat16S1_fEEvT3_20rocsparse_direction_NS_24const_host_device_scalarIT1_EES2_PKS2_PKT2_SB_S8_PKT4_PKT5_S6_PT6_21rocsparse_index_base_b.numbered_sgpr, 22
	.set _ZN9rocsparseL18bsrxmvn_4x4_kernelILj128ELj16Efii18rocsparse_bfloat16S1_fEEvT3_20rocsparse_direction_NS_24const_host_device_scalarIT1_EES2_PKS2_PKT2_SB_S8_PKT4_PKT5_S6_PT6_21rocsparse_index_base_b.num_named_barrier, 0
	.set _ZN9rocsparseL18bsrxmvn_4x4_kernelILj128ELj16Efii18rocsparse_bfloat16S1_fEEvT3_20rocsparse_direction_NS_24const_host_device_scalarIT1_EES2_PKS2_PKT2_SB_S8_PKT4_PKT5_S6_PT6_21rocsparse_index_base_b.private_seg_size, 0
	.set _ZN9rocsparseL18bsrxmvn_4x4_kernelILj128ELj16Efii18rocsparse_bfloat16S1_fEEvT3_20rocsparse_direction_NS_24const_host_device_scalarIT1_EES2_PKS2_PKT2_SB_S8_PKT4_PKT5_S6_PT6_21rocsparse_index_base_b.uses_vcc, 1
	.set _ZN9rocsparseL18bsrxmvn_4x4_kernelILj128ELj16Efii18rocsparse_bfloat16S1_fEEvT3_20rocsparse_direction_NS_24const_host_device_scalarIT1_EES2_PKS2_PKT2_SB_S8_PKT4_PKT5_S6_PT6_21rocsparse_index_base_b.uses_flat_scratch, 0
	.set _ZN9rocsparseL18bsrxmvn_4x4_kernelILj128ELj16Efii18rocsparse_bfloat16S1_fEEvT3_20rocsparse_direction_NS_24const_host_device_scalarIT1_EES2_PKS2_PKT2_SB_S8_PKT4_PKT5_S6_PT6_21rocsparse_index_base_b.has_dyn_sized_stack, 0
	.set _ZN9rocsparseL18bsrxmvn_4x4_kernelILj128ELj16Efii18rocsparse_bfloat16S1_fEEvT3_20rocsparse_direction_NS_24const_host_device_scalarIT1_EES2_PKS2_PKT2_SB_S8_PKT4_PKT5_S6_PT6_21rocsparse_index_base_b.has_recursion, 0
	.set _ZN9rocsparseL18bsrxmvn_4x4_kernelILj128ELj16Efii18rocsparse_bfloat16S1_fEEvT3_20rocsparse_direction_NS_24const_host_device_scalarIT1_EES2_PKS2_PKT2_SB_S8_PKT4_PKT5_S6_PT6_21rocsparse_index_base_b.has_indirect_call, 0
	.section	.AMDGPU.csdata,"",@progbits
; Kernel info:
; codeLenInByte = 3984
; TotalNumSgprs: 26
; NumVgprs: 38
; ScratchSize: 0
; MemoryBound: 0
; FloatMode: 240
; IeeeMode: 1
; LDSByteSize: 0 bytes/workgroup (compile time only)
; SGPRBlocks: 3
; VGPRBlocks: 9
; NumSGPRsForWavesPerEU: 26
; NumVGPRsForWavesPerEU: 38
; Occupancy: 6
; WaveLimiterHint : 1
; COMPUTE_PGM_RSRC2:SCRATCH_EN: 0
; COMPUTE_PGM_RSRC2:USER_SGPR: 6
; COMPUTE_PGM_RSRC2:TRAP_HANDLER: 0
; COMPUTE_PGM_RSRC2:TGID_X_EN: 1
; COMPUTE_PGM_RSRC2:TGID_Y_EN: 0
; COMPUTE_PGM_RSRC2:TGID_Z_EN: 0
; COMPUTE_PGM_RSRC2:TIDIG_COMP_CNT: 0
	.section	.text._ZN9rocsparseL18bsrxmvn_4x4_kernelILj128ELj32Efii18rocsparse_bfloat16S1_fEEvT3_20rocsparse_direction_NS_24const_host_device_scalarIT1_EES2_PKS2_PKT2_SB_S8_PKT4_PKT5_S6_PT6_21rocsparse_index_base_b,"axG",@progbits,_ZN9rocsparseL18bsrxmvn_4x4_kernelILj128ELj32Efii18rocsparse_bfloat16S1_fEEvT3_20rocsparse_direction_NS_24const_host_device_scalarIT1_EES2_PKS2_PKT2_SB_S8_PKT4_PKT5_S6_PT6_21rocsparse_index_base_b,comdat
	.globl	_ZN9rocsparseL18bsrxmvn_4x4_kernelILj128ELj32Efii18rocsparse_bfloat16S1_fEEvT3_20rocsparse_direction_NS_24const_host_device_scalarIT1_EES2_PKS2_PKT2_SB_S8_PKT4_PKT5_S6_PT6_21rocsparse_index_base_b ; -- Begin function _ZN9rocsparseL18bsrxmvn_4x4_kernelILj128ELj32Efii18rocsparse_bfloat16S1_fEEvT3_20rocsparse_direction_NS_24const_host_device_scalarIT1_EES2_PKS2_PKT2_SB_S8_PKT4_PKT5_S6_PT6_21rocsparse_index_base_b
	.p2align	8
	.type	_ZN9rocsparseL18bsrxmvn_4x4_kernelILj128ELj32Efii18rocsparse_bfloat16S1_fEEvT3_20rocsparse_direction_NS_24const_host_device_scalarIT1_EES2_PKS2_PKT2_SB_S8_PKT4_PKT5_S6_PT6_21rocsparse_index_base_b,@function
_ZN9rocsparseL18bsrxmvn_4x4_kernelILj128ELj32Efii18rocsparse_bfloat16S1_fEEvT3_20rocsparse_direction_NS_24const_host_device_scalarIT1_EES2_PKS2_PKT2_SB_S8_PKT4_PKT5_S6_PT6_21rocsparse_index_base_b: ; @_ZN9rocsparseL18bsrxmvn_4x4_kernelILj128ELj32Efii18rocsparse_bfloat16S1_fEEvT3_20rocsparse_direction_NS_24const_host_device_scalarIT1_EES2_PKS2_PKT2_SB_S8_PKT4_PKT5_S6_PT6_21rocsparse_index_base_b
; %bb.0:
	s_load_dwordx2 s[20:21], s[4:5], 0x58
	s_load_dwordx2 s[18:19], s[4:5], 0x8
	;; [unrolled: 1-line block ×3, first 2 shown]
	s_waitcnt lgkmcnt(0)
	s_bitcmp1_b32 s21, 0
	s_cselect_b64 s[2:3], -1, 0
	s_xor_b64 s[0:1], s[2:3], -1
	s_and_b64 vcc, exec, s[2:3]
	s_cbranch_vccnz .LBB108_2
; %bb.1:
	s_load_dword s18, s[18:19], 0x0
.LBB108_2:
	s_andn2_b64 vcc, exec, s[0:1]
	s_cbranch_vccnz .LBB108_4
; %bb.3:
	s_load_dword s16, s[16:17], 0x0
.LBB108_4:
	s_waitcnt lgkmcnt(0)
	v_cmp_neq_f32_e64 s[0:1], s18, 0
	v_cmp_neq_f32_e64 s[2:3], s16, 1.0
	s_or_b64 s[0:1], s[0:1], s[2:3]
	s_andn2_b64 vcc, exec, s[0:1]
	s_cbranch_vccnz .LBB108_10
; %bb.5:
	s_load_dwordx2 s[8:9], s[4:5], 0x18
	s_load_dwordx2 s[0:1], s[4:5], 0x0
	v_lshrrev_b32_e32 v1, 5, v0
	v_lshl_or_b32 v4, s6, 2, v1
	s_mov_b64 s[2:3], 0
	s_waitcnt lgkmcnt(0)
	s_cmp_lg_u64 s[8:9], 0
	s_cbranch_scc0 .LBB108_11
; %bb.6:
	s_load_dword s6, s[4:5], 0x10
                                        ; implicit-def: $vgpr1
	s_waitcnt lgkmcnt(0)
	v_cmp_gt_i32_e32 vcc, s6, v4
	s_and_saveexec_b64 s[6:7], vcc
	s_xor_b64 s[6:7], exec, s[6:7]
	s_cbranch_execz .LBB108_8
; %bb.7:
	v_ashrrev_i32_e32 v5, 31, v4
	v_lshlrev_b64 v[1:2], 2, v[4:5]
	v_mov_b32_e32 v3, s9
	v_add_co_u32_e32 v1, vcc, s8, v1
	v_addc_co_u32_e32 v2, vcc, v3, v2, vcc
	global_load_dword v1, v[1:2], off
	s_mov_b64 s[2:3], exec
	s_waitcnt vmcnt(0)
	v_subrev_u32_e32 v1, s20, v1
.LBB108_8:
	s_or_b64 exec, exec, s[6:7]
	s_branch .LBB108_12
.LBB108_9:
	v_cmp_gt_i32_e32 vcc, s0, v4
	s_andn2_b64 s[2:3], s[2:3], exec
	s_and_b64 s[6:7], vcc, exec
	s_or_b64 s[2:3], s[2:3], s[6:7]
	s_and_saveexec_b64 s[6:7], s[2:3]
	s_cbranch_execnz .LBB108_13
.LBB108_10:
	s_endpgm
.LBB108_11:
                                        ; implicit-def: $vgpr1
	s_cbranch_execnz .LBB108_9
.LBB108_12:
	v_mov_b32_e32 v4, v1
	s_and_saveexec_b64 s[6:7], s[2:3]
	s_cbranch_execz .LBB108_10
.LBB108_13:
	s_load_dwordx8 s[8:15], s[4:5], 0x20
	v_ashrrev_i32_e32 v5, 31, v4
	v_lshlrev_b64 v[1:2], 2, v[4:5]
	v_and_b32_e32 v11, 31, v0
	s_load_dwordx2 s[6:7], s[4:5], 0x40
	s_waitcnt lgkmcnt(0)
	v_mov_b32_e32 v3, s9
	v_add_co_u32_e32 v5, vcc, s8, v1
	v_addc_co_u32_e32 v6, vcc, v3, v2, vcc
	v_add_co_u32_e32 v3, vcc, 4, v5
	global_load_dword v17, v[5:6], off
	v_addc_co_u32_e32 v5, vcc, 0, v6, vcc
	v_mov_b32_e32 v6, s11
	v_add_co_u32_e32 v1, vcc, s10, v1
	s_cmp_eq_u64 s[10:11], 0
	v_addc_co_u32_e32 v2, vcc, v6, v2, vcc
	s_cselect_b64 vcc, -1, 0
	v_cndmask_b32_e32 v2, v2, v5, vcc
	v_cndmask_b32_e32 v1, v1, v3, vcc
	global_load_dword v1, v[1:2], off
	v_mov_b32_e32 v5, s15
	s_cmp_eq_u32 s1, 1
	s_waitcnt vmcnt(1)
	v_subrev_u32_e32 v0, s20, v17
	v_add_u32_e32 v0, v0, v11
	s_waitcnt vmcnt(0)
	v_subrev_u32_e32 v13, s20, v1
	v_ashrrev_i32_e32 v1, 31, v0
	v_lshlrev_b64 v[2:3], 5, v[0:1]
	v_cmp_lt_i32_e64 s[0:1], v0, v13
	v_add_co_u32_e32 v2, vcc, s14, v2
	v_addc_co_u32_e32 v3, vcc, v5, v3, vcc
	s_cbranch_scc1 .LBB108_25
; %bb.14:
	v_mov_b32_e32 v12, 0
	v_mov_b32_e32 v14, 0
	;; [unrolled: 1-line block ×4, first 2 shown]
	s_and_saveexec_b64 s[8:9], s[0:1]
	s_cbranch_execz .LBB108_24
; %bb.15:
	v_add_u32_e32 v1, v17, v11
	v_subrev_u32_e32 v1, s20, v1
	v_add_u32_e32 v1, 32, v1
	v_max_i32_e32 v1, v1, v13
	v_not_b32_e32 v5, v17
	v_add3_u32 v1, s20, v1, v5
	v_sub_u32_e32 v1, v1, v11
	s_movk_i32 s2, 0x60
	v_and_b32_e32 v5, 0x60, v1
	v_mov_b32_e32 v8, v3
	v_cmp_ne_u32_e32 vcc, s2, v5
	v_mov_b32_e32 v16, 0
	v_mov_b32_e32 v15, 0
	v_mov_b32_e32 v14, 0
	v_mov_b32_e32 v12, 0
	v_mov_b32_e32 v5, v0
	v_mov_b32_e32 v7, v2
	s_and_saveexec_b64 s[10:11], vcc
	s_cbranch_execz .LBB108_19
; %bb.16:
	v_lshrrev_b32_e32 v5, 5, v1
	v_add_u32_e32 v5, 1, v5
	v_and_b32_e32 v5, 3, v5
	v_mov_b32_e32 v8, v3
	v_sub_u32_e32 v9, 0, v5
	v_mov_b32_e32 v12, 0
	s_mov_b64 s[14:15], 0
	v_mov_b32_e32 v10, s13
	v_mov_b32_e32 v18, s7
	;; [unrolled: 1-line block ×7, first 2 shown]
.LBB108_17:                             ; =>This Inner Loop Header: Depth=1
	v_ashrrev_i32_e32 v6, 31, v5
	v_lshlrev_b64 v[19:20], 2, v[5:6]
	v_add_co_u32_e64 v9, s[2:3], 1, v9
	v_add_co_u32_e32 v27, vcc, s12, v19
	v_addc_co_u32_e32 v28, vcc, v10, v20, vcc
	global_load_dword v6, v[27:28], off
	global_load_dwordx4 v[19:22], v[7:8], off
	global_load_dwordx4 v[23:26], v[7:8], off offset:16
	v_add_u32_e32 v5, 32, v5
	s_or_b64 s[14:15], s[2:3], s[14:15]
	s_waitcnt vmcnt(2)
	v_subrev_u32_e32 v6, s20, v6
	v_lshlrev_b32_e32 v27, 2, v6
	v_ashrrev_i32_e32 v28, 31, v27
	v_lshlrev_b64 v[27:28], 1, v[27:28]
	s_waitcnt vmcnt(1)
	v_lshlrev_b32_e32 v6, 16, v19
	v_add_co_u32_e32 v27, vcc, s6, v27
	v_addc_co_u32_e32 v28, vcc, v18, v28, vcc
	global_load_dwordx2 v[27:28], v[27:28], off
	v_lshlrev_b32_e32 v30, 16, v21
	s_waitcnt vmcnt(1)
	v_lshlrev_b32_e32 v32, 16, v23
	v_lshlrev_b32_e32 v34, 16, v25
	v_and_b32_e32 v19, 0xffff0000, v19
	v_and_b32_e32 v21, 0xffff0000, v21
	;; [unrolled: 1-line block ×4, first 2 shown]
	v_lshlrev_b32_e32 v29, 16, v20
	v_lshlrev_b32_e32 v31, 16, v22
	;; [unrolled: 1-line block ×4, first 2 shown]
	v_add_co_u32_e32 v7, vcc, 0x400, v7
	v_and_b32_e32 v20, 0xffff0000, v20
	v_and_b32_e32 v22, 0xffff0000, v22
	;; [unrolled: 1-line block ×4, first 2 shown]
	v_addc_co_u32_e32 v8, vcc, 0, v8, vcc
	s_waitcnt vmcnt(0)
	v_lshlrev_b32_e32 v36, 16, v27
	v_and_b32_e32 v27, 0xffff0000, v27
	v_fmac_f32_e32 v16, v6, v36
	v_fmac_f32_e32 v15, v30, v36
	;; [unrolled: 1-line block ×4, first 2 shown]
	v_lshlrev_b32_e32 v37, 16, v28
	v_fmac_f32_e32 v16, v19, v27
	v_fmac_f32_e32 v15, v21, v27
	;; [unrolled: 1-line block ×4, first 2 shown]
	v_and_b32_e32 v28, 0xffff0000, v28
	v_fmac_f32_e32 v16, v29, v37
	v_fmac_f32_e32 v15, v31, v37
	;; [unrolled: 1-line block ×8, first 2 shown]
	s_andn2_b64 exec, exec, s[14:15]
	s_cbranch_execnz .LBB108_17
; %bb.18:
	s_or_b64 exec, exec, s[14:15]
.LBB108_19:
	s_or_b64 exec, exec, s[10:11]
	s_movk_i32 s2, 0x5f
	v_cmp_lt_u32_e32 vcc, s2, v1
	s_and_saveexec_b64 s[2:3], vcc
	s_cbranch_execz .LBB108_23
; %bb.20:
	s_mov_b64 s[10:11], 0
	v_mov_b32_e32 v1, s13
	v_mov_b32_e32 v18, s7
.LBB108_21:                             ; =>This Inner Loop Header: Depth=1
	v_ashrrev_i32_e32 v6, 31, v5
	v_lshlrev_b64 v[9:10], 2, v[5:6]
	global_load_dwordx4 v[19:22], v[7:8], off
	v_add_co_u32_e32 v9, vcc, s12, v9
	v_addc_co_u32_e32 v10, vcc, v1, v10, vcc
	global_load_dword v6, v[9:10], off
	v_add_u32_e32 v5, 0x80, v5
	s_waitcnt vmcnt(0)
	v_subrev_u32_e32 v6, s20, v6
	v_lshlrev_b32_e32 v23, 2, v6
	v_ashrrev_i32_e32 v24, 31, v23
	v_lshlrev_b64 v[23:24], 1, v[23:24]
	v_lshlrev_b32_e32 v6, 16, v19
	v_add_co_u32_e32 v23, vcc, s6, v23
	v_addc_co_u32_e32 v24, vcc, v18, v24, vcc
	global_load_dwordx2 v[23:24], v[23:24], off
	s_waitcnt vmcnt(0)
	v_lshlrev_b32_e32 v25, 16, v23
	v_fmac_f32_e32 v16, v6, v25
	v_and_b32_e32 v6, 0xffff0000, v19
	v_and_b32_e32 v23, 0xffff0000, v23
	v_fmac_f32_e32 v16, v6, v23
	v_lshlrev_b32_e32 v6, 16, v20
	v_lshlrev_b32_e32 v26, 16, v24
	v_fmac_f32_e32 v16, v6, v26
	v_and_b32_e32 v6, 0xffff0000, v20
	v_and_b32_e32 v24, 0xffff0000, v24
	v_fmac_f32_e32 v16, v6, v24
	v_lshlrev_b32_e32 v6, 16, v21
	v_fmac_f32_e32 v15, v6, v25
	v_and_b32_e32 v6, 0xffff0000, v21
	v_fmac_f32_e32 v15, v6, v23
	v_lshlrev_b32_e32 v6, 16, v22
	v_fmac_f32_e32 v15, v6, v26
	v_and_b32_e32 v6, 0xffff0000, v22
	global_load_dwordx4 v[19:22], v[7:8], off offset:16
	v_fmac_f32_e32 v15, v6, v24
	s_waitcnt vmcnt(0)
	v_lshlrev_b32_e32 v6, 16, v19
	v_fmac_f32_e32 v14, v6, v25
	v_and_b32_e32 v6, 0xffff0000, v19
	v_fmac_f32_e32 v14, v6, v23
	v_lshlrev_b32_e32 v6, 16, v20
	v_fmac_f32_e32 v14, v6, v26
	v_and_b32_e32 v6, 0xffff0000, v20
	v_fmac_f32_e32 v14, v6, v24
	v_lshlrev_b32_e32 v6, 16, v21
	v_fmac_f32_e32 v12, v6, v25
	v_and_b32_e32 v6, 0xffff0000, v21
	v_fmac_f32_e32 v12, v6, v23
	v_lshlrev_b32_e32 v6, 16, v22
	v_fmac_f32_e32 v12, v6, v26
	v_and_b32_e32 v6, 0xffff0000, v22
	v_fmac_f32_e32 v12, v6, v24
	global_load_dword v6, v[9:10], off offset:128
	global_load_dwordx4 v[19:22], v[7:8], off offset:1024
	s_waitcnt vmcnt(1)
	v_subrev_u32_e32 v6, s20, v6
	v_lshlrev_b32_e32 v23, 2, v6
	v_ashrrev_i32_e32 v24, 31, v23
	v_lshlrev_b64 v[23:24], 1, v[23:24]
	s_waitcnt vmcnt(0)
	v_lshlrev_b32_e32 v6, 16, v19
	v_add_co_u32_e32 v23, vcc, s6, v23
	v_addc_co_u32_e32 v24, vcc, v18, v24, vcc
	global_load_dwordx2 v[23:24], v[23:24], off
	s_waitcnt vmcnt(0)
	v_lshlrev_b32_e32 v25, 16, v23
	v_fmac_f32_e32 v16, v6, v25
	v_and_b32_e32 v6, 0xffff0000, v19
	v_and_b32_e32 v23, 0xffff0000, v23
	v_fmac_f32_e32 v16, v6, v23
	v_lshlrev_b32_e32 v6, 16, v20
	v_lshlrev_b32_e32 v26, 16, v24
	v_fmac_f32_e32 v16, v6, v26
	v_and_b32_e32 v6, 0xffff0000, v20
	v_and_b32_e32 v24, 0xffff0000, v24
	v_fmac_f32_e32 v16, v6, v24
	v_lshlrev_b32_e32 v6, 16, v21
	v_fmac_f32_e32 v15, v6, v25
	v_and_b32_e32 v6, 0xffff0000, v21
	v_fmac_f32_e32 v15, v6, v23
	v_lshlrev_b32_e32 v6, 16, v22
	v_fmac_f32_e32 v15, v6, v26
	v_and_b32_e32 v6, 0xffff0000, v22
	global_load_dwordx4 v[19:22], v[7:8], off offset:1040
	v_fmac_f32_e32 v15, v6, v24
	s_waitcnt vmcnt(0)
	v_lshlrev_b32_e32 v6, 16, v19
	v_fmac_f32_e32 v14, v6, v25
	v_and_b32_e32 v6, 0xffff0000, v19
	v_fmac_f32_e32 v14, v6, v23
	v_lshlrev_b32_e32 v6, 16, v20
	v_fmac_f32_e32 v14, v6, v26
	v_and_b32_e32 v6, 0xffff0000, v20
	v_fmac_f32_e32 v14, v6, v24
	v_lshlrev_b32_e32 v6, 16, v21
	v_fmac_f32_e32 v12, v6, v25
	v_and_b32_e32 v6, 0xffff0000, v21
	v_fmac_f32_e32 v12, v6, v23
	v_lshlrev_b32_e32 v6, 16, v22
	v_fmac_f32_e32 v12, v6, v26
	v_and_b32_e32 v6, 0xffff0000, v22
	v_fmac_f32_e32 v12, v6, v24
	global_load_dword v6, v[9:10], off offset:256
	global_load_dwordx4 v[19:22], v[7:8], off offset:2048
	s_waitcnt vmcnt(1)
	v_subrev_u32_e32 v6, s20, v6
	v_lshlrev_b32_e32 v23, 2, v6
	v_ashrrev_i32_e32 v24, 31, v23
	v_lshlrev_b64 v[23:24], 1, v[23:24]
	s_waitcnt vmcnt(0)
	;; [unrolled: 50-line block ×3, first 2 shown]
	v_lshlrev_b32_e32 v6, 16, v19
	v_add_co_u32_e32 v9, vcc, s6, v9
	v_addc_co_u32_e32 v10, vcc, v18, v10, vcc
	global_load_dwordx2 v[9:10], v[9:10], off
	s_waitcnt vmcnt(0)
	v_lshlrev_b32_e32 v23, 16, v9
	v_fmac_f32_e32 v16, v6, v23
	v_and_b32_e32 v6, 0xffff0000, v19
	v_and_b32_e32 v9, 0xffff0000, v9
	v_fmac_f32_e32 v16, v6, v9
	v_lshlrev_b32_e32 v6, 16, v20
	v_lshlrev_b32_e32 v24, 16, v10
	v_fmac_f32_e32 v16, v6, v24
	v_and_b32_e32 v6, 0xffff0000, v20
	v_and_b32_e32 v10, 0xffff0000, v10
	v_fmac_f32_e32 v16, v6, v10
	v_lshlrev_b32_e32 v6, 16, v21
	v_fmac_f32_e32 v15, v6, v23
	v_and_b32_e32 v6, 0xffff0000, v21
	v_fmac_f32_e32 v15, v6, v9
	v_lshlrev_b32_e32 v6, 16, v22
	v_fmac_f32_e32 v15, v6, v24
	v_and_b32_e32 v6, 0xffff0000, v22
	global_load_dwordx4 v[19:22], v[7:8], off offset:3088
	v_fmac_f32_e32 v15, v6, v10
	v_add_co_u32_e32 v7, vcc, 0x1000, v7
	v_addc_co_u32_e32 v8, vcc, 0, v8, vcc
	v_cmp_ge_i32_e32 vcc, v5, v13
	s_or_b64 s[10:11], vcc, s[10:11]
	s_waitcnt vmcnt(0)
	v_lshlrev_b32_e32 v6, 16, v19
	v_fmac_f32_e32 v14, v6, v23
	v_and_b32_e32 v6, 0xffff0000, v19
	v_fmac_f32_e32 v14, v6, v9
	v_lshlrev_b32_e32 v6, 16, v20
	v_fmac_f32_e32 v14, v6, v24
	v_and_b32_e32 v6, 0xffff0000, v20
	v_fmac_f32_e32 v14, v6, v10
	;; [unrolled: 4-line block ×4, first 2 shown]
	s_andn2_b64 exec, exec, s[10:11]
	s_cbranch_execnz .LBB108_21
; %bb.22:
	s_or_b64 exec, exec, s[10:11]
.LBB108_23:
	s_or_b64 exec, exec, s[2:3]
.LBB108_24:
	s_or_b64 exec, exec, s[8:9]
	s_cbranch_execz .LBB108_26
	s_branch .LBB108_37
.LBB108_25:
                                        ; implicit-def: $vgpr12
                                        ; implicit-def: $vgpr14
                                        ; implicit-def: $vgpr15
                                        ; implicit-def: $vgpr16
.LBB108_26:
	v_mov_b32_e32 v12, 0
	v_mov_b32_e32 v14, 0
	;; [unrolled: 1-line block ×4, first 2 shown]
	s_and_saveexec_b64 s[2:3], s[0:1]
	s_cbranch_execz .LBB108_36
; %bb.27:
	v_add_u32_e32 v1, v17, v11
	v_subrev_u32_e32 v1, s20, v1
	v_add_u32_e32 v1, 32, v1
	v_max_i32_e32 v1, v1, v13
	v_not_b32_e32 v5, v17
	v_add3_u32 v1, s20, v1, v5
	v_sub_u32_e32 v5, v1, v11
	s_movk_i32 s0, 0x60
	v_and_b32_e32 v1, 0x60, v5
	v_cmp_ne_u32_e32 vcc, s0, v1
	v_mov_b32_e32 v16, 0
	v_mov_b32_e32 v15, 0
	;; [unrolled: 1-line block ×4, first 2 shown]
	s_and_saveexec_b64 s[8:9], vcc
	s_cbranch_execz .LBB108_31
; %bb.28:
	v_lshrrev_b32_e32 v1, 5, v5
	v_add_u32_e32 v1, 1, v1
	v_and_b32_e32 v1, 3, v1
	v_sub_u32_e32 v6, 0, v1
	v_mov_b32_e32 v12, 0
	s_mov_b64 s[10:11], 0
	v_mov_b32_e32 v7, s13
	v_mov_b32_e32 v8, s7
	;; [unrolled: 1-line block ×5, first 2 shown]
.LBB108_29:                             ; =>This Inner Loop Header: Depth=1
	v_ashrrev_i32_e32 v1, 31, v0
	v_lshlrev_b64 v[9:10], 2, v[0:1]
	v_add_co_u32_e64 v6, s[0:1], 1, v6
	v_add_co_u32_e32 v9, vcc, s12, v9
	v_addc_co_u32_e32 v10, vcc, v7, v10, vcc
	global_load_dword v1, v[9:10], off
	global_load_dwordx4 v[17:20], v[2:3], off
	v_add_u32_e32 v0, 32, v0
	s_or_b64 s[10:11], s[0:1], s[10:11]
	s_waitcnt vmcnt(1)
	v_subrev_u32_e32 v1, s20, v1
	v_lshlrev_b32_e32 v9, 2, v1
	v_ashrrev_i32_e32 v10, 31, v9
	v_lshlrev_b64 v[9:10], 1, v[9:10]
	s_waitcnt vmcnt(0)
	v_lshlrev_b32_e32 v1, 16, v17
	v_add_co_u32_e32 v9, vcc, s6, v9
	v_addc_co_u32_e32 v10, vcc, v8, v10, vcc
	global_load_dwordx2 v[25:26], v[9:10], off
	global_load_dwordx4 v[21:24], v[2:3], off offset:16
	v_and_b32_e32 v9, 0xffff0000, v17
	v_lshlrev_b32_e32 v10, 16, v18
	v_and_b32_e32 v17, 0xffff0000, v18
	v_lshlrev_b32_e32 v18, 16, v19
	;; [unrolled: 2-line block ×3, first 2 shown]
	v_and_b32_e32 v20, 0xffff0000, v20
	v_add_co_u32_e32 v2, vcc, 0x400, v2
	v_addc_co_u32_e32 v3, vcc, 0, v3, vcc
	s_waitcnt vmcnt(1)
	v_lshlrev_b32_e32 v32, 16, v25
	v_and_b32_e32 v25, 0xffff0000, v25
	v_fmac_f32_e32 v16, v1, v32
	v_fmac_f32_e32 v15, v9, v32
	;; [unrolled: 1-line block ×4, first 2 shown]
	s_waitcnt vmcnt(0)
	v_lshlrev_b32_e32 v28, 16, v21
	v_and_b32_e32 v21, 0xffff0000, v21
	v_lshlrev_b32_e32 v29, 16, v22
	v_and_b32_e32 v22, 0xffff0000, v22
	v_lshlrev_b32_e32 v33, 16, v26
	v_fmac_f32_e32 v16, v18, v25
	v_fmac_f32_e32 v15, v19, v25
	;; [unrolled: 1-line block ×4, first 2 shown]
	v_lshlrev_b32_e32 v30, 16, v23
	v_and_b32_e32 v23, 0xffff0000, v23
	v_lshlrev_b32_e32 v31, 16, v24
	v_and_b32_e32 v24, 0xffff0000, v24
	v_and_b32_e32 v26, 0xffff0000, v26
	v_fmac_f32_e32 v16, v28, v33
	v_fmac_f32_e32 v15, v21, v33
	v_fmac_f32_e32 v14, v29, v33
	v_fmac_f32_e32 v12, v22, v33
	v_fmac_f32_e32 v16, v30, v26
	v_fmac_f32_e32 v15, v23, v26
	v_fmac_f32_e32 v14, v31, v26
	v_fmac_f32_e32 v12, v24, v26
	s_andn2_b64 exec, exec, s[10:11]
	s_cbranch_execnz .LBB108_29
; %bb.30:
	s_or_b64 exec, exec, s[10:11]
.LBB108_31:
	s_or_b64 exec, exec, s[8:9]
	s_movk_i32 s0, 0x5f
	v_cmp_lt_u32_e32 vcc, s0, v5
	s_and_saveexec_b64 s[0:1], vcc
	s_cbranch_execz .LBB108_35
; %bb.32:
	s_mov_b64 s[8:9], 0
	v_mov_b32_e32 v7, s13
	v_mov_b32_e32 v8, s7
.LBB108_33:                             ; =>This Inner Loop Header: Depth=1
	v_ashrrev_i32_e32 v1, 31, v0
	v_lshlrev_b64 v[5:6], 2, v[0:1]
	global_load_dwordx4 v[17:20], v[2:3], off
	v_add_co_u32_e32 v5, vcc, s12, v5
	v_addc_co_u32_e32 v6, vcc, v7, v6, vcc
	global_load_dword v1, v[5:6], off
	v_add_u32_e32 v0, 0x80, v0
	s_waitcnt vmcnt(0)
	v_subrev_u32_e32 v1, s20, v1
	v_lshlrev_b32_e32 v9, 2, v1
	v_ashrrev_i32_e32 v10, 31, v9
	v_lshlrev_b64 v[9:10], 1, v[9:10]
	v_lshlrev_b32_e32 v1, 16, v17
	v_add_co_u32_e32 v9, vcc, s6, v9
	v_addc_co_u32_e32 v10, vcc, v8, v10, vcc
	global_load_dwordx2 v[9:10], v[9:10], off
	s_waitcnt vmcnt(0)
	v_lshlrev_b32_e32 v21, 16, v9
	v_fmac_f32_e32 v16, v1, v21
	v_and_b32_e32 v1, 0xffff0000, v17
	v_fmac_f32_e32 v15, v1, v21
	v_lshlrev_b32_e32 v1, 16, v18
	v_fmac_f32_e32 v14, v1, v21
	v_and_b32_e32 v1, 0xffff0000, v18
	v_fmac_f32_e32 v12, v1, v21
	v_lshlrev_b32_e32 v1, 16, v19
	v_and_b32_e32 v9, 0xffff0000, v9
	v_fmac_f32_e32 v16, v1, v9
	v_and_b32_e32 v1, 0xffff0000, v19
	v_fmac_f32_e32 v15, v1, v9
	v_lshlrev_b32_e32 v1, 16, v20
	v_fmac_f32_e32 v14, v1, v9
	v_and_b32_e32 v1, 0xffff0000, v20
	global_load_dwordx4 v[17:20], v[2:3], off offset:16
	v_fmac_f32_e32 v12, v1, v9
	v_lshlrev_b32_e32 v9, 16, v10
	s_waitcnt vmcnt(0)
	v_lshlrev_b32_e32 v1, 16, v17
	v_fmac_f32_e32 v16, v1, v9
	v_and_b32_e32 v1, 0xffff0000, v17
	v_fmac_f32_e32 v15, v1, v9
	v_lshlrev_b32_e32 v1, 16, v18
	v_fmac_f32_e32 v14, v1, v9
	v_and_b32_e32 v1, 0xffff0000, v18
	v_fmac_f32_e32 v12, v1, v9
	v_lshlrev_b32_e32 v1, 16, v19
	v_and_b32_e32 v9, 0xffff0000, v10
	v_fmac_f32_e32 v16, v1, v9
	v_and_b32_e32 v1, 0xffff0000, v19
	v_fmac_f32_e32 v15, v1, v9
	v_lshlrev_b32_e32 v1, 16, v20
	v_fmac_f32_e32 v14, v1, v9
	v_and_b32_e32 v1, 0xffff0000, v20
	v_fmac_f32_e32 v12, v1, v9
	global_load_dword v1, v[5:6], off offset:128
	global_load_dwordx4 v[17:20], v[2:3], off offset:1024
	s_waitcnt vmcnt(1)
	v_subrev_u32_e32 v1, s20, v1
	v_lshlrev_b32_e32 v9, 2, v1
	v_ashrrev_i32_e32 v10, 31, v9
	v_lshlrev_b64 v[9:10], 1, v[9:10]
	s_waitcnt vmcnt(0)
	v_lshlrev_b32_e32 v1, 16, v17
	v_add_co_u32_e32 v9, vcc, s6, v9
	v_addc_co_u32_e32 v10, vcc, v8, v10, vcc
	global_load_dwordx2 v[9:10], v[9:10], off
	s_waitcnt vmcnt(0)
	v_lshlrev_b32_e32 v21, 16, v9
	v_fmac_f32_e32 v16, v1, v21
	v_and_b32_e32 v1, 0xffff0000, v17
	v_fmac_f32_e32 v15, v1, v21
	v_lshlrev_b32_e32 v1, 16, v18
	v_fmac_f32_e32 v14, v1, v21
	v_and_b32_e32 v1, 0xffff0000, v18
	v_fmac_f32_e32 v12, v1, v21
	v_lshlrev_b32_e32 v1, 16, v19
	v_and_b32_e32 v9, 0xffff0000, v9
	v_fmac_f32_e32 v16, v1, v9
	v_and_b32_e32 v1, 0xffff0000, v19
	v_fmac_f32_e32 v15, v1, v9
	v_lshlrev_b32_e32 v1, 16, v20
	v_fmac_f32_e32 v14, v1, v9
	v_and_b32_e32 v1, 0xffff0000, v20
	global_load_dwordx4 v[17:20], v[2:3], off offset:1040
	v_fmac_f32_e32 v12, v1, v9
	v_lshlrev_b32_e32 v9, 16, v10
	s_waitcnt vmcnt(0)
	v_lshlrev_b32_e32 v1, 16, v17
	v_fmac_f32_e32 v16, v1, v9
	v_and_b32_e32 v1, 0xffff0000, v17
	v_fmac_f32_e32 v15, v1, v9
	v_lshlrev_b32_e32 v1, 16, v18
	v_fmac_f32_e32 v14, v1, v9
	v_and_b32_e32 v1, 0xffff0000, v18
	v_fmac_f32_e32 v12, v1, v9
	v_lshlrev_b32_e32 v1, 16, v19
	v_and_b32_e32 v9, 0xffff0000, v10
	v_fmac_f32_e32 v16, v1, v9
	v_and_b32_e32 v1, 0xffff0000, v19
	v_fmac_f32_e32 v15, v1, v9
	v_lshlrev_b32_e32 v1, 16, v20
	v_fmac_f32_e32 v14, v1, v9
	v_and_b32_e32 v1, 0xffff0000, v20
	v_fmac_f32_e32 v12, v1, v9
	global_load_dword v1, v[5:6], off offset:256
	global_load_dwordx4 v[17:20], v[2:3], off offset:2048
	s_waitcnt vmcnt(1)
	v_subrev_u32_e32 v1, s20, v1
	v_lshlrev_b32_e32 v9, 2, v1
	v_ashrrev_i32_e32 v10, 31, v9
	v_lshlrev_b64 v[9:10], 1, v[9:10]
	s_waitcnt vmcnt(0)
	;; [unrolled: 50-line block ×3, first 2 shown]
	v_lshlrev_b32_e32 v1, 16, v17
	v_add_co_u32_e32 v5, vcc, s6, v5
	v_addc_co_u32_e32 v6, vcc, v8, v6, vcc
	global_load_dwordx2 v[5:6], v[5:6], off
	s_waitcnt vmcnt(0)
	v_lshlrev_b32_e32 v9, 16, v5
	v_fmac_f32_e32 v16, v1, v9
	v_and_b32_e32 v1, 0xffff0000, v17
	v_fmac_f32_e32 v15, v1, v9
	v_lshlrev_b32_e32 v1, 16, v18
	v_fmac_f32_e32 v14, v1, v9
	v_and_b32_e32 v1, 0xffff0000, v18
	v_fmac_f32_e32 v12, v1, v9
	v_lshlrev_b32_e32 v1, 16, v19
	v_and_b32_e32 v5, 0xffff0000, v5
	v_fmac_f32_e32 v16, v1, v5
	v_and_b32_e32 v1, 0xffff0000, v19
	v_fmac_f32_e32 v15, v1, v5
	v_lshlrev_b32_e32 v1, 16, v20
	v_fmac_f32_e32 v14, v1, v5
	v_and_b32_e32 v1, 0xffff0000, v20
	global_load_dwordx4 v[17:20], v[2:3], off offset:3088
	v_fmac_f32_e32 v12, v1, v5
	v_lshlrev_b32_e32 v5, 16, v6
	v_add_co_u32_e32 v2, vcc, 0x1000, v2
	v_addc_co_u32_e32 v3, vcc, 0, v3, vcc
	v_cmp_ge_i32_e32 vcc, v0, v13
	s_or_b64 s[8:9], vcc, s[8:9]
	s_waitcnt vmcnt(0)
	v_lshlrev_b32_e32 v1, 16, v17
	v_fmac_f32_e32 v16, v1, v5
	v_and_b32_e32 v1, 0xffff0000, v17
	v_fmac_f32_e32 v15, v1, v5
	v_lshlrev_b32_e32 v1, 16, v18
	v_fmac_f32_e32 v14, v1, v5
	v_and_b32_e32 v1, 0xffff0000, v18
	v_fmac_f32_e32 v12, v1, v5
	v_lshlrev_b32_e32 v1, 16, v19
	v_and_b32_e32 v5, 0xffff0000, v6
	v_fmac_f32_e32 v16, v1, v5
	v_and_b32_e32 v1, 0xffff0000, v19
	v_fmac_f32_e32 v15, v1, v5
	v_lshlrev_b32_e32 v1, 16, v20
	v_fmac_f32_e32 v14, v1, v5
	v_and_b32_e32 v1, 0xffff0000, v20
	v_fmac_f32_e32 v12, v1, v5
	s_andn2_b64 exec, exec, s[8:9]
	s_cbranch_execnz .LBB108_33
; %bb.34:
	s_or_b64 exec, exec, s[8:9]
.LBB108_35:
	s_or_b64 exec, exec, s[0:1]
.LBB108_36:
	s_or_b64 exec, exec, s[2:3]
.LBB108_37:
	v_mov_b32_dpp v0, v16 row_shr:1 row_mask:0xf bank_mask:0xf
	v_mov_b32_dpp v2, v15 row_shr:1 row_mask:0xf bank_mask:0xf
	v_mov_b32_dpp v5, v14 row_shr:1 row_mask:0xf bank_mask:0xf
	v_mov_b32_dpp v7, v12 row_shr:1 row_mask:0xf bank_mask:0xf
	v_add_f32_e32 v0, v16, v0
	v_add_f32_e32 v2, v15, v2
	v_add_f32_e32 v5, v14, v5
	v_add_f32_e32 v7, v12, v7
	v_mov_b32_dpp v1, v0 row_shr:2 row_mask:0xf bank_mask:0xf
	v_mov_b32_dpp v3, v2 row_shr:2 row_mask:0xf bank_mask:0xf
	v_mov_b32_dpp v6, v5 row_shr:2 row_mask:0xf bank_mask:0xf
	v_mov_b32_dpp v8, v7 row_shr:2 row_mask:0xf bank_mask:0xf
	v_add_f32_e32 v0, v0, v1
	v_add_f32_e32 v2, v2, v3
	v_add_f32_e32 v5, v5, v6
	v_add_f32_e32 v7, v7, v8
	v_mov_b32_dpp v1, v0 row_shr:4 row_mask:0xf bank_mask:0xe
	v_mov_b32_dpp v3, v2 row_shr:4 row_mask:0xf bank_mask:0xe
	v_mov_b32_dpp v6, v5 row_shr:4 row_mask:0xf bank_mask:0xe
	v_mov_b32_dpp v8, v7 row_shr:4 row_mask:0xf bank_mask:0xe
	v_add_f32_e32 v0, v0, v1
	v_add_f32_e32 v2, v2, v3
	v_add_f32_e32 v5, v5, v6
	v_add_f32_e32 v7, v7, v8
	v_mov_b32_dpp v1, v0 row_shr:8 row_mask:0xf bank_mask:0xc
	v_mov_b32_dpp v3, v2 row_shr:8 row_mask:0xf bank_mask:0xc
	v_mov_b32_dpp v6, v5 row_shr:8 row_mask:0xf bank_mask:0xc
	v_mov_b32_dpp v8, v7 row_shr:8 row_mask:0xf bank_mask:0xc
	v_add_f32_e32 v0, v0, v1
	v_add_f32_e32 v2, v2, v3
	v_add_f32_e32 v5, v5, v6
	v_add_f32_e32 v7, v7, v8
	v_mov_b32_dpp v1, v0 row_bcast:15 row_mask:0xa bank_mask:0xf
	v_mov_b32_dpp v3, v2 row_bcast:15 row_mask:0xa bank_mask:0xf
	;; [unrolled: 1-line block ×4, first 2 shown]
	v_cmp_eq_u32_e32 vcc, 31, v11
	s_and_b64 exec, exec, vcc
	s_cbranch_execz .LBB108_10
; %bb.38:
	s_load_dwordx2 s[0:1], s[4:5], 0x50
	v_add_f32_e32 v0, v0, v1
	v_add_f32_e32 v1, v2, v3
	;; [unrolled: 1-line block ×4, first 2 shown]
	v_cmp_eq_f32_e64 s[2:3], s16, 0
	s_and_b64 vcc, exec, s[2:3]
	v_mul_f32_e32 v0, s18, v0
	v_mul_f32_e32 v1, s18, v1
	v_mul_f32_e32 v2, s18, v2
	v_mul_f32_e32 v3, s18, v3
	v_lshlrev_b32_e32 v4, 2, v4
	s_cbranch_vccz .LBB108_40
; %bb.39:
	v_ashrrev_i32_e32 v5, 31, v4
	v_lshlrev_b64 v[5:6], 2, v[4:5]
	s_waitcnt lgkmcnt(0)
	v_mov_b32_e32 v7, s1
	v_add_co_u32_e32 v5, vcc, s0, v5
	v_addc_co_u32_e32 v6, vcc, v7, v6, vcc
	global_store_dwordx4 v[5:6], v[0:3], off
	s_cbranch_execnz .LBB108_10
	s_branch .LBB108_41
.LBB108_40:
.LBB108_41:
	v_ashrrev_i32_e32 v5, 31, v4
	v_lshlrev_b64 v[4:5], 2, v[4:5]
	s_waitcnt lgkmcnt(0)
	v_mov_b32_e32 v6, s1
	v_add_co_u32_e32 v8, vcc, s0, v4
	v_addc_co_u32_e32 v9, vcc, v6, v5, vcc
	global_load_dwordx4 v[4:7], v[8:9], off
	s_waitcnt vmcnt(0)
	v_fmac_f32_e32 v0, s16, v4
	v_fmac_f32_e32 v1, s16, v5
	;; [unrolled: 1-line block ×4, first 2 shown]
	global_store_dwordx4 v[8:9], v[0:3], off
	s_endpgm
	.section	.rodata,"a",@progbits
	.p2align	6, 0x0
	.amdhsa_kernel _ZN9rocsparseL18bsrxmvn_4x4_kernelILj128ELj32Efii18rocsparse_bfloat16S1_fEEvT3_20rocsparse_direction_NS_24const_host_device_scalarIT1_EES2_PKS2_PKT2_SB_S8_PKT4_PKT5_S6_PT6_21rocsparse_index_base_b
		.amdhsa_group_segment_fixed_size 0
		.amdhsa_private_segment_fixed_size 0
		.amdhsa_kernarg_size 96
		.amdhsa_user_sgpr_count 6
		.amdhsa_user_sgpr_private_segment_buffer 1
		.amdhsa_user_sgpr_dispatch_ptr 0
		.amdhsa_user_sgpr_queue_ptr 0
		.amdhsa_user_sgpr_kernarg_segment_ptr 1
		.amdhsa_user_sgpr_dispatch_id 0
		.amdhsa_user_sgpr_flat_scratch_init 0
		.amdhsa_user_sgpr_private_segment_size 0
		.amdhsa_uses_dynamic_stack 0
		.amdhsa_system_sgpr_private_segment_wavefront_offset 0
		.amdhsa_system_sgpr_workgroup_id_x 1
		.amdhsa_system_sgpr_workgroup_id_y 0
		.amdhsa_system_sgpr_workgroup_id_z 0
		.amdhsa_system_sgpr_workgroup_info 0
		.amdhsa_system_vgpr_workitem_id 0
		.amdhsa_next_free_vgpr 38
		.amdhsa_next_free_sgpr 22
		.amdhsa_reserve_vcc 1
		.amdhsa_reserve_flat_scratch 0
		.amdhsa_float_round_mode_32 0
		.amdhsa_float_round_mode_16_64 0
		.amdhsa_float_denorm_mode_32 3
		.amdhsa_float_denorm_mode_16_64 3
		.amdhsa_dx10_clamp 1
		.amdhsa_ieee_mode 1
		.amdhsa_fp16_overflow 0
		.amdhsa_exception_fp_ieee_invalid_op 0
		.amdhsa_exception_fp_denorm_src 0
		.amdhsa_exception_fp_ieee_div_zero 0
		.amdhsa_exception_fp_ieee_overflow 0
		.amdhsa_exception_fp_ieee_underflow 0
		.amdhsa_exception_fp_ieee_inexact 0
		.amdhsa_exception_int_div_zero 0
	.end_amdhsa_kernel
	.section	.text._ZN9rocsparseL18bsrxmvn_4x4_kernelILj128ELj32Efii18rocsparse_bfloat16S1_fEEvT3_20rocsparse_direction_NS_24const_host_device_scalarIT1_EES2_PKS2_PKT2_SB_S8_PKT4_PKT5_S6_PT6_21rocsparse_index_base_b,"axG",@progbits,_ZN9rocsparseL18bsrxmvn_4x4_kernelILj128ELj32Efii18rocsparse_bfloat16S1_fEEvT3_20rocsparse_direction_NS_24const_host_device_scalarIT1_EES2_PKS2_PKT2_SB_S8_PKT4_PKT5_S6_PT6_21rocsparse_index_base_b,comdat
.Lfunc_end108:
	.size	_ZN9rocsparseL18bsrxmvn_4x4_kernelILj128ELj32Efii18rocsparse_bfloat16S1_fEEvT3_20rocsparse_direction_NS_24const_host_device_scalarIT1_EES2_PKS2_PKT2_SB_S8_PKT4_PKT5_S6_PT6_21rocsparse_index_base_b, .Lfunc_end108-_ZN9rocsparseL18bsrxmvn_4x4_kernelILj128ELj32Efii18rocsparse_bfloat16S1_fEEvT3_20rocsparse_direction_NS_24const_host_device_scalarIT1_EES2_PKS2_PKT2_SB_S8_PKT4_PKT5_S6_PT6_21rocsparse_index_base_b
                                        ; -- End function
	.set _ZN9rocsparseL18bsrxmvn_4x4_kernelILj128ELj32Efii18rocsparse_bfloat16S1_fEEvT3_20rocsparse_direction_NS_24const_host_device_scalarIT1_EES2_PKS2_PKT2_SB_S8_PKT4_PKT5_S6_PT6_21rocsparse_index_base_b.num_vgpr, 38
	.set _ZN9rocsparseL18bsrxmvn_4x4_kernelILj128ELj32Efii18rocsparse_bfloat16S1_fEEvT3_20rocsparse_direction_NS_24const_host_device_scalarIT1_EES2_PKS2_PKT2_SB_S8_PKT4_PKT5_S6_PT6_21rocsparse_index_base_b.num_agpr, 0
	.set _ZN9rocsparseL18bsrxmvn_4x4_kernelILj128ELj32Efii18rocsparse_bfloat16S1_fEEvT3_20rocsparse_direction_NS_24const_host_device_scalarIT1_EES2_PKS2_PKT2_SB_S8_PKT4_PKT5_S6_PT6_21rocsparse_index_base_b.numbered_sgpr, 22
	.set _ZN9rocsparseL18bsrxmvn_4x4_kernelILj128ELj32Efii18rocsparse_bfloat16S1_fEEvT3_20rocsparse_direction_NS_24const_host_device_scalarIT1_EES2_PKS2_PKT2_SB_S8_PKT4_PKT5_S6_PT6_21rocsparse_index_base_b.num_named_barrier, 0
	.set _ZN9rocsparseL18bsrxmvn_4x4_kernelILj128ELj32Efii18rocsparse_bfloat16S1_fEEvT3_20rocsparse_direction_NS_24const_host_device_scalarIT1_EES2_PKS2_PKT2_SB_S8_PKT4_PKT5_S6_PT6_21rocsparse_index_base_b.private_seg_size, 0
	.set _ZN9rocsparseL18bsrxmvn_4x4_kernelILj128ELj32Efii18rocsparse_bfloat16S1_fEEvT3_20rocsparse_direction_NS_24const_host_device_scalarIT1_EES2_PKS2_PKT2_SB_S8_PKT4_PKT5_S6_PT6_21rocsparse_index_base_b.uses_vcc, 1
	.set _ZN9rocsparseL18bsrxmvn_4x4_kernelILj128ELj32Efii18rocsparse_bfloat16S1_fEEvT3_20rocsparse_direction_NS_24const_host_device_scalarIT1_EES2_PKS2_PKT2_SB_S8_PKT4_PKT5_S6_PT6_21rocsparse_index_base_b.uses_flat_scratch, 0
	.set _ZN9rocsparseL18bsrxmvn_4x4_kernelILj128ELj32Efii18rocsparse_bfloat16S1_fEEvT3_20rocsparse_direction_NS_24const_host_device_scalarIT1_EES2_PKS2_PKT2_SB_S8_PKT4_PKT5_S6_PT6_21rocsparse_index_base_b.has_dyn_sized_stack, 0
	.set _ZN9rocsparseL18bsrxmvn_4x4_kernelILj128ELj32Efii18rocsparse_bfloat16S1_fEEvT3_20rocsparse_direction_NS_24const_host_device_scalarIT1_EES2_PKS2_PKT2_SB_S8_PKT4_PKT5_S6_PT6_21rocsparse_index_base_b.has_recursion, 0
	.set _ZN9rocsparseL18bsrxmvn_4x4_kernelILj128ELj32Efii18rocsparse_bfloat16S1_fEEvT3_20rocsparse_direction_NS_24const_host_device_scalarIT1_EES2_PKS2_PKT2_SB_S8_PKT4_PKT5_S6_PT6_21rocsparse_index_base_b.has_indirect_call, 0
	.section	.AMDGPU.csdata,"",@progbits
; Kernel info:
; codeLenInByte = 4064
; TotalNumSgprs: 26
; NumVgprs: 38
; ScratchSize: 0
; MemoryBound: 0
; FloatMode: 240
; IeeeMode: 1
; LDSByteSize: 0 bytes/workgroup (compile time only)
; SGPRBlocks: 3
; VGPRBlocks: 9
; NumSGPRsForWavesPerEU: 26
; NumVGPRsForWavesPerEU: 38
; Occupancy: 6
; WaveLimiterHint : 1
; COMPUTE_PGM_RSRC2:SCRATCH_EN: 0
; COMPUTE_PGM_RSRC2:USER_SGPR: 6
; COMPUTE_PGM_RSRC2:TRAP_HANDLER: 0
; COMPUTE_PGM_RSRC2:TGID_X_EN: 1
; COMPUTE_PGM_RSRC2:TGID_Y_EN: 0
; COMPUTE_PGM_RSRC2:TGID_Z_EN: 0
; COMPUTE_PGM_RSRC2:TIDIG_COMP_CNT: 0
	.section	.text._ZN9rocsparseL18bsrxmvn_4x4_kernelILj128ELj64Efii18rocsparse_bfloat16S1_fEEvT3_20rocsparse_direction_NS_24const_host_device_scalarIT1_EES2_PKS2_PKT2_SB_S8_PKT4_PKT5_S6_PT6_21rocsparse_index_base_b,"axG",@progbits,_ZN9rocsparseL18bsrxmvn_4x4_kernelILj128ELj64Efii18rocsparse_bfloat16S1_fEEvT3_20rocsparse_direction_NS_24const_host_device_scalarIT1_EES2_PKS2_PKT2_SB_S8_PKT4_PKT5_S6_PT6_21rocsparse_index_base_b,comdat
	.globl	_ZN9rocsparseL18bsrxmvn_4x4_kernelILj128ELj64Efii18rocsparse_bfloat16S1_fEEvT3_20rocsparse_direction_NS_24const_host_device_scalarIT1_EES2_PKS2_PKT2_SB_S8_PKT4_PKT5_S6_PT6_21rocsparse_index_base_b ; -- Begin function _ZN9rocsparseL18bsrxmvn_4x4_kernelILj128ELj64Efii18rocsparse_bfloat16S1_fEEvT3_20rocsparse_direction_NS_24const_host_device_scalarIT1_EES2_PKS2_PKT2_SB_S8_PKT4_PKT5_S6_PT6_21rocsparse_index_base_b
	.p2align	8
	.type	_ZN9rocsparseL18bsrxmvn_4x4_kernelILj128ELj64Efii18rocsparse_bfloat16S1_fEEvT3_20rocsparse_direction_NS_24const_host_device_scalarIT1_EES2_PKS2_PKT2_SB_S8_PKT4_PKT5_S6_PT6_21rocsparse_index_base_b,@function
_ZN9rocsparseL18bsrxmvn_4x4_kernelILj128ELj64Efii18rocsparse_bfloat16S1_fEEvT3_20rocsparse_direction_NS_24const_host_device_scalarIT1_EES2_PKS2_PKT2_SB_S8_PKT4_PKT5_S6_PT6_21rocsparse_index_base_b: ; @_ZN9rocsparseL18bsrxmvn_4x4_kernelILj128ELj64Efii18rocsparse_bfloat16S1_fEEvT3_20rocsparse_direction_NS_24const_host_device_scalarIT1_EES2_PKS2_PKT2_SB_S8_PKT4_PKT5_S6_PT6_21rocsparse_index_base_b
; %bb.0:
	s_load_dwordx2 s[20:21], s[4:5], 0x58
	s_load_dwordx2 s[18:19], s[4:5], 0x8
	;; [unrolled: 1-line block ×3, first 2 shown]
	s_waitcnt lgkmcnt(0)
	s_bitcmp1_b32 s21, 0
	s_cselect_b64 s[2:3], -1, 0
	s_xor_b64 s[0:1], s[2:3], -1
	s_and_b64 vcc, exec, s[2:3]
	s_cbranch_vccnz .LBB109_2
; %bb.1:
	s_load_dword s18, s[18:19], 0x0
.LBB109_2:
	s_andn2_b64 vcc, exec, s[0:1]
	s_cbranch_vccnz .LBB109_4
; %bb.3:
	s_load_dword s16, s[16:17], 0x0
.LBB109_4:
	s_waitcnt lgkmcnt(0)
	v_cmp_neq_f32_e64 s[0:1], s18, 0
	v_cmp_neq_f32_e64 s[2:3], s16, 1.0
	s_or_b64 s[0:1], s[0:1], s[2:3]
	s_andn2_b64 vcc, exec, s[0:1]
	s_cbranch_vccnz .LBB109_10
; %bb.5:
	s_load_dwordx2 s[8:9], s[4:5], 0x18
	s_load_dwordx2 s[0:1], s[4:5], 0x0
	v_lshrrev_b32_e32 v1, 6, v0
	v_lshl_or_b32 v4, s6, 1, v1
	s_mov_b64 s[2:3], 0
	s_waitcnt lgkmcnt(0)
	s_cmp_lg_u64 s[8:9], 0
	s_cbranch_scc0 .LBB109_11
; %bb.6:
	s_load_dword s6, s[4:5], 0x10
                                        ; implicit-def: $vgpr1
	s_waitcnt lgkmcnt(0)
	v_cmp_gt_i32_e32 vcc, s6, v4
	s_and_saveexec_b64 s[6:7], vcc
	s_xor_b64 s[6:7], exec, s[6:7]
	s_cbranch_execz .LBB109_8
; %bb.7:
	v_ashrrev_i32_e32 v5, 31, v4
	v_lshlrev_b64 v[1:2], 2, v[4:5]
	v_mov_b32_e32 v3, s9
	v_add_co_u32_e32 v1, vcc, s8, v1
	v_addc_co_u32_e32 v2, vcc, v3, v2, vcc
	global_load_dword v1, v[1:2], off
	s_mov_b64 s[2:3], exec
	s_waitcnt vmcnt(0)
	v_subrev_u32_e32 v1, s20, v1
.LBB109_8:
	s_or_b64 exec, exec, s[6:7]
	s_branch .LBB109_12
.LBB109_9:
	v_cmp_gt_i32_e32 vcc, s0, v4
	s_andn2_b64 s[2:3], s[2:3], exec
	s_and_b64 s[6:7], vcc, exec
	s_or_b64 s[2:3], s[2:3], s[6:7]
	s_and_saveexec_b64 s[6:7], s[2:3]
	s_cbranch_execnz .LBB109_13
.LBB109_10:
	s_endpgm
.LBB109_11:
                                        ; implicit-def: $vgpr1
	s_cbranch_execnz .LBB109_9
.LBB109_12:
	v_mov_b32_e32 v4, v1
	s_and_saveexec_b64 s[6:7], s[2:3]
	s_cbranch_execz .LBB109_10
.LBB109_13:
	s_load_dwordx8 s[8:15], s[4:5], 0x20
	v_ashrrev_i32_e32 v5, 31, v4
	v_lshlrev_b64 v[1:2], 2, v[4:5]
	v_and_b32_e32 v11, 63, v0
	s_load_dwordx2 s[6:7], s[4:5], 0x40
	s_waitcnt lgkmcnt(0)
	v_mov_b32_e32 v3, s9
	v_add_co_u32_e32 v5, vcc, s8, v1
	v_addc_co_u32_e32 v6, vcc, v3, v2, vcc
	v_add_co_u32_e32 v3, vcc, 4, v5
	global_load_dword v17, v[5:6], off
	v_addc_co_u32_e32 v5, vcc, 0, v6, vcc
	v_mov_b32_e32 v6, s11
	v_add_co_u32_e32 v1, vcc, s10, v1
	s_cmp_eq_u64 s[10:11], 0
	v_addc_co_u32_e32 v2, vcc, v6, v2, vcc
	s_cselect_b64 vcc, -1, 0
	v_cndmask_b32_e32 v2, v2, v5, vcc
	v_cndmask_b32_e32 v1, v1, v3, vcc
	global_load_dword v1, v[1:2], off
	v_mov_b32_e32 v5, s15
	s_cmp_eq_u32 s1, 1
	s_waitcnt vmcnt(1)
	v_subrev_u32_e32 v0, s20, v17
	v_add_u32_e32 v0, v0, v11
	s_waitcnt vmcnt(0)
	v_subrev_u32_e32 v13, s20, v1
	v_ashrrev_i32_e32 v1, 31, v0
	v_lshlrev_b64 v[2:3], 5, v[0:1]
	v_cmp_lt_i32_e64 s[0:1], v0, v13
	v_add_co_u32_e32 v2, vcc, s14, v2
	v_addc_co_u32_e32 v3, vcc, v5, v3, vcc
	s_cbranch_scc1 .LBB109_25
; %bb.14:
	v_mov_b32_e32 v12, 0
	v_mov_b32_e32 v14, 0
	;; [unrolled: 1-line block ×4, first 2 shown]
	s_and_saveexec_b64 s[8:9], s[0:1]
	s_cbranch_execz .LBB109_24
; %bb.15:
	v_add_u32_e32 v1, v17, v11
	v_subrev_u32_e32 v1, s20, v1
	v_add_u32_e32 v1, 64, v1
	v_max_i32_e32 v1, v1, v13
	v_not_b32_e32 v5, v17
	v_add3_u32 v1, s20, v1, v5
	v_sub_u32_e32 v1, v1, v11
	s_movk_i32 s2, 0xc0
	v_and_b32_e32 v5, 0xc0, v1
	v_mov_b32_e32 v8, v3
	v_cmp_ne_u32_e32 vcc, s2, v5
	v_mov_b32_e32 v16, 0
	v_mov_b32_e32 v15, 0
	;; [unrolled: 1-line block ×6, first 2 shown]
	s_and_saveexec_b64 s[10:11], vcc
	s_cbranch_execz .LBB109_19
; %bb.16:
	v_lshrrev_b32_e32 v5, 6, v1
	v_add_u32_e32 v5, 1, v5
	v_and_b32_e32 v5, 3, v5
	v_mov_b32_e32 v8, v3
	v_sub_u32_e32 v9, 0, v5
	v_mov_b32_e32 v12, 0
	s_mov_b64 s[14:15], 0
	v_mov_b32_e32 v10, s13
	v_mov_b32_e32 v18, s7
	;; [unrolled: 1-line block ×7, first 2 shown]
.LBB109_17:                             ; =>This Inner Loop Header: Depth=1
	v_ashrrev_i32_e32 v6, 31, v5
	v_lshlrev_b64 v[19:20], 2, v[5:6]
	v_add_co_u32_e64 v9, s[2:3], 1, v9
	v_add_co_u32_e32 v27, vcc, s12, v19
	v_addc_co_u32_e32 v28, vcc, v10, v20, vcc
	global_load_dword v6, v[27:28], off
	global_load_dwordx4 v[19:22], v[7:8], off
	global_load_dwordx4 v[23:26], v[7:8], off offset:16
	v_add_u32_e32 v5, 64, v5
	s_or_b64 s[14:15], s[2:3], s[14:15]
	s_waitcnt vmcnt(2)
	v_subrev_u32_e32 v6, s20, v6
	v_lshlrev_b32_e32 v27, 2, v6
	v_ashrrev_i32_e32 v28, 31, v27
	v_lshlrev_b64 v[27:28], 1, v[27:28]
	s_waitcnt vmcnt(1)
	v_lshlrev_b32_e32 v6, 16, v19
	v_add_co_u32_e32 v27, vcc, s6, v27
	v_addc_co_u32_e32 v28, vcc, v18, v28, vcc
	global_load_dwordx2 v[27:28], v[27:28], off
	v_lshlrev_b32_e32 v30, 16, v21
	s_waitcnt vmcnt(1)
	v_lshlrev_b32_e32 v32, 16, v23
	v_lshlrev_b32_e32 v34, 16, v25
	v_and_b32_e32 v19, 0xffff0000, v19
	v_and_b32_e32 v21, 0xffff0000, v21
	;; [unrolled: 1-line block ×4, first 2 shown]
	v_lshlrev_b32_e32 v29, 16, v20
	v_lshlrev_b32_e32 v31, 16, v22
	;; [unrolled: 1-line block ×4, first 2 shown]
	v_add_co_u32_e32 v7, vcc, 0x800, v7
	v_and_b32_e32 v20, 0xffff0000, v20
	v_and_b32_e32 v22, 0xffff0000, v22
	;; [unrolled: 1-line block ×4, first 2 shown]
	v_addc_co_u32_e32 v8, vcc, 0, v8, vcc
	s_waitcnt vmcnt(0)
	v_lshlrev_b32_e32 v36, 16, v27
	v_and_b32_e32 v27, 0xffff0000, v27
	v_fmac_f32_e32 v16, v6, v36
	v_fmac_f32_e32 v15, v30, v36
	;; [unrolled: 1-line block ×4, first 2 shown]
	v_lshlrev_b32_e32 v37, 16, v28
	v_fmac_f32_e32 v16, v19, v27
	v_fmac_f32_e32 v15, v21, v27
	;; [unrolled: 1-line block ×4, first 2 shown]
	v_and_b32_e32 v28, 0xffff0000, v28
	v_fmac_f32_e32 v16, v29, v37
	v_fmac_f32_e32 v15, v31, v37
	;; [unrolled: 1-line block ×8, first 2 shown]
	s_andn2_b64 exec, exec, s[14:15]
	s_cbranch_execnz .LBB109_17
; %bb.18:
	s_or_b64 exec, exec, s[14:15]
.LBB109_19:
	s_or_b64 exec, exec, s[10:11]
	s_movk_i32 s2, 0xbf
	v_cmp_lt_u32_e32 vcc, s2, v1
	s_and_saveexec_b64 s[10:11], vcc
	s_cbranch_execz .LBB109_23
; %bb.20:
	s_mov_b64 s[14:15], 0
	v_mov_b32_e32 v1, s13
	v_mov_b32_e32 v18, s7
	s_movk_i32 s17, 0x1000
.LBB109_21:                             ; =>This Inner Loop Header: Depth=1
	v_ashrrev_i32_e32 v6, 31, v5
	v_lshlrev_b64 v[9:10], 2, v[5:6]
	global_load_dwordx4 v[19:22], v[7:8], off
	v_add_co_u32_e32 v9, vcc, s12, v9
	v_addc_co_u32_e32 v10, vcc, v1, v10, vcc
	global_load_dword v6, v[9:10], off
	v_add_u32_e32 v5, 0x100, v5
	v_cmp_ge_i32_e64 s[2:3], v5, v13
	s_or_b64 s[14:15], s[2:3], s[14:15]
	s_waitcnt vmcnt(0)
	v_subrev_u32_e32 v6, s20, v6
	v_lshlrev_b32_e32 v23, 2, v6
	v_ashrrev_i32_e32 v24, 31, v23
	v_lshlrev_b64 v[23:24], 1, v[23:24]
	v_lshlrev_b32_e32 v6, 16, v19
	v_add_co_u32_e32 v23, vcc, s6, v23
	v_addc_co_u32_e32 v24, vcc, v18, v24, vcc
	global_load_dwordx2 v[23:24], v[23:24], off
	s_waitcnt vmcnt(0)
	v_lshlrev_b32_e32 v25, 16, v23
	v_fmac_f32_e32 v16, v6, v25
	v_and_b32_e32 v6, 0xffff0000, v19
	v_and_b32_e32 v23, 0xffff0000, v23
	v_fmac_f32_e32 v16, v6, v23
	v_lshlrev_b32_e32 v6, 16, v20
	v_lshlrev_b32_e32 v26, 16, v24
	v_fmac_f32_e32 v16, v6, v26
	v_and_b32_e32 v6, 0xffff0000, v20
	v_and_b32_e32 v24, 0xffff0000, v24
	v_fmac_f32_e32 v16, v6, v24
	v_lshlrev_b32_e32 v6, 16, v21
	v_fmac_f32_e32 v15, v6, v25
	v_and_b32_e32 v6, 0xffff0000, v21
	v_fmac_f32_e32 v15, v6, v23
	v_lshlrev_b32_e32 v6, 16, v22
	v_fmac_f32_e32 v15, v6, v26
	v_and_b32_e32 v6, 0xffff0000, v22
	global_load_dwordx4 v[19:22], v[7:8], off offset:16
	v_fmac_f32_e32 v15, v6, v24
	s_waitcnt vmcnt(0)
	v_lshlrev_b32_e32 v6, 16, v19
	v_fmac_f32_e32 v14, v6, v25
	v_and_b32_e32 v6, 0xffff0000, v19
	v_fmac_f32_e32 v14, v6, v23
	v_lshlrev_b32_e32 v6, 16, v20
	v_fmac_f32_e32 v14, v6, v26
	v_and_b32_e32 v6, 0xffff0000, v20
	v_fmac_f32_e32 v14, v6, v24
	;; [unrolled: 4-line block ×4, first 2 shown]
	global_load_dword v6, v[9:10], off offset:256
	global_load_dwordx4 v[19:22], v[7:8], off offset:2048
	s_waitcnt vmcnt(1)
	v_subrev_u32_e32 v6, s20, v6
	v_lshlrev_b32_e32 v23, 2, v6
	v_ashrrev_i32_e32 v24, 31, v23
	v_lshlrev_b64 v[23:24], 1, v[23:24]
	s_waitcnt vmcnt(0)
	v_lshlrev_b32_e32 v6, 16, v19
	v_add_co_u32_e32 v23, vcc, s6, v23
	v_addc_co_u32_e32 v24, vcc, v18, v24, vcc
	global_load_dwordx2 v[23:24], v[23:24], off
	s_waitcnt vmcnt(0)
	v_lshlrev_b32_e32 v25, 16, v23
	v_fmac_f32_e32 v16, v6, v25
	v_and_b32_e32 v6, 0xffff0000, v19
	v_and_b32_e32 v23, 0xffff0000, v23
	v_fmac_f32_e32 v16, v6, v23
	v_lshlrev_b32_e32 v6, 16, v20
	v_lshlrev_b32_e32 v26, 16, v24
	v_fmac_f32_e32 v16, v6, v26
	v_and_b32_e32 v6, 0xffff0000, v20
	v_and_b32_e32 v24, 0xffff0000, v24
	v_fmac_f32_e32 v16, v6, v24
	v_lshlrev_b32_e32 v6, 16, v21
	v_fmac_f32_e32 v15, v6, v25
	v_and_b32_e32 v6, 0xffff0000, v21
	v_fmac_f32_e32 v15, v6, v23
	v_lshlrev_b32_e32 v6, 16, v22
	v_fmac_f32_e32 v15, v6, v26
	v_and_b32_e32 v6, 0xffff0000, v22
	global_load_dwordx4 v[19:22], v[7:8], off offset:2064
	v_fmac_f32_e32 v15, v6, v24
	s_waitcnt vmcnt(0)
	v_lshlrev_b32_e32 v6, 16, v19
	v_fmac_f32_e32 v14, v6, v25
	v_and_b32_e32 v6, 0xffff0000, v19
	v_fmac_f32_e32 v14, v6, v23
	v_lshlrev_b32_e32 v6, 16, v20
	v_fmac_f32_e32 v14, v6, v26
	v_and_b32_e32 v6, 0xffff0000, v20
	v_fmac_f32_e32 v14, v6, v24
	;; [unrolled: 4-line block ×4, first 2 shown]
	global_load_dword v6, v[9:10], off offset:512
	v_add_co_u32_e32 v23, vcc, s17, v7
	v_addc_co_u32_e32 v24, vcc, 0, v8, vcc
	global_load_dwordx4 v[19:22], v[23:24], off
	s_waitcnt vmcnt(1)
	v_subrev_u32_e32 v6, s20, v6
	v_lshlrev_b32_e32 v25, 2, v6
	v_ashrrev_i32_e32 v26, 31, v25
	v_lshlrev_b64 v[25:26], 1, v[25:26]
	v_add_co_u32_e32 v25, vcc, s6, v25
	v_addc_co_u32_e32 v26, vcc, v18, v26, vcc
	global_load_dwordx2 v[25:26], v[25:26], off
	s_waitcnt vmcnt(1)
	v_lshlrev_b32_e32 v6, 16, v19
	s_waitcnt vmcnt(0)
	v_lshlrev_b32_e32 v27, 16, v25
	v_fmac_f32_e32 v16, v6, v27
	v_and_b32_e32 v6, 0xffff0000, v19
	v_and_b32_e32 v25, 0xffff0000, v25
	v_fmac_f32_e32 v16, v6, v25
	v_lshlrev_b32_e32 v6, 16, v20
	v_lshlrev_b32_e32 v28, 16, v26
	v_fmac_f32_e32 v16, v6, v28
	v_and_b32_e32 v6, 0xffff0000, v20
	v_and_b32_e32 v26, 0xffff0000, v26
	v_fmac_f32_e32 v16, v6, v26
	v_lshlrev_b32_e32 v6, 16, v21
	v_fmac_f32_e32 v15, v6, v27
	v_and_b32_e32 v6, 0xffff0000, v21
	v_fmac_f32_e32 v15, v6, v25
	v_lshlrev_b32_e32 v6, 16, v22
	v_fmac_f32_e32 v15, v6, v28
	v_and_b32_e32 v6, 0xffff0000, v22
	global_load_dwordx4 v[19:22], v[23:24], off offset:16
	v_fmac_f32_e32 v15, v6, v26
	s_waitcnt vmcnt(0)
	v_lshlrev_b32_e32 v6, 16, v19
	v_fmac_f32_e32 v14, v6, v27
	v_and_b32_e32 v6, 0xffff0000, v19
	v_fmac_f32_e32 v14, v6, v25
	v_lshlrev_b32_e32 v6, 16, v20
	v_fmac_f32_e32 v14, v6, v28
	v_and_b32_e32 v6, 0xffff0000, v20
	v_fmac_f32_e32 v14, v6, v26
	;; [unrolled: 4-line block ×4, first 2 shown]
	global_load_dword v6, v[9:10], off offset:768
	global_load_dwordx4 v[19:22], v[23:24], off offset:2048
	s_waitcnt vmcnt(1)
	v_subrev_u32_e32 v6, s20, v6
	v_lshlrev_b32_e32 v9, 2, v6
	v_ashrrev_i32_e32 v10, 31, v9
	v_lshlrev_b64 v[9:10], 1, v[9:10]
	s_waitcnt vmcnt(0)
	v_lshlrev_b32_e32 v6, 16, v19
	v_add_co_u32_e32 v9, vcc, s6, v9
	v_addc_co_u32_e32 v10, vcc, v18, v10, vcc
	global_load_dwordx2 v[9:10], v[9:10], off
	v_add_co_u32_e32 v7, vcc, 0x2000, v7
	v_addc_co_u32_e32 v8, vcc, 0, v8, vcc
	s_waitcnt vmcnt(0)
	v_lshlrev_b32_e32 v25, 16, v9
	v_fmac_f32_e32 v16, v6, v25
	v_and_b32_e32 v6, 0xffff0000, v19
	v_and_b32_e32 v9, 0xffff0000, v9
	v_fmac_f32_e32 v16, v6, v9
	v_lshlrev_b32_e32 v6, 16, v20
	v_lshlrev_b32_e32 v26, 16, v10
	v_fmac_f32_e32 v16, v6, v26
	v_and_b32_e32 v6, 0xffff0000, v20
	v_and_b32_e32 v10, 0xffff0000, v10
	v_fmac_f32_e32 v16, v6, v10
	v_lshlrev_b32_e32 v6, 16, v21
	v_fmac_f32_e32 v15, v6, v25
	v_and_b32_e32 v6, 0xffff0000, v21
	v_fmac_f32_e32 v15, v6, v9
	v_lshlrev_b32_e32 v6, 16, v22
	v_fmac_f32_e32 v15, v6, v26
	v_and_b32_e32 v6, 0xffff0000, v22
	global_load_dwordx4 v[19:22], v[23:24], off offset:2064
	v_fmac_f32_e32 v15, v6, v10
	s_waitcnt vmcnt(0)
	v_lshlrev_b32_e32 v6, 16, v19
	v_fmac_f32_e32 v14, v6, v25
	v_and_b32_e32 v6, 0xffff0000, v19
	v_fmac_f32_e32 v14, v6, v9
	v_lshlrev_b32_e32 v6, 16, v20
	v_fmac_f32_e32 v14, v6, v26
	v_and_b32_e32 v6, 0xffff0000, v20
	v_fmac_f32_e32 v14, v6, v10
	v_lshlrev_b32_e32 v6, 16, v21
	v_fmac_f32_e32 v12, v6, v25
	v_and_b32_e32 v6, 0xffff0000, v21
	v_fmac_f32_e32 v12, v6, v9
	v_lshlrev_b32_e32 v6, 16, v22
	v_fmac_f32_e32 v12, v6, v26
	v_and_b32_e32 v6, 0xffff0000, v22
	v_fmac_f32_e32 v12, v6, v10
	s_andn2_b64 exec, exec, s[14:15]
	s_cbranch_execnz .LBB109_21
; %bb.22:
	s_or_b64 exec, exec, s[14:15]
.LBB109_23:
	s_or_b64 exec, exec, s[10:11]
.LBB109_24:
	s_or_b64 exec, exec, s[8:9]
	s_cbranch_execz .LBB109_26
	s_branch .LBB109_37
.LBB109_25:
                                        ; implicit-def: $vgpr12
                                        ; implicit-def: $vgpr14
                                        ; implicit-def: $vgpr15
                                        ; implicit-def: $vgpr16
.LBB109_26:
	v_mov_b32_e32 v12, 0
	v_mov_b32_e32 v14, 0
	;; [unrolled: 1-line block ×4, first 2 shown]
	s_and_saveexec_b64 s[2:3], s[0:1]
	s_cbranch_execz .LBB109_36
; %bb.27:
	v_add_u32_e32 v1, v17, v11
	v_subrev_u32_e32 v1, s20, v1
	v_add_u32_e32 v1, 64, v1
	v_max_i32_e32 v1, v1, v13
	v_not_b32_e32 v5, v17
	v_add3_u32 v1, s20, v1, v5
	v_sub_u32_e32 v5, v1, v11
	s_movk_i32 s0, 0xc0
	v_and_b32_e32 v1, 0xc0, v5
	v_cmp_ne_u32_e32 vcc, s0, v1
	v_mov_b32_e32 v16, 0
	v_mov_b32_e32 v15, 0
	;; [unrolled: 1-line block ×4, first 2 shown]
	s_and_saveexec_b64 s[8:9], vcc
	s_cbranch_execz .LBB109_31
; %bb.28:
	v_lshrrev_b32_e32 v1, 6, v5
	v_add_u32_e32 v1, 1, v1
	v_and_b32_e32 v1, 3, v1
	v_sub_u32_e32 v6, 0, v1
	v_mov_b32_e32 v12, 0
	s_mov_b64 s[10:11], 0
	v_mov_b32_e32 v7, s13
	v_mov_b32_e32 v8, s7
	v_mov_b32_e32 v14, 0
	v_mov_b32_e32 v15, 0
	v_mov_b32_e32 v16, 0
.LBB109_29:                             ; =>This Inner Loop Header: Depth=1
	v_ashrrev_i32_e32 v1, 31, v0
	v_lshlrev_b64 v[9:10], 2, v[0:1]
	v_add_co_u32_e64 v6, s[0:1], 1, v6
	v_add_co_u32_e32 v9, vcc, s12, v9
	v_addc_co_u32_e32 v10, vcc, v7, v10, vcc
	global_load_dword v1, v[9:10], off
	global_load_dwordx4 v[17:20], v[2:3], off
	v_add_u32_e32 v0, 64, v0
	s_or_b64 s[10:11], s[0:1], s[10:11]
	s_waitcnt vmcnt(1)
	v_subrev_u32_e32 v1, s20, v1
	v_lshlrev_b32_e32 v9, 2, v1
	v_ashrrev_i32_e32 v10, 31, v9
	v_lshlrev_b64 v[9:10], 1, v[9:10]
	s_waitcnt vmcnt(0)
	v_lshlrev_b32_e32 v1, 16, v17
	v_add_co_u32_e32 v9, vcc, s6, v9
	v_addc_co_u32_e32 v10, vcc, v8, v10, vcc
	global_load_dwordx2 v[25:26], v[9:10], off
	global_load_dwordx4 v[21:24], v[2:3], off offset:16
	v_and_b32_e32 v9, 0xffff0000, v17
	v_lshlrev_b32_e32 v10, 16, v18
	v_and_b32_e32 v17, 0xffff0000, v18
	v_lshlrev_b32_e32 v18, 16, v19
	;; [unrolled: 2-line block ×3, first 2 shown]
	v_and_b32_e32 v20, 0xffff0000, v20
	v_add_co_u32_e32 v2, vcc, 0x800, v2
	v_addc_co_u32_e32 v3, vcc, 0, v3, vcc
	s_waitcnt vmcnt(1)
	v_lshlrev_b32_e32 v32, 16, v25
	v_and_b32_e32 v25, 0xffff0000, v25
	v_fmac_f32_e32 v16, v1, v32
	v_fmac_f32_e32 v15, v9, v32
	v_fmac_f32_e32 v14, v10, v32
	v_fmac_f32_e32 v12, v17, v32
	s_waitcnt vmcnt(0)
	v_lshlrev_b32_e32 v28, 16, v21
	v_and_b32_e32 v21, 0xffff0000, v21
	v_lshlrev_b32_e32 v29, 16, v22
	v_and_b32_e32 v22, 0xffff0000, v22
	v_lshlrev_b32_e32 v33, 16, v26
	v_fmac_f32_e32 v16, v18, v25
	v_fmac_f32_e32 v15, v19, v25
	;; [unrolled: 1-line block ×4, first 2 shown]
	v_lshlrev_b32_e32 v30, 16, v23
	v_and_b32_e32 v23, 0xffff0000, v23
	v_lshlrev_b32_e32 v31, 16, v24
	v_and_b32_e32 v24, 0xffff0000, v24
	v_and_b32_e32 v26, 0xffff0000, v26
	v_fmac_f32_e32 v16, v28, v33
	v_fmac_f32_e32 v15, v21, v33
	;; [unrolled: 1-line block ×8, first 2 shown]
	s_andn2_b64 exec, exec, s[10:11]
	s_cbranch_execnz .LBB109_29
; %bb.30:
	s_or_b64 exec, exec, s[10:11]
.LBB109_31:
	s_or_b64 exec, exec, s[8:9]
	s_movk_i32 s0, 0xbf
	v_cmp_lt_u32_e32 vcc, s0, v5
	s_and_saveexec_b64 s[8:9], vcc
	s_cbranch_execz .LBB109_35
; %bb.32:
	s_mov_b64 s[10:11], 0
	v_mov_b32_e32 v7, s13
	v_mov_b32_e32 v8, s7
	s_movk_i32 s7, 0x1000
.LBB109_33:                             ; =>This Inner Loop Header: Depth=1
	v_ashrrev_i32_e32 v1, 31, v0
	v_lshlrev_b64 v[5:6], 2, v[0:1]
	global_load_dwordx4 v[17:20], v[2:3], off
	v_add_co_u32_e32 v5, vcc, s12, v5
	v_addc_co_u32_e32 v6, vcc, v7, v6, vcc
	global_load_dword v1, v[5:6], off
	v_add_u32_e32 v0, 0x100, v0
	v_cmp_ge_i32_e64 s[0:1], v0, v13
	s_or_b64 s[10:11], s[0:1], s[10:11]
	s_waitcnt vmcnt(0)
	v_subrev_u32_e32 v1, s20, v1
	v_lshlrev_b32_e32 v9, 2, v1
	v_ashrrev_i32_e32 v10, 31, v9
	v_lshlrev_b64 v[9:10], 1, v[9:10]
	v_lshlrev_b32_e32 v1, 16, v17
	v_add_co_u32_e32 v9, vcc, s6, v9
	v_addc_co_u32_e32 v10, vcc, v8, v10, vcc
	global_load_dwordx2 v[9:10], v[9:10], off
	s_waitcnt vmcnt(0)
	v_lshlrev_b32_e32 v21, 16, v9
	v_fmac_f32_e32 v16, v1, v21
	v_and_b32_e32 v1, 0xffff0000, v17
	v_fmac_f32_e32 v15, v1, v21
	v_lshlrev_b32_e32 v1, 16, v18
	v_fmac_f32_e32 v14, v1, v21
	v_and_b32_e32 v1, 0xffff0000, v18
	v_fmac_f32_e32 v12, v1, v21
	v_lshlrev_b32_e32 v1, 16, v19
	v_and_b32_e32 v9, 0xffff0000, v9
	v_fmac_f32_e32 v16, v1, v9
	v_and_b32_e32 v1, 0xffff0000, v19
	v_fmac_f32_e32 v15, v1, v9
	v_lshlrev_b32_e32 v1, 16, v20
	v_fmac_f32_e32 v14, v1, v9
	v_and_b32_e32 v1, 0xffff0000, v20
	global_load_dwordx4 v[17:20], v[2:3], off offset:16
	v_fmac_f32_e32 v12, v1, v9
	v_lshlrev_b32_e32 v9, 16, v10
	s_waitcnt vmcnt(0)
	v_lshlrev_b32_e32 v1, 16, v17
	v_fmac_f32_e32 v16, v1, v9
	v_and_b32_e32 v1, 0xffff0000, v17
	v_fmac_f32_e32 v15, v1, v9
	v_lshlrev_b32_e32 v1, 16, v18
	v_fmac_f32_e32 v14, v1, v9
	v_and_b32_e32 v1, 0xffff0000, v18
	v_fmac_f32_e32 v12, v1, v9
	v_lshlrev_b32_e32 v1, 16, v19
	v_and_b32_e32 v9, 0xffff0000, v10
	v_fmac_f32_e32 v16, v1, v9
	v_and_b32_e32 v1, 0xffff0000, v19
	v_fmac_f32_e32 v15, v1, v9
	v_lshlrev_b32_e32 v1, 16, v20
	v_fmac_f32_e32 v14, v1, v9
	v_and_b32_e32 v1, 0xffff0000, v20
	v_fmac_f32_e32 v12, v1, v9
	global_load_dword v1, v[5:6], off offset:256
	global_load_dwordx4 v[17:20], v[2:3], off offset:2048
	s_waitcnt vmcnt(1)
	v_subrev_u32_e32 v1, s20, v1
	v_lshlrev_b32_e32 v9, 2, v1
	v_ashrrev_i32_e32 v10, 31, v9
	v_lshlrev_b64 v[9:10], 1, v[9:10]
	s_waitcnt vmcnt(0)
	v_lshlrev_b32_e32 v1, 16, v17
	v_add_co_u32_e32 v9, vcc, s6, v9
	v_addc_co_u32_e32 v10, vcc, v8, v10, vcc
	global_load_dwordx2 v[9:10], v[9:10], off
	s_waitcnt vmcnt(0)
	v_lshlrev_b32_e32 v21, 16, v9
	v_fmac_f32_e32 v16, v1, v21
	v_and_b32_e32 v1, 0xffff0000, v17
	v_fmac_f32_e32 v15, v1, v21
	v_lshlrev_b32_e32 v1, 16, v18
	v_fmac_f32_e32 v14, v1, v21
	v_and_b32_e32 v1, 0xffff0000, v18
	v_fmac_f32_e32 v12, v1, v21
	v_lshlrev_b32_e32 v1, 16, v19
	v_and_b32_e32 v9, 0xffff0000, v9
	v_fmac_f32_e32 v16, v1, v9
	v_and_b32_e32 v1, 0xffff0000, v19
	v_fmac_f32_e32 v15, v1, v9
	v_lshlrev_b32_e32 v1, 16, v20
	v_fmac_f32_e32 v14, v1, v9
	v_and_b32_e32 v1, 0xffff0000, v20
	global_load_dwordx4 v[17:20], v[2:3], off offset:2064
	v_fmac_f32_e32 v12, v1, v9
	v_lshlrev_b32_e32 v9, 16, v10
	s_waitcnt vmcnt(0)
	v_lshlrev_b32_e32 v1, 16, v17
	v_fmac_f32_e32 v16, v1, v9
	v_and_b32_e32 v1, 0xffff0000, v17
	v_fmac_f32_e32 v15, v1, v9
	v_lshlrev_b32_e32 v1, 16, v18
	v_fmac_f32_e32 v14, v1, v9
	v_and_b32_e32 v1, 0xffff0000, v18
	v_fmac_f32_e32 v12, v1, v9
	v_lshlrev_b32_e32 v1, 16, v19
	v_and_b32_e32 v9, 0xffff0000, v10
	v_fmac_f32_e32 v16, v1, v9
	v_and_b32_e32 v1, 0xffff0000, v19
	v_fmac_f32_e32 v15, v1, v9
	v_lshlrev_b32_e32 v1, 16, v20
	v_fmac_f32_e32 v14, v1, v9
	v_and_b32_e32 v1, 0xffff0000, v20
	v_fmac_f32_e32 v12, v1, v9
	global_load_dword v1, v[5:6], off offset:512
	v_add_co_u32_e32 v9, vcc, s7, v2
	v_addc_co_u32_e32 v10, vcc, 0, v3, vcc
	global_load_dwordx4 v[17:20], v[9:10], off
	s_waitcnt vmcnt(1)
	v_subrev_u32_e32 v1, s20, v1
	v_lshlrev_b32_e32 v21, 2, v1
	v_ashrrev_i32_e32 v22, 31, v21
	v_lshlrev_b64 v[21:22], 1, v[21:22]
	v_add_co_u32_e32 v21, vcc, s6, v21
	v_addc_co_u32_e32 v22, vcc, v8, v22, vcc
	global_load_dwordx2 v[21:22], v[21:22], off
	s_waitcnt vmcnt(1)
	v_lshlrev_b32_e32 v1, 16, v17
	s_waitcnt vmcnt(0)
	v_lshlrev_b32_e32 v23, 16, v21
	v_fmac_f32_e32 v16, v1, v23
	v_and_b32_e32 v1, 0xffff0000, v17
	v_fmac_f32_e32 v15, v1, v23
	v_lshlrev_b32_e32 v1, 16, v18
	v_fmac_f32_e32 v14, v1, v23
	v_and_b32_e32 v1, 0xffff0000, v18
	v_fmac_f32_e32 v12, v1, v23
	v_lshlrev_b32_e32 v1, 16, v19
	v_and_b32_e32 v17, 0xffff0000, v21
	v_fmac_f32_e32 v16, v1, v17
	v_and_b32_e32 v1, 0xffff0000, v19
	v_fmac_f32_e32 v15, v1, v17
	v_lshlrev_b32_e32 v1, 16, v20
	v_fmac_f32_e32 v14, v1, v17
	v_and_b32_e32 v1, 0xffff0000, v20
	v_fmac_f32_e32 v12, v1, v17
	global_load_dwordx4 v[17:20], v[9:10], off offset:16
	v_lshlrev_b32_e32 v21, 16, v22
	s_waitcnt vmcnt(0)
	v_lshlrev_b32_e32 v1, 16, v17
	v_fmac_f32_e32 v16, v1, v21
	v_and_b32_e32 v1, 0xffff0000, v17
	v_fmac_f32_e32 v15, v1, v21
	v_lshlrev_b32_e32 v1, 16, v18
	v_fmac_f32_e32 v14, v1, v21
	v_and_b32_e32 v1, 0xffff0000, v18
	v_fmac_f32_e32 v12, v1, v21
	v_lshlrev_b32_e32 v1, 16, v19
	v_and_b32_e32 v17, 0xffff0000, v22
	v_fmac_f32_e32 v16, v1, v17
	v_and_b32_e32 v1, 0xffff0000, v19
	v_fmac_f32_e32 v15, v1, v17
	v_lshlrev_b32_e32 v1, 16, v20
	v_fmac_f32_e32 v14, v1, v17
	v_and_b32_e32 v1, 0xffff0000, v20
	v_fmac_f32_e32 v12, v1, v17
	global_load_dword v1, v[5:6], off offset:768
	global_load_dwordx4 v[17:20], v[9:10], off offset:2048
	s_waitcnt vmcnt(1)
	v_subrev_u32_e32 v1, s20, v1
	v_lshlrev_b32_e32 v5, 2, v1
	v_ashrrev_i32_e32 v6, 31, v5
	v_lshlrev_b64 v[5:6], 1, v[5:6]
	s_waitcnt vmcnt(0)
	v_lshlrev_b32_e32 v1, 16, v17
	v_add_co_u32_e32 v5, vcc, s6, v5
	v_addc_co_u32_e32 v6, vcc, v8, v6, vcc
	global_load_dwordx2 v[5:6], v[5:6], off
	v_add_co_u32_e32 v2, vcc, 0x2000, v2
	v_addc_co_u32_e32 v3, vcc, 0, v3, vcc
	s_waitcnt vmcnt(0)
	v_lshlrev_b32_e32 v21, 16, v5
	v_fmac_f32_e32 v16, v1, v21
	v_and_b32_e32 v1, 0xffff0000, v17
	v_fmac_f32_e32 v15, v1, v21
	v_lshlrev_b32_e32 v1, 16, v18
	v_fmac_f32_e32 v14, v1, v21
	v_and_b32_e32 v1, 0xffff0000, v18
	v_fmac_f32_e32 v12, v1, v21
	v_lshlrev_b32_e32 v1, 16, v19
	v_and_b32_e32 v5, 0xffff0000, v5
	v_fmac_f32_e32 v16, v1, v5
	v_and_b32_e32 v1, 0xffff0000, v19
	v_fmac_f32_e32 v15, v1, v5
	v_lshlrev_b32_e32 v1, 16, v20
	v_fmac_f32_e32 v14, v1, v5
	v_and_b32_e32 v1, 0xffff0000, v20
	global_load_dwordx4 v[17:20], v[9:10], off offset:2064
	v_fmac_f32_e32 v12, v1, v5
	v_lshlrev_b32_e32 v5, 16, v6
	s_waitcnt vmcnt(0)
	v_lshlrev_b32_e32 v1, 16, v17
	v_fmac_f32_e32 v16, v1, v5
	v_and_b32_e32 v1, 0xffff0000, v17
	v_fmac_f32_e32 v15, v1, v5
	v_lshlrev_b32_e32 v1, 16, v18
	v_fmac_f32_e32 v14, v1, v5
	v_and_b32_e32 v1, 0xffff0000, v18
	v_fmac_f32_e32 v12, v1, v5
	v_lshlrev_b32_e32 v1, 16, v19
	v_and_b32_e32 v5, 0xffff0000, v6
	v_fmac_f32_e32 v16, v1, v5
	v_and_b32_e32 v1, 0xffff0000, v19
	v_fmac_f32_e32 v15, v1, v5
	v_lshlrev_b32_e32 v1, 16, v20
	v_fmac_f32_e32 v14, v1, v5
	v_and_b32_e32 v1, 0xffff0000, v20
	v_fmac_f32_e32 v12, v1, v5
	s_andn2_b64 exec, exec, s[10:11]
	s_cbranch_execnz .LBB109_33
; %bb.34:
	s_or_b64 exec, exec, s[10:11]
.LBB109_35:
	s_or_b64 exec, exec, s[8:9]
.LBB109_36:
	s_or_b64 exec, exec, s[2:3]
.LBB109_37:
	v_mov_b32_dpp v0, v16 row_shr:1 row_mask:0xf bank_mask:0xf
	v_mov_b32_dpp v2, v15 row_shr:1 row_mask:0xf bank_mask:0xf
	v_mov_b32_dpp v5, v14 row_shr:1 row_mask:0xf bank_mask:0xf
	v_mov_b32_dpp v7, v12 row_shr:1 row_mask:0xf bank_mask:0xf
	v_add_f32_e32 v0, v16, v0
	v_add_f32_e32 v2, v15, v2
	v_add_f32_e32 v5, v14, v5
	v_add_f32_e32 v7, v12, v7
	v_mov_b32_dpp v1, v0 row_shr:2 row_mask:0xf bank_mask:0xf
	v_mov_b32_dpp v3, v2 row_shr:2 row_mask:0xf bank_mask:0xf
	v_mov_b32_dpp v6, v5 row_shr:2 row_mask:0xf bank_mask:0xf
	v_mov_b32_dpp v8, v7 row_shr:2 row_mask:0xf bank_mask:0xf
	v_add_f32_e32 v0, v0, v1
	v_add_f32_e32 v2, v2, v3
	v_add_f32_e32 v5, v5, v6
	v_add_f32_e32 v7, v7, v8
	;; [unrolled: 8-line block ×4, first 2 shown]
	v_mov_b32_dpp v1, v0 row_bcast:15 row_mask:0xa bank_mask:0xf
	v_mov_b32_dpp v3, v2 row_bcast:15 row_mask:0xa bank_mask:0xf
	;; [unrolled: 1-line block ×4, first 2 shown]
	v_add_f32_e32 v0, v0, v1
	v_add_f32_e32 v2, v2, v3
	;; [unrolled: 1-line block ×4, first 2 shown]
	v_mov_b32_dpp v1, v0 row_bcast:31 row_mask:0xc bank_mask:0xf
	v_mov_b32_dpp v3, v2 row_bcast:31 row_mask:0xc bank_mask:0xf
	;; [unrolled: 1-line block ×4, first 2 shown]
	v_cmp_eq_u32_e32 vcc, 63, v11
	s_and_b64 exec, exec, vcc
	s_cbranch_execz .LBB109_10
; %bb.38:
	s_load_dwordx2 s[0:1], s[4:5], 0x50
	v_add_f32_e32 v0, v0, v1
	v_add_f32_e32 v1, v2, v3
	v_add_f32_e32 v2, v5, v6
	v_add_f32_e32 v3, v7, v8
	v_cmp_eq_f32_e64 s[2:3], s16, 0
	s_and_b64 vcc, exec, s[2:3]
	v_mul_f32_e32 v0, s18, v0
	v_mul_f32_e32 v1, s18, v1
	;; [unrolled: 1-line block ×4, first 2 shown]
	v_lshlrev_b32_e32 v4, 2, v4
	s_cbranch_vccz .LBB109_40
; %bb.39:
	v_ashrrev_i32_e32 v5, 31, v4
	v_lshlrev_b64 v[5:6], 2, v[4:5]
	s_waitcnt lgkmcnt(0)
	v_mov_b32_e32 v7, s1
	v_add_co_u32_e32 v5, vcc, s0, v5
	v_addc_co_u32_e32 v6, vcc, v7, v6, vcc
	global_store_dwordx4 v[5:6], v[0:3], off
	s_cbranch_execnz .LBB109_10
	s_branch .LBB109_41
.LBB109_40:
.LBB109_41:
	v_ashrrev_i32_e32 v5, 31, v4
	v_lshlrev_b64 v[4:5], 2, v[4:5]
	s_waitcnt lgkmcnt(0)
	v_mov_b32_e32 v6, s1
	v_add_co_u32_e32 v8, vcc, s0, v4
	v_addc_co_u32_e32 v9, vcc, v6, v5, vcc
	global_load_dwordx4 v[4:7], v[8:9], off
	s_waitcnt vmcnt(0)
	v_fmac_f32_e32 v0, s16, v4
	v_fmac_f32_e32 v1, s16, v5
	;; [unrolled: 1-line block ×4, first 2 shown]
	global_store_dwordx4 v[8:9], v[0:3], off
	s_endpgm
	.section	.rodata,"a",@progbits
	.p2align	6, 0x0
	.amdhsa_kernel _ZN9rocsparseL18bsrxmvn_4x4_kernelILj128ELj64Efii18rocsparse_bfloat16S1_fEEvT3_20rocsparse_direction_NS_24const_host_device_scalarIT1_EES2_PKS2_PKT2_SB_S8_PKT4_PKT5_S6_PT6_21rocsparse_index_base_b
		.amdhsa_group_segment_fixed_size 0
		.amdhsa_private_segment_fixed_size 0
		.amdhsa_kernarg_size 96
		.amdhsa_user_sgpr_count 6
		.amdhsa_user_sgpr_private_segment_buffer 1
		.amdhsa_user_sgpr_dispatch_ptr 0
		.amdhsa_user_sgpr_queue_ptr 0
		.amdhsa_user_sgpr_kernarg_segment_ptr 1
		.amdhsa_user_sgpr_dispatch_id 0
		.amdhsa_user_sgpr_flat_scratch_init 0
		.amdhsa_user_sgpr_private_segment_size 0
		.amdhsa_uses_dynamic_stack 0
		.amdhsa_system_sgpr_private_segment_wavefront_offset 0
		.amdhsa_system_sgpr_workgroup_id_x 1
		.amdhsa_system_sgpr_workgroup_id_y 0
		.amdhsa_system_sgpr_workgroup_id_z 0
		.amdhsa_system_sgpr_workgroup_info 0
		.amdhsa_system_vgpr_workitem_id 0
		.amdhsa_next_free_vgpr 38
		.amdhsa_next_free_sgpr 22
		.amdhsa_reserve_vcc 1
		.amdhsa_reserve_flat_scratch 0
		.amdhsa_float_round_mode_32 0
		.amdhsa_float_round_mode_16_64 0
		.amdhsa_float_denorm_mode_32 3
		.amdhsa_float_denorm_mode_16_64 3
		.amdhsa_dx10_clamp 1
		.amdhsa_ieee_mode 1
		.amdhsa_fp16_overflow 0
		.amdhsa_exception_fp_ieee_invalid_op 0
		.amdhsa_exception_fp_denorm_src 0
		.amdhsa_exception_fp_ieee_div_zero 0
		.amdhsa_exception_fp_ieee_overflow 0
		.amdhsa_exception_fp_ieee_underflow 0
		.amdhsa_exception_fp_ieee_inexact 0
		.amdhsa_exception_int_div_zero 0
	.end_amdhsa_kernel
	.section	.text._ZN9rocsparseL18bsrxmvn_4x4_kernelILj128ELj64Efii18rocsparse_bfloat16S1_fEEvT3_20rocsparse_direction_NS_24const_host_device_scalarIT1_EES2_PKS2_PKT2_SB_S8_PKT4_PKT5_S6_PT6_21rocsparse_index_base_b,"axG",@progbits,_ZN9rocsparseL18bsrxmvn_4x4_kernelILj128ELj64Efii18rocsparse_bfloat16S1_fEEvT3_20rocsparse_direction_NS_24const_host_device_scalarIT1_EES2_PKS2_PKT2_SB_S8_PKT4_PKT5_S6_PT6_21rocsparse_index_base_b,comdat
.Lfunc_end109:
	.size	_ZN9rocsparseL18bsrxmvn_4x4_kernelILj128ELj64Efii18rocsparse_bfloat16S1_fEEvT3_20rocsparse_direction_NS_24const_host_device_scalarIT1_EES2_PKS2_PKT2_SB_S8_PKT4_PKT5_S6_PT6_21rocsparse_index_base_b, .Lfunc_end109-_ZN9rocsparseL18bsrxmvn_4x4_kernelILj128ELj64Efii18rocsparse_bfloat16S1_fEEvT3_20rocsparse_direction_NS_24const_host_device_scalarIT1_EES2_PKS2_PKT2_SB_S8_PKT4_PKT5_S6_PT6_21rocsparse_index_base_b
                                        ; -- End function
	.set _ZN9rocsparseL18bsrxmvn_4x4_kernelILj128ELj64Efii18rocsparse_bfloat16S1_fEEvT3_20rocsparse_direction_NS_24const_host_device_scalarIT1_EES2_PKS2_PKT2_SB_S8_PKT4_PKT5_S6_PT6_21rocsparse_index_base_b.num_vgpr, 38
	.set _ZN9rocsparseL18bsrxmvn_4x4_kernelILj128ELj64Efii18rocsparse_bfloat16S1_fEEvT3_20rocsparse_direction_NS_24const_host_device_scalarIT1_EES2_PKS2_PKT2_SB_S8_PKT4_PKT5_S6_PT6_21rocsparse_index_base_b.num_agpr, 0
	.set _ZN9rocsparseL18bsrxmvn_4x4_kernelILj128ELj64Efii18rocsparse_bfloat16S1_fEEvT3_20rocsparse_direction_NS_24const_host_device_scalarIT1_EES2_PKS2_PKT2_SB_S8_PKT4_PKT5_S6_PT6_21rocsparse_index_base_b.numbered_sgpr, 22
	.set _ZN9rocsparseL18bsrxmvn_4x4_kernelILj128ELj64Efii18rocsparse_bfloat16S1_fEEvT3_20rocsparse_direction_NS_24const_host_device_scalarIT1_EES2_PKS2_PKT2_SB_S8_PKT4_PKT5_S6_PT6_21rocsparse_index_base_b.num_named_barrier, 0
	.set _ZN9rocsparseL18bsrxmvn_4x4_kernelILj128ELj64Efii18rocsparse_bfloat16S1_fEEvT3_20rocsparse_direction_NS_24const_host_device_scalarIT1_EES2_PKS2_PKT2_SB_S8_PKT4_PKT5_S6_PT6_21rocsparse_index_base_b.private_seg_size, 0
	.set _ZN9rocsparseL18bsrxmvn_4x4_kernelILj128ELj64Efii18rocsparse_bfloat16S1_fEEvT3_20rocsparse_direction_NS_24const_host_device_scalarIT1_EES2_PKS2_PKT2_SB_S8_PKT4_PKT5_S6_PT6_21rocsparse_index_base_b.uses_vcc, 1
	.set _ZN9rocsparseL18bsrxmvn_4x4_kernelILj128ELj64Efii18rocsparse_bfloat16S1_fEEvT3_20rocsparse_direction_NS_24const_host_device_scalarIT1_EES2_PKS2_PKT2_SB_S8_PKT4_PKT5_S6_PT6_21rocsparse_index_base_b.uses_flat_scratch, 0
	.set _ZN9rocsparseL18bsrxmvn_4x4_kernelILj128ELj64Efii18rocsparse_bfloat16S1_fEEvT3_20rocsparse_direction_NS_24const_host_device_scalarIT1_EES2_PKS2_PKT2_SB_S8_PKT4_PKT5_S6_PT6_21rocsparse_index_base_b.has_dyn_sized_stack, 0
	.set _ZN9rocsparseL18bsrxmvn_4x4_kernelILj128ELj64Efii18rocsparse_bfloat16S1_fEEvT3_20rocsparse_direction_NS_24const_host_device_scalarIT1_EES2_PKS2_PKT2_SB_S8_PKT4_PKT5_S6_PT6_21rocsparse_index_base_b.has_recursion, 0
	.set _ZN9rocsparseL18bsrxmvn_4x4_kernelILj128ELj64Efii18rocsparse_bfloat16S1_fEEvT3_20rocsparse_direction_NS_24const_host_device_scalarIT1_EES2_PKS2_PKT2_SB_S8_PKT4_PKT5_S6_PT6_21rocsparse_index_base_b.has_indirect_call, 0
	.section	.AMDGPU.csdata,"",@progbits
; Kernel info:
; codeLenInByte = 4144
; TotalNumSgprs: 26
; NumVgprs: 38
; ScratchSize: 0
; MemoryBound: 0
; FloatMode: 240
; IeeeMode: 1
; LDSByteSize: 0 bytes/workgroup (compile time only)
; SGPRBlocks: 3
; VGPRBlocks: 9
; NumSGPRsForWavesPerEU: 26
; NumVGPRsForWavesPerEU: 38
; Occupancy: 6
; WaveLimiterHint : 1
; COMPUTE_PGM_RSRC2:SCRATCH_EN: 0
; COMPUTE_PGM_RSRC2:USER_SGPR: 6
; COMPUTE_PGM_RSRC2:TRAP_HANDLER: 0
; COMPUTE_PGM_RSRC2:TGID_X_EN: 1
; COMPUTE_PGM_RSRC2:TGID_Y_EN: 0
; COMPUTE_PGM_RSRC2:TGID_Z_EN: 0
; COMPUTE_PGM_RSRC2:TIDIG_COMP_CNT: 0
	.section	.text._ZN9rocsparseL18bsrxmvn_4x4_kernelILj128ELj4Efli18rocsparse_bfloat16S1_fEEvT3_20rocsparse_direction_NS_24const_host_device_scalarIT1_EES2_PKS2_PKT2_SB_S8_PKT4_PKT5_S6_PT6_21rocsparse_index_base_b,"axG",@progbits,_ZN9rocsparseL18bsrxmvn_4x4_kernelILj128ELj4Efli18rocsparse_bfloat16S1_fEEvT3_20rocsparse_direction_NS_24const_host_device_scalarIT1_EES2_PKS2_PKT2_SB_S8_PKT4_PKT5_S6_PT6_21rocsparse_index_base_b,comdat
	.globl	_ZN9rocsparseL18bsrxmvn_4x4_kernelILj128ELj4Efli18rocsparse_bfloat16S1_fEEvT3_20rocsparse_direction_NS_24const_host_device_scalarIT1_EES2_PKS2_PKT2_SB_S8_PKT4_PKT5_S6_PT6_21rocsparse_index_base_b ; -- Begin function _ZN9rocsparseL18bsrxmvn_4x4_kernelILj128ELj4Efli18rocsparse_bfloat16S1_fEEvT3_20rocsparse_direction_NS_24const_host_device_scalarIT1_EES2_PKS2_PKT2_SB_S8_PKT4_PKT5_S6_PT6_21rocsparse_index_base_b
	.p2align	8
	.type	_ZN9rocsparseL18bsrxmvn_4x4_kernelILj128ELj4Efli18rocsparse_bfloat16S1_fEEvT3_20rocsparse_direction_NS_24const_host_device_scalarIT1_EES2_PKS2_PKT2_SB_S8_PKT4_PKT5_S6_PT6_21rocsparse_index_base_b,@function
_ZN9rocsparseL18bsrxmvn_4x4_kernelILj128ELj4Efli18rocsparse_bfloat16S1_fEEvT3_20rocsparse_direction_NS_24const_host_device_scalarIT1_EES2_PKS2_PKT2_SB_S8_PKT4_PKT5_S6_PT6_21rocsparse_index_base_b: ; @_ZN9rocsparseL18bsrxmvn_4x4_kernelILj128ELj4Efli18rocsparse_bfloat16S1_fEEvT3_20rocsparse_direction_NS_24const_host_device_scalarIT1_EES2_PKS2_PKT2_SB_S8_PKT4_PKT5_S6_PT6_21rocsparse_index_base_b
; %bb.0:
	s_load_dwordx2 s[20:21], s[4:5], 0x58
	s_load_dwordx2 s[18:19], s[4:5], 0x8
	;; [unrolled: 1-line block ×3, first 2 shown]
	s_waitcnt lgkmcnt(0)
	s_bitcmp1_b32 s21, 0
	s_cselect_b64 s[2:3], -1, 0
	s_xor_b64 s[0:1], s[2:3], -1
	s_and_b64 vcc, exec, s[2:3]
	s_cbranch_vccnz .LBB110_2
; %bb.1:
	s_load_dword s18, s[18:19], 0x0
.LBB110_2:
	s_andn2_b64 vcc, exec, s[0:1]
	s_cbranch_vccnz .LBB110_4
; %bb.3:
	s_load_dword s16, s[16:17], 0x0
.LBB110_4:
	s_waitcnt lgkmcnt(0)
	v_cmp_neq_f32_e64 s[0:1], s18, 0
	v_cmp_neq_f32_e64 s[2:3], s16, 1.0
	s_or_b64 s[0:1], s[0:1], s[2:3]
	s_andn2_b64 vcc, exec, s[0:1]
	s_cbranch_vccnz .LBB110_10
; %bb.5:
	s_load_dwordx2 s[8:9], s[4:5], 0x18
	s_load_dwordx2 s[0:1], s[4:5], 0x0
	v_lshrrev_b32_e32 v1, 2, v0
	v_lshl_or_b32 v4, s6, 5, v1
	s_mov_b64 s[2:3], 0
	s_waitcnt lgkmcnt(0)
	s_cmp_lg_u64 s[8:9], 0
	s_cbranch_scc0 .LBB110_11
; %bb.6:
	s_load_dword s6, s[4:5], 0x10
                                        ; implicit-def: $vgpr1
	s_waitcnt lgkmcnt(0)
	v_cmp_gt_i32_e32 vcc, s6, v4
	s_and_saveexec_b64 s[6:7], vcc
	s_xor_b64 s[6:7], exec, s[6:7]
	s_cbranch_execz .LBB110_8
; %bb.7:
	v_ashrrev_i32_e32 v5, 31, v4
	v_lshlrev_b64 v[1:2], 2, v[4:5]
	v_mov_b32_e32 v3, s9
	v_add_co_u32_e32 v1, vcc, s8, v1
	v_addc_co_u32_e32 v2, vcc, v3, v2, vcc
	global_load_dword v1, v[1:2], off
	s_mov_b64 s[2:3], exec
	s_waitcnt vmcnt(0)
	v_subrev_u32_e32 v1, s20, v1
.LBB110_8:
	s_or_b64 exec, exec, s[6:7]
	s_branch .LBB110_12
.LBB110_9:
	v_cmp_gt_i32_e32 vcc, s0, v4
	s_andn2_b64 s[2:3], s[2:3], exec
	s_and_b64 s[6:7], vcc, exec
	s_or_b64 s[2:3], s[2:3], s[6:7]
	s_and_saveexec_b64 s[6:7], s[2:3]
	s_cbranch_execnz .LBB110_13
.LBB110_10:
	s_endpgm
.LBB110_11:
                                        ; implicit-def: $vgpr1
	s_cbranch_execnz .LBB110_9
.LBB110_12:
	v_mov_b32_e32 v4, v1
	s_and_saveexec_b64 s[6:7], s[2:3]
	s_cbranch_execz .LBB110_10
.LBB110_13:
	s_load_dwordx8 s[8:15], s[4:5], 0x20
	v_ashrrev_i32_e32 v5, 31, v4
	v_lshlrev_b64 v[1:2], 3, v[4:5]
	v_and_b32_e32 v21, 3, v0
	s_load_dwordx2 s[6:7], s[4:5], 0x40
	s_waitcnt lgkmcnt(0)
	v_mov_b32_e32 v3, s9
	v_add_co_u32_e32 v5, vcc, s8, v1
	v_addc_co_u32_e32 v6, vcc, v3, v2, vcc
	v_add_co_u32_e32 v3, vcc, 8, v5
	global_load_dwordx2 v[9:10], v[5:6], off
	v_addc_co_u32_e32 v5, vcc, 0, v6, vcc
	v_mov_b32_e32 v6, s11
	v_add_co_u32_e32 v1, vcc, s10, v1
	s_cmp_eq_u64 s[10:11], 0
	v_addc_co_u32_e32 v2, vcc, v6, v2, vcc
	s_cselect_b64 vcc, -1, 0
	v_cndmask_b32_e32 v2, v2, v5, vcc
	v_cndmask_b32_e32 v1, v1, v3, vcc
	global_load_dwordx2 v[2:3], v[1:2], off
	v_mov_b32_e32 v8, s15
	s_cmp_eq_u32 s1, 1
	v_mov_b32_e32 v7, 0
	s_waitcnt vmcnt(1)
	v_subrev_co_u32_e32 v0, vcc, s20, v9
	v_subbrev_co_u32_e32 v1, vcc, 0, v10, vcc
	v_add_co_u32_e32 v0, vcc, v0, v21
	v_addc_co_u32_e32 v1, vcc, 0, v1, vcc
	v_lshlrev_b64 v[5:6], 5, v[0:1]
	s_waitcnt vmcnt(0)
	v_subrev_co_u32_e32 v2, vcc, s20, v2
	v_subbrev_co_u32_e32 v3, vcc, 0, v3, vcc
	v_cmp_lt_i64_e64 s[0:1], v[0:1], v[2:3]
	v_add_co_u32_e32 v5, vcc, s14, v5
	v_addc_co_u32_e32 v6, vcc, v8, v6, vcc
	s_cbranch_scc1 .LBB110_25
; %bb.14:
	v_mov_b32_e32 v22, 0
	v_mov_b32_e32 v23, 0
	v_mov_b32_e32 v8, 0
	s_and_saveexec_b64 s[8:9], s[0:1]
	s_cbranch_execz .LBB110_24
; %bb.15:
	v_or_b32_e32 v7, 4, v21
	v_subrev_co_u32_e32 v7, vcc, s20, v7
	v_subb_co_u32_e64 v8, s[2:3], 0, 0, vcc
	v_add_co_u32_e32 v7, vcc, v7, v9
	v_addc_co_u32_e32 v8, vcc, v8, v10, vcc
	v_cmp_gt_i64_e32 vcc, v[7:8], v[2:3]
	v_not_b32_e32 v12, v9
	v_cndmask_b32_e32 v8, v3, v8, vcc
	v_cndmask_b32_e32 v7, v2, v7, vcc
	v_sub_co_u32_e32 v13, vcc, s20, v21
	v_not_b32_e32 v11, v10
	v_subb_co_u32_e64 v14, s[2:3], 0, 0, vcc
	v_add_co_u32_e32 v12, vcc, v13, v12
	v_addc_co_u32_e32 v11, vcc, v14, v11, vcc
	v_add_co_u32_e32 v15, vcc, v12, v7
	v_addc_co_u32_e32 v16, vcc, v11, v8, vcc
	v_and_b32_e32 v7, 12, v15
	v_mov_b32_e32 v8, 0
	v_cmp_ne_u64_e32 vcc, 12, v[7:8]
	v_mov_b32_e32 v12, v1
	v_mov_b32_e32 v14, v6
	;; [unrolled: 1-line block ×7, first 2 shown]
	s_and_saveexec_b64 s[10:11], vcc
	s_cbranch_execz .LBB110_19
; %bb.16:
	v_lshlrev_b64 v[11:12], 2, v[0:1]
	v_lshrrev_b32_e32 v7, 2, v15
	v_add_u32_e32 v7, 1, v7
	v_mov_b32_e32 v13, s13
	v_add_co_u32_e32 v17, vcc, s12, v11
	v_and_b32_e32 v8, 3, v7
	v_addc_co_u32_e32 v18, vcc, v13, v12, vcc
	v_sub_co_u32_e32 v19, vcc, 0, v8
	v_mov_b32_e32 v14, v6
	v_mov_b32_e32 v12, v1
	;; [unrolled: 1-line block ×3, first 2 shown]
	s_mov_b64 s[14:15], 0
	v_subb_co_u32_e64 v20, s[2:3], 0, 0, vcc
	s_movk_i32 s17, 0x80
	v_mov_b32_e32 v24, s7
	v_mov_b32_e32 v13, v5
	v_mov_b32_e32 v11, v0
	v_mov_b32_e32 v22, 0
	v_mov_b32_e32 v23, 0
	v_mov_b32_e32 v8, 0
.LBB110_17:                             ; =>This Inner Loop Header: Depth=1
	global_load_dword v33, v[17:18], off
	global_load_dwordx4 v[25:28], v[13:14], off
	global_load_dwordx4 v[29:32], v[13:14], off offset:16
	v_add_co_u32_e64 v11, s[2:3], 4, v11
	v_addc_co_u32_e64 v12, s[2:3], 0, v12, s[2:3]
	v_add_co_u32_e64 v17, s[2:3], 16, v17
	v_addc_co_u32_e64 v18, s[2:3], 0, v18, s[2:3]
	;; [unrolled: 2-line block ×3, first 2 shown]
	v_cmp_eq_u64_e64 s[2:3], 0, v[19:20]
	s_or_b64 s[14:15], s[2:3], s[14:15]
	s_waitcnt vmcnt(2)
	v_subrev_u32_e32 v33, s20, v33
	v_lshlrev_b32_e32 v33, 2, v33
	v_ashrrev_i32_e32 v34, 31, v33
	v_lshlrev_b64 v[33:34], 1, v[33:34]
	s_waitcnt vmcnt(1)
	v_lshlrev_b32_e32 v35, 16, v25
	v_add_co_u32_e32 v33, vcc, s6, v33
	v_addc_co_u32_e32 v34, vcc, v24, v34, vcc
	global_load_dwordx2 v[33:34], v[33:34], off
	v_lshlrev_b32_e32 v37, 16, v27
	s_waitcnt vmcnt(1)
	v_lshlrev_b32_e32 v39, 16, v29
	v_lshlrev_b32_e32 v41, 16, v31
	v_and_b32_e32 v25, 0xffff0000, v25
	v_and_b32_e32 v27, 0xffff0000, v27
	;; [unrolled: 1-line block ×4, first 2 shown]
	v_lshlrev_b32_e32 v36, 16, v26
	v_lshlrev_b32_e32 v38, 16, v28
	v_lshlrev_b32_e32 v40, 16, v30
	v_lshlrev_b32_e32 v42, 16, v32
	v_add_co_u32_e32 v13, vcc, s17, v13
	v_and_b32_e32 v26, 0xffff0000, v26
	v_and_b32_e32 v28, 0xffff0000, v28
	;; [unrolled: 1-line block ×4, first 2 shown]
	v_addc_co_u32_e32 v14, vcc, 0, v14, vcc
	s_waitcnt vmcnt(0)
	v_lshlrev_b32_e32 v43, 16, v33
	v_and_b32_e32 v33, 0xffff0000, v33
	v_fmac_f32_e32 v8, v35, v43
	v_fmac_f32_e32 v23, v37, v43
	;; [unrolled: 1-line block ×4, first 2 shown]
	v_lshlrev_b32_e32 v44, 16, v34
	v_fmac_f32_e32 v8, v25, v33
	v_fmac_f32_e32 v23, v27, v33
	;; [unrolled: 1-line block ×4, first 2 shown]
	v_and_b32_e32 v34, 0xffff0000, v34
	v_fmac_f32_e32 v8, v36, v44
	v_fmac_f32_e32 v23, v38, v44
	;; [unrolled: 1-line block ×8, first 2 shown]
	s_andn2_b64 exec, exec, s[14:15]
	s_cbranch_execnz .LBB110_17
; %bb.18:
	s_or_b64 exec, exec, s[14:15]
.LBB110_19:
	s_or_b64 exec, exec, s[10:11]
	v_cmp_lt_u64_e32 vcc, 11, v[15:16]
	s_and_saveexec_b64 s[2:3], vcc
	s_cbranch_execz .LBB110_23
; %bb.20:
	v_lshlrev_b64 v[15:16], 2, v[11:12]
	v_mov_b32_e32 v17, s13
	v_add_co_u32_e32 v15, vcc, s12, v15
	v_addc_co_u32_e32 v16, vcc, v17, v16, vcc
	v_add_co_u32_e32 v15, vcc, 32, v15
	v_addc_co_u32_e32 v16, vcc, 0, v16, vcc
	s_mov_b64 s[10:11], 0
	v_mov_b32_e32 v17, s7
	s_movk_i32 s14, 0x200
.LBB110_21:                             ; =>This Inner Loop Header: Depth=1
	global_load_dword v18, v[15:16], off offset:-32
	global_load_dwordx4 v[24:27], v[13:14], off
	s_waitcnt vmcnt(1)
	v_subrev_u32_e32 v18, s20, v18
	v_lshlrev_b32_e32 v18, 2, v18
	v_ashrrev_i32_e32 v19, 31, v18
	v_lshlrev_b64 v[18:19], 1, v[18:19]
	s_waitcnt vmcnt(0)
	v_lshlrev_b32_e32 v20, 16, v24
	v_add_co_u32_e32 v18, vcc, s6, v18
	v_addc_co_u32_e32 v19, vcc, v17, v19, vcc
	global_load_dwordx2 v[18:19], v[18:19], off
	s_waitcnt vmcnt(0)
	v_lshlrev_b32_e32 v28, 16, v18
	v_fmac_f32_e32 v8, v20, v28
	v_and_b32_e32 v20, 0xffff0000, v24
	v_and_b32_e32 v18, 0xffff0000, v18
	v_fmac_f32_e32 v8, v20, v18
	v_lshlrev_b32_e32 v20, 16, v25
	v_lshlrev_b32_e32 v29, 16, v19
	v_fmac_f32_e32 v8, v20, v29
	v_and_b32_e32 v20, 0xffff0000, v25
	v_and_b32_e32 v19, 0xffff0000, v19
	v_fmac_f32_e32 v8, v20, v19
	v_lshlrev_b32_e32 v20, 16, v26
	v_fmac_f32_e32 v23, v20, v28
	v_and_b32_e32 v20, 0xffff0000, v26
	v_fmac_f32_e32 v23, v20, v18
	v_lshlrev_b32_e32 v20, 16, v27
	v_fmac_f32_e32 v23, v20, v29
	v_and_b32_e32 v20, 0xffff0000, v27
	global_load_dwordx4 v[24:27], v[13:14], off offset:16
	v_fmac_f32_e32 v23, v20, v19
	s_waitcnt vmcnt(0)
	v_lshlrev_b32_e32 v20, 16, v24
	v_fmac_f32_e32 v22, v20, v28
	v_and_b32_e32 v20, 0xffff0000, v24
	v_fmac_f32_e32 v22, v20, v18
	v_lshlrev_b32_e32 v20, 16, v25
	v_fmac_f32_e32 v22, v20, v29
	v_and_b32_e32 v20, 0xffff0000, v25
	v_fmac_f32_e32 v22, v20, v19
	;; [unrolled: 4-line block ×4, first 2 shown]
	global_load_dword v18, v[15:16], off offset:-16
	global_load_dwordx4 v[24:27], v[13:14], off offset:128
	s_waitcnt vmcnt(1)
	v_subrev_u32_e32 v18, s20, v18
	v_lshlrev_b32_e32 v18, 2, v18
	v_ashrrev_i32_e32 v19, 31, v18
	v_lshlrev_b64 v[18:19], 1, v[18:19]
	s_waitcnt vmcnt(0)
	v_lshlrev_b32_e32 v20, 16, v24
	v_add_co_u32_e32 v18, vcc, s6, v18
	v_addc_co_u32_e32 v19, vcc, v17, v19, vcc
	global_load_dwordx2 v[18:19], v[18:19], off
	s_waitcnt vmcnt(0)
	v_lshlrev_b32_e32 v28, 16, v18
	v_fmac_f32_e32 v8, v20, v28
	v_and_b32_e32 v20, 0xffff0000, v24
	v_and_b32_e32 v18, 0xffff0000, v18
	v_fmac_f32_e32 v8, v20, v18
	v_lshlrev_b32_e32 v20, 16, v25
	v_lshlrev_b32_e32 v29, 16, v19
	v_fmac_f32_e32 v8, v20, v29
	v_and_b32_e32 v20, 0xffff0000, v25
	v_and_b32_e32 v19, 0xffff0000, v19
	v_fmac_f32_e32 v8, v20, v19
	v_lshlrev_b32_e32 v20, 16, v26
	v_fmac_f32_e32 v23, v20, v28
	v_and_b32_e32 v20, 0xffff0000, v26
	v_fmac_f32_e32 v23, v20, v18
	v_lshlrev_b32_e32 v20, 16, v27
	v_fmac_f32_e32 v23, v20, v29
	v_and_b32_e32 v20, 0xffff0000, v27
	global_load_dwordx4 v[24:27], v[13:14], off offset:144
	v_fmac_f32_e32 v23, v20, v19
	s_waitcnt vmcnt(0)
	v_lshlrev_b32_e32 v20, 16, v24
	v_fmac_f32_e32 v22, v20, v28
	v_and_b32_e32 v20, 0xffff0000, v24
	v_fmac_f32_e32 v22, v20, v18
	v_lshlrev_b32_e32 v20, 16, v25
	v_fmac_f32_e32 v22, v20, v29
	v_and_b32_e32 v20, 0xffff0000, v25
	v_fmac_f32_e32 v22, v20, v19
	;; [unrolled: 4-line block ×4, first 2 shown]
	global_load_dword v18, v[15:16], off
	global_load_dwordx4 v[24:27], v[13:14], off offset:256
	s_waitcnt vmcnt(1)
	v_subrev_u32_e32 v18, s20, v18
	v_lshlrev_b32_e32 v18, 2, v18
	v_ashrrev_i32_e32 v19, 31, v18
	v_lshlrev_b64 v[18:19], 1, v[18:19]
	s_waitcnt vmcnt(0)
	v_lshlrev_b32_e32 v20, 16, v24
	v_add_co_u32_e32 v18, vcc, s6, v18
	v_addc_co_u32_e32 v19, vcc, v17, v19, vcc
	global_load_dwordx2 v[18:19], v[18:19], off
	s_waitcnt vmcnt(0)
	v_lshlrev_b32_e32 v28, 16, v18
	v_fmac_f32_e32 v8, v20, v28
	v_and_b32_e32 v20, 0xffff0000, v24
	v_and_b32_e32 v18, 0xffff0000, v18
	v_fmac_f32_e32 v8, v20, v18
	v_lshlrev_b32_e32 v20, 16, v25
	v_lshlrev_b32_e32 v29, 16, v19
	v_fmac_f32_e32 v8, v20, v29
	v_and_b32_e32 v20, 0xffff0000, v25
	v_and_b32_e32 v19, 0xffff0000, v19
	v_fmac_f32_e32 v8, v20, v19
	v_lshlrev_b32_e32 v20, 16, v26
	v_fmac_f32_e32 v23, v20, v28
	v_and_b32_e32 v20, 0xffff0000, v26
	v_fmac_f32_e32 v23, v20, v18
	v_lshlrev_b32_e32 v20, 16, v27
	v_fmac_f32_e32 v23, v20, v29
	v_and_b32_e32 v20, 0xffff0000, v27
	global_load_dwordx4 v[24:27], v[13:14], off offset:272
	v_fmac_f32_e32 v23, v20, v19
	s_waitcnt vmcnt(0)
	v_lshlrev_b32_e32 v20, 16, v24
	v_fmac_f32_e32 v22, v20, v28
	v_and_b32_e32 v20, 0xffff0000, v24
	v_fmac_f32_e32 v22, v20, v18
	v_lshlrev_b32_e32 v20, 16, v25
	v_fmac_f32_e32 v22, v20, v29
	v_and_b32_e32 v20, 0xffff0000, v25
	v_fmac_f32_e32 v22, v20, v19
	;; [unrolled: 4-line block ×4, first 2 shown]
	global_load_dword v18, v[15:16], off offset:16
	global_load_dwordx4 v[24:27], v[13:14], off offset:384
	s_waitcnt vmcnt(1)
	v_subrev_u32_e32 v18, s20, v18
	v_lshlrev_b32_e32 v18, 2, v18
	v_ashrrev_i32_e32 v19, 31, v18
	v_lshlrev_b64 v[18:19], 1, v[18:19]
	s_waitcnt vmcnt(0)
	v_lshlrev_b32_e32 v20, 16, v24
	v_add_co_u32_e32 v18, vcc, s6, v18
	v_addc_co_u32_e32 v19, vcc, v17, v19, vcc
	global_load_dwordx2 v[18:19], v[18:19], off
	s_waitcnt vmcnt(0)
	v_lshlrev_b32_e32 v28, 16, v18
	v_fmac_f32_e32 v8, v20, v28
	v_and_b32_e32 v20, 0xffff0000, v24
	v_and_b32_e32 v18, 0xffff0000, v18
	v_fmac_f32_e32 v8, v20, v18
	v_lshlrev_b32_e32 v20, 16, v25
	v_lshlrev_b32_e32 v29, 16, v19
	v_fmac_f32_e32 v8, v20, v29
	v_and_b32_e32 v20, 0xffff0000, v25
	v_and_b32_e32 v19, 0xffff0000, v19
	v_fmac_f32_e32 v8, v20, v19
	v_lshlrev_b32_e32 v20, 16, v26
	v_fmac_f32_e32 v23, v20, v28
	v_and_b32_e32 v20, 0xffff0000, v26
	v_fmac_f32_e32 v23, v20, v18
	v_lshlrev_b32_e32 v20, 16, v27
	v_fmac_f32_e32 v23, v20, v29
	v_and_b32_e32 v20, 0xffff0000, v27
	global_load_dwordx4 v[24:27], v[13:14], off offset:400
	v_fmac_f32_e32 v23, v20, v19
	v_add_co_u32_e32 v13, vcc, s14, v13
	v_addc_co_u32_e32 v14, vcc, 0, v14, vcc
	v_add_co_u32_e32 v11, vcc, 16, v11
	v_addc_co_u32_e32 v12, vcc, 0, v12, vcc
	;; [unrolled: 2-line block ×3, first 2 shown]
	v_cmp_ge_i64_e32 vcc, v[11:12], v[2:3]
	s_or_b64 s[10:11], vcc, s[10:11]
	s_waitcnt vmcnt(0)
	v_lshlrev_b32_e32 v20, 16, v24
	v_fmac_f32_e32 v22, v20, v28
	v_and_b32_e32 v20, 0xffff0000, v24
	v_fmac_f32_e32 v22, v20, v18
	v_lshlrev_b32_e32 v20, 16, v25
	v_fmac_f32_e32 v22, v20, v29
	v_and_b32_e32 v20, 0xffff0000, v25
	v_fmac_f32_e32 v22, v20, v19
	;; [unrolled: 4-line block ×4, first 2 shown]
	s_andn2_b64 exec, exec, s[10:11]
	s_cbranch_execnz .LBB110_21
; %bb.22:
	s_or_b64 exec, exec, s[10:11]
.LBB110_23:
	s_or_b64 exec, exec, s[2:3]
.LBB110_24:
	s_or_b64 exec, exec, s[8:9]
	s_cbranch_execz .LBB110_26
	s_branch .LBB110_37
.LBB110_25:
                                        ; implicit-def: $vgpr7
                                        ; implicit-def: $vgpr22
                                        ; implicit-def: $vgpr23
                                        ; implicit-def: $vgpr8
.LBB110_26:
	v_mov_b32_e32 v7, 0
	v_mov_b32_e32 v22, 0
	;; [unrolled: 1-line block ×4, first 2 shown]
	s_and_saveexec_b64 s[2:3], s[0:1]
	s_cbranch_execz .LBB110_36
; %bb.27:
	v_or_b32_e32 v7, 4, v21
	v_subrev_co_u32_e32 v7, vcc, s20, v7
	v_subb_co_u32_e64 v8, s[0:1], 0, 0, vcc
	v_add_co_u32_e32 v7, vcc, v7, v9
	v_addc_co_u32_e32 v8, vcc, v8, v10, vcc
	v_cmp_gt_i64_e32 vcc, v[7:8], v[2:3]
	v_not_b32_e32 v9, v9
	v_cndmask_b32_e32 v8, v3, v8, vcc
	v_cndmask_b32_e32 v7, v2, v7, vcc
	v_sub_co_u32_e32 v11, vcc, s20, v21
	v_not_b32_e32 v10, v10
	v_subb_co_u32_e64 v12, s[0:1], 0, 0, vcc
	v_add_co_u32_e32 v9, vcc, v11, v9
	v_addc_co_u32_e32 v10, vcc, v12, v10, vcc
	v_add_co_u32_e32 v9, vcc, v9, v7
	v_addc_co_u32_e32 v10, vcc, v10, v8, vcc
	v_and_b32_e32 v7, 12, v9
	v_mov_b32_e32 v8, 0
	v_cmp_ne_u64_e32 vcc, 12, v[7:8]
	v_mov_b32_e32 v23, v8
	v_mov_b32_e32 v22, v8
	v_mov_b32_e32 v7, v8
	s_and_saveexec_b64 s[8:9], vcc
	s_cbranch_execz .LBB110_31
; %bb.28:
	v_lshlrev_b64 v[11:12], 2, v[0:1]
	v_lshrrev_b32_e32 v7, 2, v9
	v_add_u32_e32 v7, 1, v7
	v_mov_b32_e32 v13, s13
	v_add_co_u32_e32 v11, vcc, s12, v11
	v_and_b32_e32 v8, 3, v7
	v_addc_co_u32_e32 v12, vcc, v13, v12, vcc
	v_sub_co_u32_e32 v13, vcc, 0, v8
	v_mov_b32_e32 v7, 0
	s_mov_b64 s[10:11], 0
	v_subb_co_u32_e64 v14, s[0:1], 0, 0, vcc
	s_movk_i32 s14, 0x80
	v_mov_b32_e32 v15, s7
	v_mov_b32_e32 v22, 0
	;; [unrolled: 1-line block ×4, first 2 shown]
.LBB110_29:                             ; =>This Inner Loop Header: Depth=1
	global_load_dword v20, v[11:12], off
	global_load_dwordx4 v[16:19], v[5:6], off
	v_add_co_u32_e64 v0, s[0:1], 4, v0
	v_addc_co_u32_e64 v1, s[0:1], 0, v1, s[0:1]
	v_add_co_u32_e64 v11, s[0:1], 16, v11
	v_addc_co_u32_e64 v12, s[0:1], 0, v12, s[0:1]
	;; [unrolled: 2-line block ×3, first 2 shown]
	v_cmp_eq_u64_e64 s[0:1], 0, v[13:14]
	s_or_b64 s[10:11], s[0:1], s[10:11]
	s_waitcnt vmcnt(1)
	v_subrev_u32_e32 v20, s20, v20
	v_lshlrev_b32_e32 v24, 2, v20
	v_ashrrev_i32_e32 v25, 31, v24
	v_lshlrev_b64 v[24:25], 1, v[24:25]
	s_waitcnt vmcnt(0)
	v_lshlrev_b32_e32 v20, 16, v16
	v_add_co_u32_e32 v28, vcc, s6, v24
	v_addc_co_u32_e32 v29, vcc, v15, v25, vcc
	global_load_dwordx2 v[30:31], v[28:29], off
	global_load_dwordx4 v[24:27], v[5:6], off offset:16
	v_and_b32_e32 v16, 0xffff0000, v16
	v_lshlrev_b32_e32 v28, 16, v17
	v_and_b32_e32 v17, 0xffff0000, v17
	v_lshlrev_b32_e32 v29, 16, v18
	;; [unrolled: 2-line block ×3, first 2 shown]
	v_and_b32_e32 v19, 0xffff0000, v19
	v_add_co_u32_e32 v5, vcc, s14, v5
	v_addc_co_u32_e32 v6, vcc, 0, v6, vcc
	s_waitcnt vmcnt(1)
	v_lshlrev_b32_e32 v37, 16, v30
	v_and_b32_e32 v30, 0xffff0000, v30
	v_fmac_f32_e32 v8, v20, v37
	v_fmac_f32_e32 v23, v16, v37
	v_fmac_f32_e32 v22, v28, v37
	v_fmac_f32_e32 v7, v17, v37
	s_waitcnt vmcnt(0)
	v_lshlrev_b32_e32 v33, 16, v24
	v_and_b32_e32 v24, 0xffff0000, v24
	v_lshlrev_b32_e32 v34, 16, v25
	v_and_b32_e32 v25, 0xffff0000, v25
	v_lshlrev_b32_e32 v38, 16, v31
	v_fmac_f32_e32 v8, v29, v30
	v_fmac_f32_e32 v23, v18, v30
	;; [unrolled: 1-line block ×4, first 2 shown]
	v_lshlrev_b32_e32 v35, 16, v26
	v_and_b32_e32 v26, 0xffff0000, v26
	v_lshlrev_b32_e32 v36, 16, v27
	v_and_b32_e32 v27, 0xffff0000, v27
	v_and_b32_e32 v31, 0xffff0000, v31
	v_fmac_f32_e32 v8, v33, v38
	v_fmac_f32_e32 v23, v24, v38
	;; [unrolled: 1-line block ×8, first 2 shown]
	s_andn2_b64 exec, exec, s[10:11]
	s_cbranch_execnz .LBB110_29
; %bb.30:
	s_or_b64 exec, exec, s[10:11]
.LBB110_31:
	s_or_b64 exec, exec, s[8:9]
	v_cmp_lt_u64_e32 vcc, 11, v[9:10]
	s_and_saveexec_b64 s[0:1], vcc
	s_cbranch_execz .LBB110_35
; %bb.32:
	v_lshlrev_b64 v[9:10], 2, v[0:1]
	v_mov_b32_e32 v11, s13
	v_add_co_u32_e32 v9, vcc, s12, v9
	v_addc_co_u32_e32 v10, vcc, v11, v10, vcc
	v_add_co_u32_e32 v9, vcc, 32, v9
	v_addc_co_u32_e32 v10, vcc, 0, v10, vcc
	s_mov_b64 s[8:9], 0
	v_mov_b32_e32 v11, s7
	s_movk_i32 s7, 0x200
.LBB110_33:                             ; =>This Inner Loop Header: Depth=1
	global_load_dword v12, v[9:10], off offset:-32
	s_waitcnt vmcnt(0)
	v_subrev_u32_e32 v12, s20, v12
	v_lshlrev_b32_e32 v16, 2, v12
	v_ashrrev_i32_e32 v17, 31, v16
	v_lshlrev_b64 v[16:17], 1, v[16:17]
	global_load_dwordx4 v[12:15], v[5:6], off
	v_add_co_u32_e32 v16, vcc, s6, v16
	v_addc_co_u32_e32 v17, vcc, v11, v17, vcc
	global_load_dwordx2 v[16:17], v[16:17], off
	s_waitcnt vmcnt(1)
	v_lshlrev_b32_e32 v18, 16, v12
	v_and_b32_e32 v12, 0xffff0000, v12
	s_waitcnt vmcnt(0)
	v_lshlrev_b32_e32 v19, 16, v16
	v_fmac_f32_e32 v23, v12, v19
	v_lshlrev_b32_e32 v12, 16, v13
	v_fmac_f32_e32 v22, v12, v19
	v_and_b32_e32 v12, 0xffff0000, v13
	v_fmac_f32_e32 v8, v18, v19
	v_fmac_f32_e32 v7, v12, v19
	v_lshlrev_b32_e32 v12, 16, v14
	v_and_b32_e32 v13, 0xffff0000, v16
	v_fmac_f32_e32 v8, v12, v13
	v_and_b32_e32 v12, 0xffff0000, v14
	v_fmac_f32_e32 v23, v12, v13
	v_lshlrev_b32_e32 v12, 16, v15
	v_fmac_f32_e32 v22, v12, v13
	v_and_b32_e32 v12, 0xffff0000, v15
	v_fmac_f32_e32 v7, v12, v13
	global_load_dwordx4 v[12:15], v[5:6], off offset:16
	v_lshlrev_b32_e32 v18, 16, v17
	s_waitcnt vmcnt(0)
	v_lshlrev_b32_e32 v16, 16, v12
	v_and_b32_e32 v12, 0xffff0000, v12
	v_fmac_f32_e32 v23, v12, v18
	v_lshlrev_b32_e32 v12, 16, v13
	v_fmac_f32_e32 v22, v12, v18
	v_and_b32_e32 v12, 0xffff0000, v13
	v_fmac_f32_e32 v8, v16, v18
	v_fmac_f32_e32 v7, v12, v18
	v_lshlrev_b32_e32 v12, 16, v14
	v_and_b32_e32 v13, 0xffff0000, v17
	v_fmac_f32_e32 v8, v12, v13
	v_and_b32_e32 v12, 0xffff0000, v14
	v_fmac_f32_e32 v23, v12, v13
	v_lshlrev_b32_e32 v12, 16, v15
	v_fmac_f32_e32 v22, v12, v13
	v_and_b32_e32 v12, 0xffff0000, v15
	v_fmac_f32_e32 v7, v12, v13
	global_load_dword v12, v[9:10], off offset:-16
	s_waitcnt vmcnt(0)
	v_subrev_u32_e32 v12, s20, v12
	v_lshlrev_b32_e32 v16, 2, v12
	v_ashrrev_i32_e32 v17, 31, v16
	v_lshlrev_b64 v[16:17], 1, v[16:17]
	global_load_dwordx4 v[12:15], v[5:6], off offset:128
	v_add_co_u32_e32 v16, vcc, s6, v16
	v_addc_co_u32_e32 v17, vcc, v11, v17, vcc
	global_load_dwordx2 v[16:17], v[16:17], off
	s_waitcnt vmcnt(1)
	v_lshlrev_b32_e32 v18, 16, v12
	v_and_b32_e32 v12, 0xffff0000, v12
	s_waitcnt vmcnt(0)
	v_lshlrev_b32_e32 v19, 16, v16
	v_fmac_f32_e32 v23, v12, v19
	v_lshlrev_b32_e32 v12, 16, v13
	v_fmac_f32_e32 v22, v12, v19
	v_and_b32_e32 v12, 0xffff0000, v13
	v_fmac_f32_e32 v8, v18, v19
	v_fmac_f32_e32 v7, v12, v19
	v_lshlrev_b32_e32 v12, 16, v14
	v_and_b32_e32 v13, 0xffff0000, v16
	v_fmac_f32_e32 v8, v12, v13
	v_and_b32_e32 v12, 0xffff0000, v14
	v_fmac_f32_e32 v23, v12, v13
	v_lshlrev_b32_e32 v12, 16, v15
	v_fmac_f32_e32 v22, v12, v13
	v_and_b32_e32 v12, 0xffff0000, v15
	v_fmac_f32_e32 v7, v12, v13
	global_load_dwordx4 v[12:15], v[5:6], off offset:144
	v_lshlrev_b32_e32 v18, 16, v17
	s_waitcnt vmcnt(0)
	v_lshlrev_b32_e32 v16, 16, v12
	v_and_b32_e32 v12, 0xffff0000, v12
	v_fmac_f32_e32 v23, v12, v18
	v_lshlrev_b32_e32 v12, 16, v13
	v_fmac_f32_e32 v22, v12, v18
	v_and_b32_e32 v12, 0xffff0000, v13
	v_fmac_f32_e32 v8, v16, v18
	v_fmac_f32_e32 v7, v12, v18
	v_lshlrev_b32_e32 v12, 16, v14
	v_and_b32_e32 v13, 0xffff0000, v17
	v_fmac_f32_e32 v8, v12, v13
	v_and_b32_e32 v12, 0xffff0000, v14
	v_fmac_f32_e32 v23, v12, v13
	v_lshlrev_b32_e32 v12, 16, v15
	v_fmac_f32_e32 v22, v12, v13
	v_and_b32_e32 v12, 0xffff0000, v15
	v_fmac_f32_e32 v7, v12, v13
	global_load_dword v12, v[9:10], off
	s_waitcnt vmcnt(0)
	v_subrev_u32_e32 v12, s20, v12
	v_lshlrev_b32_e32 v16, 2, v12
	v_ashrrev_i32_e32 v17, 31, v16
	v_lshlrev_b64 v[16:17], 1, v[16:17]
	global_load_dwordx4 v[12:15], v[5:6], off offset:256
	v_add_co_u32_e32 v16, vcc, s6, v16
	v_addc_co_u32_e32 v17, vcc, v11, v17, vcc
	global_load_dwordx2 v[16:17], v[16:17], off
	s_waitcnt vmcnt(1)
	v_lshlrev_b32_e32 v18, 16, v12
	v_and_b32_e32 v12, 0xffff0000, v12
	s_waitcnt vmcnt(0)
	v_lshlrev_b32_e32 v19, 16, v16
	v_fmac_f32_e32 v23, v12, v19
	v_lshlrev_b32_e32 v12, 16, v13
	v_fmac_f32_e32 v22, v12, v19
	v_and_b32_e32 v12, 0xffff0000, v13
	v_fmac_f32_e32 v8, v18, v19
	v_fmac_f32_e32 v7, v12, v19
	v_lshlrev_b32_e32 v12, 16, v14
	v_and_b32_e32 v13, 0xffff0000, v16
	v_fmac_f32_e32 v8, v12, v13
	v_and_b32_e32 v12, 0xffff0000, v14
	v_fmac_f32_e32 v23, v12, v13
	v_lshlrev_b32_e32 v12, 16, v15
	v_fmac_f32_e32 v22, v12, v13
	v_and_b32_e32 v12, 0xffff0000, v15
	v_fmac_f32_e32 v7, v12, v13
	global_load_dwordx4 v[12:15], v[5:6], off offset:272
	v_lshlrev_b32_e32 v18, 16, v17
	s_waitcnt vmcnt(0)
	v_lshlrev_b32_e32 v16, 16, v12
	v_and_b32_e32 v12, 0xffff0000, v12
	v_fmac_f32_e32 v23, v12, v18
	v_lshlrev_b32_e32 v12, 16, v13
	v_fmac_f32_e32 v22, v12, v18
	v_and_b32_e32 v12, 0xffff0000, v13
	v_fmac_f32_e32 v8, v16, v18
	v_fmac_f32_e32 v7, v12, v18
	v_lshlrev_b32_e32 v12, 16, v14
	v_and_b32_e32 v13, 0xffff0000, v17
	v_fmac_f32_e32 v8, v12, v13
	v_and_b32_e32 v12, 0xffff0000, v14
	v_fmac_f32_e32 v23, v12, v13
	v_lshlrev_b32_e32 v12, 16, v15
	v_fmac_f32_e32 v22, v12, v13
	v_and_b32_e32 v12, 0xffff0000, v15
	v_fmac_f32_e32 v7, v12, v13
	global_load_dword v12, v[9:10], off offset:16
	s_waitcnt vmcnt(0)
	v_subrev_u32_e32 v12, s20, v12
	v_lshlrev_b32_e32 v16, 2, v12
	v_ashrrev_i32_e32 v17, 31, v16
	v_lshlrev_b64 v[16:17], 1, v[16:17]
	global_load_dwordx4 v[12:15], v[5:6], off offset:384
	v_add_co_u32_e32 v16, vcc, s6, v16
	v_addc_co_u32_e32 v17, vcc, v11, v17, vcc
	global_load_dwordx2 v[16:17], v[16:17], off
	s_waitcnt vmcnt(1)
	v_lshlrev_b32_e32 v18, 16, v12
	v_and_b32_e32 v12, 0xffff0000, v12
	s_waitcnt vmcnt(0)
	v_lshlrev_b32_e32 v19, 16, v16
	v_fmac_f32_e32 v23, v12, v19
	v_lshlrev_b32_e32 v12, 16, v13
	v_fmac_f32_e32 v22, v12, v19
	v_and_b32_e32 v12, 0xffff0000, v13
	v_fmac_f32_e32 v8, v18, v19
	v_fmac_f32_e32 v7, v12, v19
	v_lshlrev_b32_e32 v12, 16, v14
	v_and_b32_e32 v13, 0xffff0000, v16
	v_fmac_f32_e32 v8, v12, v13
	v_and_b32_e32 v12, 0xffff0000, v14
	v_fmac_f32_e32 v23, v12, v13
	v_lshlrev_b32_e32 v12, 16, v15
	v_fmac_f32_e32 v22, v12, v13
	v_and_b32_e32 v12, 0xffff0000, v15
	v_fmac_f32_e32 v7, v12, v13
	global_load_dwordx4 v[12:15], v[5:6], off offset:400
	v_add_co_u32_e32 v5, vcc, s7, v5
	v_lshlrev_b32_e32 v18, 16, v17
	v_addc_co_u32_e32 v6, vcc, 0, v6, vcc
	v_add_co_u32_e32 v0, vcc, 16, v0
	v_addc_co_u32_e32 v1, vcc, 0, v1, vcc
	v_add_co_u32_e32 v9, vcc, 64, v9
	v_addc_co_u32_e32 v10, vcc, 0, v10, vcc
	v_cmp_ge_i64_e32 vcc, v[0:1], v[2:3]
	s_or_b64 s[8:9], vcc, s[8:9]
	s_waitcnt vmcnt(0)
	v_lshlrev_b32_e32 v16, 16, v12
	v_and_b32_e32 v12, 0xffff0000, v12
	v_fmac_f32_e32 v23, v12, v18
	v_lshlrev_b32_e32 v12, 16, v13
	v_fmac_f32_e32 v22, v12, v18
	v_and_b32_e32 v12, 0xffff0000, v13
	v_fmac_f32_e32 v8, v16, v18
	v_fmac_f32_e32 v7, v12, v18
	v_lshlrev_b32_e32 v12, 16, v14
	v_and_b32_e32 v13, 0xffff0000, v17
	v_fmac_f32_e32 v8, v12, v13
	v_and_b32_e32 v12, 0xffff0000, v14
	v_fmac_f32_e32 v23, v12, v13
	v_lshlrev_b32_e32 v12, 16, v15
	v_fmac_f32_e32 v22, v12, v13
	v_and_b32_e32 v12, 0xffff0000, v15
	v_fmac_f32_e32 v7, v12, v13
	s_andn2_b64 exec, exec, s[8:9]
	s_cbranch_execnz .LBB110_33
; %bb.34:
	s_or_b64 exec, exec, s[8:9]
.LBB110_35:
	s_or_b64 exec, exec, s[0:1]
.LBB110_36:
	s_or_b64 exec, exec, s[2:3]
.LBB110_37:
	v_mov_b32_dpp v0, v8 row_shr:1 row_mask:0xf bank_mask:0xf
	v_add_f32_e32 v0, v8, v0
	v_mov_b32_dpp v2, v23 row_shr:1 row_mask:0xf bank_mask:0xf
	v_mov_b32_dpp v5, v22 row_shr:1 row_mask:0xf bank_mask:0xf
	;; [unrolled: 1-line block ×3, first 2 shown]
	v_add_f32_e32 v2, v23, v2
	v_add_f32_e32 v5, v22, v5
	;; [unrolled: 1-line block ×3, first 2 shown]
	v_mov_b32_dpp v1, v0 row_shr:2 row_mask:0xf bank_mask:0xf
	v_mov_b32_dpp v3, v2 row_shr:2 row_mask:0xf bank_mask:0xf
	;; [unrolled: 1-line block ×4, first 2 shown]
	v_cmp_eq_u32_e32 vcc, 3, v21
	s_and_b64 exec, exec, vcc
	s_cbranch_execz .LBB110_10
; %bb.38:
	s_load_dwordx2 s[0:1], s[4:5], 0x50
	v_add_f32_e32 v0, v0, v1
	v_add_f32_e32 v1, v2, v3
	;; [unrolled: 1-line block ×4, first 2 shown]
	v_cmp_eq_f32_e64 s[2:3], s16, 0
	s_and_b64 vcc, exec, s[2:3]
	v_mul_f32_e32 v0, s18, v0
	v_mul_f32_e32 v1, s18, v1
	;; [unrolled: 1-line block ×4, first 2 shown]
	v_lshlrev_b32_e32 v4, 2, v4
	s_cbranch_vccz .LBB110_40
; %bb.39:
	v_ashrrev_i32_e32 v5, 31, v4
	v_lshlrev_b64 v[5:6], 2, v[4:5]
	s_waitcnt lgkmcnt(0)
	v_mov_b32_e32 v7, s1
	v_add_co_u32_e32 v5, vcc, s0, v5
	v_addc_co_u32_e32 v6, vcc, v7, v6, vcc
	global_store_dwordx4 v[5:6], v[0:3], off
	s_cbranch_execnz .LBB110_10
	s_branch .LBB110_41
.LBB110_40:
.LBB110_41:
	v_ashrrev_i32_e32 v5, 31, v4
	v_lshlrev_b64 v[4:5], 2, v[4:5]
	s_waitcnt lgkmcnt(0)
	v_mov_b32_e32 v6, s1
	v_add_co_u32_e32 v8, vcc, s0, v4
	v_addc_co_u32_e32 v9, vcc, v6, v5, vcc
	global_load_dwordx4 v[4:7], v[8:9], off
	s_waitcnt vmcnt(0)
	v_fmac_f32_e32 v0, s16, v4
	v_fmac_f32_e32 v1, s16, v5
	;; [unrolled: 1-line block ×4, first 2 shown]
	global_store_dwordx4 v[8:9], v[0:3], off
	s_endpgm
	.section	.rodata,"a",@progbits
	.p2align	6, 0x0
	.amdhsa_kernel _ZN9rocsparseL18bsrxmvn_4x4_kernelILj128ELj4Efli18rocsparse_bfloat16S1_fEEvT3_20rocsparse_direction_NS_24const_host_device_scalarIT1_EES2_PKS2_PKT2_SB_S8_PKT4_PKT5_S6_PT6_21rocsparse_index_base_b
		.amdhsa_group_segment_fixed_size 0
		.amdhsa_private_segment_fixed_size 0
		.amdhsa_kernarg_size 96
		.amdhsa_user_sgpr_count 6
		.amdhsa_user_sgpr_private_segment_buffer 1
		.amdhsa_user_sgpr_dispatch_ptr 0
		.amdhsa_user_sgpr_queue_ptr 0
		.amdhsa_user_sgpr_kernarg_segment_ptr 1
		.amdhsa_user_sgpr_dispatch_id 0
		.amdhsa_user_sgpr_flat_scratch_init 0
		.amdhsa_user_sgpr_private_segment_size 0
		.amdhsa_uses_dynamic_stack 0
		.amdhsa_system_sgpr_private_segment_wavefront_offset 0
		.amdhsa_system_sgpr_workgroup_id_x 1
		.amdhsa_system_sgpr_workgroup_id_y 0
		.amdhsa_system_sgpr_workgroup_id_z 0
		.amdhsa_system_sgpr_workgroup_info 0
		.amdhsa_system_vgpr_workitem_id 0
		.amdhsa_next_free_vgpr 45
		.amdhsa_next_free_sgpr 22
		.amdhsa_reserve_vcc 1
		.amdhsa_reserve_flat_scratch 0
		.amdhsa_float_round_mode_32 0
		.amdhsa_float_round_mode_16_64 0
		.amdhsa_float_denorm_mode_32 3
		.amdhsa_float_denorm_mode_16_64 3
		.amdhsa_dx10_clamp 1
		.amdhsa_ieee_mode 1
		.amdhsa_fp16_overflow 0
		.amdhsa_exception_fp_ieee_invalid_op 0
		.amdhsa_exception_fp_denorm_src 0
		.amdhsa_exception_fp_ieee_div_zero 0
		.amdhsa_exception_fp_ieee_overflow 0
		.amdhsa_exception_fp_ieee_underflow 0
		.amdhsa_exception_fp_ieee_inexact 0
		.amdhsa_exception_int_div_zero 0
	.end_amdhsa_kernel
	.section	.text._ZN9rocsparseL18bsrxmvn_4x4_kernelILj128ELj4Efli18rocsparse_bfloat16S1_fEEvT3_20rocsparse_direction_NS_24const_host_device_scalarIT1_EES2_PKS2_PKT2_SB_S8_PKT4_PKT5_S6_PT6_21rocsparse_index_base_b,"axG",@progbits,_ZN9rocsparseL18bsrxmvn_4x4_kernelILj128ELj4Efli18rocsparse_bfloat16S1_fEEvT3_20rocsparse_direction_NS_24const_host_device_scalarIT1_EES2_PKS2_PKT2_SB_S8_PKT4_PKT5_S6_PT6_21rocsparse_index_base_b,comdat
.Lfunc_end110:
	.size	_ZN9rocsparseL18bsrxmvn_4x4_kernelILj128ELj4Efli18rocsparse_bfloat16S1_fEEvT3_20rocsparse_direction_NS_24const_host_device_scalarIT1_EES2_PKS2_PKT2_SB_S8_PKT4_PKT5_S6_PT6_21rocsparse_index_base_b, .Lfunc_end110-_ZN9rocsparseL18bsrxmvn_4x4_kernelILj128ELj4Efli18rocsparse_bfloat16S1_fEEvT3_20rocsparse_direction_NS_24const_host_device_scalarIT1_EES2_PKS2_PKT2_SB_S8_PKT4_PKT5_S6_PT6_21rocsparse_index_base_b
                                        ; -- End function
	.set _ZN9rocsparseL18bsrxmvn_4x4_kernelILj128ELj4Efli18rocsparse_bfloat16S1_fEEvT3_20rocsparse_direction_NS_24const_host_device_scalarIT1_EES2_PKS2_PKT2_SB_S8_PKT4_PKT5_S6_PT6_21rocsparse_index_base_b.num_vgpr, 45
	.set _ZN9rocsparseL18bsrxmvn_4x4_kernelILj128ELj4Efli18rocsparse_bfloat16S1_fEEvT3_20rocsparse_direction_NS_24const_host_device_scalarIT1_EES2_PKS2_PKT2_SB_S8_PKT4_PKT5_S6_PT6_21rocsparse_index_base_b.num_agpr, 0
	.set _ZN9rocsparseL18bsrxmvn_4x4_kernelILj128ELj4Efli18rocsparse_bfloat16S1_fEEvT3_20rocsparse_direction_NS_24const_host_device_scalarIT1_EES2_PKS2_PKT2_SB_S8_PKT4_PKT5_S6_PT6_21rocsparse_index_base_b.numbered_sgpr, 22
	.set _ZN9rocsparseL18bsrxmvn_4x4_kernelILj128ELj4Efli18rocsparse_bfloat16S1_fEEvT3_20rocsparse_direction_NS_24const_host_device_scalarIT1_EES2_PKS2_PKT2_SB_S8_PKT4_PKT5_S6_PT6_21rocsparse_index_base_b.num_named_barrier, 0
	.set _ZN9rocsparseL18bsrxmvn_4x4_kernelILj128ELj4Efli18rocsparse_bfloat16S1_fEEvT3_20rocsparse_direction_NS_24const_host_device_scalarIT1_EES2_PKS2_PKT2_SB_S8_PKT4_PKT5_S6_PT6_21rocsparse_index_base_b.private_seg_size, 0
	.set _ZN9rocsparseL18bsrxmvn_4x4_kernelILj128ELj4Efli18rocsparse_bfloat16S1_fEEvT3_20rocsparse_direction_NS_24const_host_device_scalarIT1_EES2_PKS2_PKT2_SB_S8_PKT4_PKT5_S6_PT6_21rocsparse_index_base_b.uses_vcc, 1
	.set _ZN9rocsparseL18bsrxmvn_4x4_kernelILj128ELj4Efli18rocsparse_bfloat16S1_fEEvT3_20rocsparse_direction_NS_24const_host_device_scalarIT1_EES2_PKS2_PKT2_SB_S8_PKT4_PKT5_S6_PT6_21rocsparse_index_base_b.uses_flat_scratch, 0
	.set _ZN9rocsparseL18bsrxmvn_4x4_kernelILj128ELj4Efli18rocsparse_bfloat16S1_fEEvT3_20rocsparse_direction_NS_24const_host_device_scalarIT1_EES2_PKS2_PKT2_SB_S8_PKT4_PKT5_S6_PT6_21rocsparse_index_base_b.has_dyn_sized_stack, 0
	.set _ZN9rocsparseL18bsrxmvn_4x4_kernelILj128ELj4Efli18rocsparse_bfloat16S1_fEEvT3_20rocsparse_direction_NS_24const_host_device_scalarIT1_EES2_PKS2_PKT2_SB_S8_PKT4_PKT5_S6_PT6_21rocsparse_index_base_b.has_recursion, 0
	.set _ZN9rocsparseL18bsrxmvn_4x4_kernelILj128ELj4Efli18rocsparse_bfloat16S1_fEEvT3_20rocsparse_direction_NS_24const_host_device_scalarIT1_EES2_PKS2_PKT2_SB_S8_PKT4_PKT5_S6_PT6_21rocsparse_index_base_b.has_indirect_call, 0
	.section	.AMDGPU.csdata,"",@progbits
; Kernel info:
; codeLenInByte = 4120
; TotalNumSgprs: 26
; NumVgprs: 45
; ScratchSize: 0
; MemoryBound: 0
; FloatMode: 240
; IeeeMode: 1
; LDSByteSize: 0 bytes/workgroup (compile time only)
; SGPRBlocks: 3
; VGPRBlocks: 11
; NumSGPRsForWavesPerEU: 26
; NumVGPRsForWavesPerEU: 45
; Occupancy: 5
; WaveLimiterHint : 1
; COMPUTE_PGM_RSRC2:SCRATCH_EN: 0
; COMPUTE_PGM_RSRC2:USER_SGPR: 6
; COMPUTE_PGM_RSRC2:TRAP_HANDLER: 0
; COMPUTE_PGM_RSRC2:TGID_X_EN: 1
; COMPUTE_PGM_RSRC2:TGID_Y_EN: 0
; COMPUTE_PGM_RSRC2:TGID_Z_EN: 0
; COMPUTE_PGM_RSRC2:TIDIG_COMP_CNT: 0
	.section	.text._ZN9rocsparseL18bsrxmvn_4x4_kernelILj128ELj8Efli18rocsparse_bfloat16S1_fEEvT3_20rocsparse_direction_NS_24const_host_device_scalarIT1_EES2_PKS2_PKT2_SB_S8_PKT4_PKT5_S6_PT6_21rocsparse_index_base_b,"axG",@progbits,_ZN9rocsparseL18bsrxmvn_4x4_kernelILj128ELj8Efli18rocsparse_bfloat16S1_fEEvT3_20rocsparse_direction_NS_24const_host_device_scalarIT1_EES2_PKS2_PKT2_SB_S8_PKT4_PKT5_S6_PT6_21rocsparse_index_base_b,comdat
	.globl	_ZN9rocsparseL18bsrxmvn_4x4_kernelILj128ELj8Efli18rocsparse_bfloat16S1_fEEvT3_20rocsparse_direction_NS_24const_host_device_scalarIT1_EES2_PKS2_PKT2_SB_S8_PKT4_PKT5_S6_PT6_21rocsparse_index_base_b ; -- Begin function _ZN9rocsparseL18bsrxmvn_4x4_kernelILj128ELj8Efli18rocsparse_bfloat16S1_fEEvT3_20rocsparse_direction_NS_24const_host_device_scalarIT1_EES2_PKS2_PKT2_SB_S8_PKT4_PKT5_S6_PT6_21rocsparse_index_base_b
	.p2align	8
	.type	_ZN9rocsparseL18bsrxmvn_4x4_kernelILj128ELj8Efli18rocsparse_bfloat16S1_fEEvT3_20rocsparse_direction_NS_24const_host_device_scalarIT1_EES2_PKS2_PKT2_SB_S8_PKT4_PKT5_S6_PT6_21rocsparse_index_base_b,@function
_ZN9rocsparseL18bsrxmvn_4x4_kernelILj128ELj8Efli18rocsparse_bfloat16S1_fEEvT3_20rocsparse_direction_NS_24const_host_device_scalarIT1_EES2_PKS2_PKT2_SB_S8_PKT4_PKT5_S6_PT6_21rocsparse_index_base_b: ; @_ZN9rocsparseL18bsrxmvn_4x4_kernelILj128ELj8Efli18rocsparse_bfloat16S1_fEEvT3_20rocsparse_direction_NS_24const_host_device_scalarIT1_EES2_PKS2_PKT2_SB_S8_PKT4_PKT5_S6_PT6_21rocsparse_index_base_b
; %bb.0:
	s_load_dwordx2 s[20:21], s[4:5], 0x58
	s_load_dwordx2 s[18:19], s[4:5], 0x8
	;; [unrolled: 1-line block ×3, first 2 shown]
	s_waitcnt lgkmcnt(0)
	s_bitcmp1_b32 s21, 0
	s_cselect_b64 s[2:3], -1, 0
	s_xor_b64 s[0:1], s[2:3], -1
	s_and_b64 vcc, exec, s[2:3]
	s_cbranch_vccnz .LBB111_2
; %bb.1:
	s_load_dword s18, s[18:19], 0x0
.LBB111_2:
	s_andn2_b64 vcc, exec, s[0:1]
	s_cbranch_vccnz .LBB111_4
; %bb.3:
	s_load_dword s16, s[16:17], 0x0
.LBB111_4:
	s_waitcnt lgkmcnt(0)
	v_cmp_neq_f32_e64 s[0:1], s18, 0
	v_cmp_neq_f32_e64 s[2:3], s16, 1.0
	s_or_b64 s[0:1], s[0:1], s[2:3]
	s_andn2_b64 vcc, exec, s[0:1]
	s_cbranch_vccnz .LBB111_10
; %bb.5:
	s_load_dwordx2 s[8:9], s[4:5], 0x18
	s_load_dwordx2 s[0:1], s[4:5], 0x0
	v_lshrrev_b32_e32 v1, 3, v0
	v_lshl_or_b32 v4, s6, 4, v1
	s_mov_b64 s[2:3], 0
	s_waitcnt lgkmcnt(0)
	s_cmp_lg_u64 s[8:9], 0
	s_cbranch_scc0 .LBB111_11
; %bb.6:
	s_load_dword s6, s[4:5], 0x10
                                        ; implicit-def: $vgpr1
	s_waitcnt lgkmcnt(0)
	v_cmp_gt_i32_e32 vcc, s6, v4
	s_and_saveexec_b64 s[6:7], vcc
	s_xor_b64 s[6:7], exec, s[6:7]
	s_cbranch_execz .LBB111_8
; %bb.7:
	v_ashrrev_i32_e32 v5, 31, v4
	v_lshlrev_b64 v[1:2], 2, v[4:5]
	v_mov_b32_e32 v3, s9
	v_add_co_u32_e32 v1, vcc, s8, v1
	v_addc_co_u32_e32 v2, vcc, v3, v2, vcc
	global_load_dword v1, v[1:2], off
	s_mov_b64 s[2:3], exec
	s_waitcnt vmcnt(0)
	v_subrev_u32_e32 v1, s20, v1
.LBB111_8:
	s_or_b64 exec, exec, s[6:7]
	s_branch .LBB111_12
.LBB111_9:
	v_cmp_gt_i32_e32 vcc, s0, v4
	s_andn2_b64 s[2:3], s[2:3], exec
	s_and_b64 s[6:7], vcc, exec
	s_or_b64 s[2:3], s[2:3], s[6:7]
	s_and_saveexec_b64 s[6:7], s[2:3]
	s_cbranch_execnz .LBB111_13
.LBB111_10:
	s_endpgm
.LBB111_11:
                                        ; implicit-def: $vgpr1
	s_cbranch_execnz .LBB111_9
.LBB111_12:
	v_mov_b32_e32 v4, v1
	s_and_saveexec_b64 s[6:7], s[2:3]
	s_cbranch_execz .LBB111_10
.LBB111_13:
	s_load_dwordx8 s[8:15], s[4:5], 0x20
	v_ashrrev_i32_e32 v5, 31, v4
	v_lshlrev_b64 v[1:2], 3, v[4:5]
	v_and_b32_e32 v21, 7, v0
	s_load_dwordx2 s[6:7], s[4:5], 0x40
	s_waitcnt lgkmcnt(0)
	v_mov_b32_e32 v3, s9
	v_add_co_u32_e32 v5, vcc, s8, v1
	v_addc_co_u32_e32 v6, vcc, v3, v2, vcc
	v_add_co_u32_e32 v3, vcc, 8, v5
	global_load_dwordx2 v[9:10], v[5:6], off
	v_addc_co_u32_e32 v5, vcc, 0, v6, vcc
	v_mov_b32_e32 v6, s11
	v_add_co_u32_e32 v1, vcc, s10, v1
	s_cmp_eq_u64 s[10:11], 0
	v_addc_co_u32_e32 v2, vcc, v6, v2, vcc
	s_cselect_b64 vcc, -1, 0
	v_cndmask_b32_e32 v2, v2, v5, vcc
	v_cndmask_b32_e32 v1, v1, v3, vcc
	global_load_dwordx2 v[2:3], v[1:2], off
	v_mov_b32_e32 v8, s15
	s_cmp_eq_u32 s1, 1
	v_mov_b32_e32 v7, 0
	s_waitcnt vmcnt(1)
	v_subrev_co_u32_e32 v0, vcc, s20, v9
	v_subbrev_co_u32_e32 v1, vcc, 0, v10, vcc
	v_add_co_u32_e32 v0, vcc, v0, v21
	v_addc_co_u32_e32 v1, vcc, 0, v1, vcc
	v_lshlrev_b64 v[5:6], 5, v[0:1]
	s_waitcnt vmcnt(0)
	v_subrev_co_u32_e32 v2, vcc, s20, v2
	v_subbrev_co_u32_e32 v3, vcc, 0, v3, vcc
	v_cmp_lt_i64_e64 s[0:1], v[0:1], v[2:3]
	v_add_co_u32_e32 v5, vcc, s14, v5
	v_addc_co_u32_e32 v6, vcc, v8, v6, vcc
	s_cbranch_scc1 .LBB111_25
; %bb.14:
	v_mov_b32_e32 v22, 0
	v_mov_b32_e32 v23, 0
	;; [unrolled: 1-line block ×3, first 2 shown]
	s_and_saveexec_b64 s[8:9], s[0:1]
	s_cbranch_execz .LBB111_24
; %bb.15:
	v_or_b32_e32 v7, 8, v21
	v_subrev_co_u32_e32 v7, vcc, s20, v7
	v_subb_co_u32_e64 v8, s[2:3], 0, 0, vcc
	v_add_co_u32_e32 v7, vcc, v7, v9
	v_addc_co_u32_e32 v8, vcc, v8, v10, vcc
	v_cmp_gt_i64_e32 vcc, v[7:8], v[2:3]
	v_not_b32_e32 v12, v9
	v_cndmask_b32_e32 v8, v3, v8, vcc
	v_cndmask_b32_e32 v7, v2, v7, vcc
	v_sub_co_u32_e32 v13, vcc, s20, v21
	v_not_b32_e32 v11, v10
	v_subb_co_u32_e64 v14, s[2:3], 0, 0, vcc
	v_add_co_u32_e32 v12, vcc, v13, v12
	v_addc_co_u32_e32 v11, vcc, v14, v11, vcc
	v_add_co_u32_e32 v15, vcc, v12, v7
	v_addc_co_u32_e32 v16, vcc, v11, v8, vcc
	v_and_b32_e32 v7, 24, v15
	v_mov_b32_e32 v8, 0
	v_cmp_ne_u64_e32 vcc, 24, v[7:8]
	v_mov_b32_e32 v12, v1
	v_mov_b32_e32 v14, v6
	;; [unrolled: 1-line block ×7, first 2 shown]
	s_and_saveexec_b64 s[10:11], vcc
	s_cbranch_execz .LBB111_19
; %bb.16:
	v_lshlrev_b64 v[11:12], 2, v[0:1]
	v_lshrrev_b32_e32 v7, 3, v15
	v_add_u32_e32 v7, 1, v7
	v_mov_b32_e32 v13, s13
	v_add_co_u32_e32 v17, vcc, s12, v11
	v_and_b32_e32 v8, 3, v7
	v_addc_co_u32_e32 v18, vcc, v13, v12, vcc
	v_sub_co_u32_e32 v19, vcc, 0, v8
	v_mov_b32_e32 v14, v6
	v_mov_b32_e32 v12, v1
	v_mov_b32_e32 v7, 0
	s_mov_b64 s[14:15], 0
	v_subb_co_u32_e64 v20, s[2:3], 0, 0, vcc
	s_movk_i32 s17, 0x100
	v_mov_b32_e32 v24, s7
	v_mov_b32_e32 v13, v5
	;; [unrolled: 1-line block ×6, first 2 shown]
.LBB111_17:                             ; =>This Inner Loop Header: Depth=1
	global_load_dword v33, v[17:18], off
	global_load_dwordx4 v[25:28], v[13:14], off
	global_load_dwordx4 v[29:32], v[13:14], off offset:16
	v_add_co_u32_e64 v11, s[2:3], 8, v11
	v_addc_co_u32_e64 v12, s[2:3], 0, v12, s[2:3]
	v_add_co_u32_e64 v17, s[2:3], 32, v17
	v_addc_co_u32_e64 v18, s[2:3], 0, v18, s[2:3]
	;; [unrolled: 2-line block ×3, first 2 shown]
	v_cmp_eq_u64_e64 s[2:3], 0, v[19:20]
	s_or_b64 s[14:15], s[2:3], s[14:15]
	s_waitcnt vmcnt(2)
	v_subrev_u32_e32 v33, s20, v33
	v_lshlrev_b32_e32 v33, 2, v33
	v_ashrrev_i32_e32 v34, 31, v33
	v_lshlrev_b64 v[33:34], 1, v[33:34]
	s_waitcnt vmcnt(1)
	v_lshlrev_b32_e32 v35, 16, v25
	v_add_co_u32_e32 v33, vcc, s6, v33
	v_addc_co_u32_e32 v34, vcc, v24, v34, vcc
	global_load_dwordx2 v[33:34], v[33:34], off
	v_lshlrev_b32_e32 v37, 16, v27
	s_waitcnt vmcnt(1)
	v_lshlrev_b32_e32 v39, 16, v29
	v_lshlrev_b32_e32 v41, 16, v31
	v_and_b32_e32 v25, 0xffff0000, v25
	v_and_b32_e32 v27, 0xffff0000, v27
	;; [unrolled: 1-line block ×4, first 2 shown]
	v_lshlrev_b32_e32 v36, 16, v26
	v_lshlrev_b32_e32 v38, 16, v28
	;; [unrolled: 1-line block ×4, first 2 shown]
	v_add_co_u32_e32 v13, vcc, s17, v13
	v_and_b32_e32 v26, 0xffff0000, v26
	v_and_b32_e32 v28, 0xffff0000, v28
	;; [unrolled: 1-line block ×4, first 2 shown]
	v_addc_co_u32_e32 v14, vcc, 0, v14, vcc
	s_waitcnt vmcnt(0)
	v_lshlrev_b32_e32 v43, 16, v33
	v_and_b32_e32 v33, 0xffff0000, v33
	v_fmac_f32_e32 v8, v35, v43
	v_fmac_f32_e32 v23, v37, v43
	;; [unrolled: 1-line block ×4, first 2 shown]
	v_lshlrev_b32_e32 v44, 16, v34
	v_fmac_f32_e32 v8, v25, v33
	v_fmac_f32_e32 v23, v27, v33
	;; [unrolled: 1-line block ×4, first 2 shown]
	v_and_b32_e32 v34, 0xffff0000, v34
	v_fmac_f32_e32 v8, v36, v44
	v_fmac_f32_e32 v23, v38, v44
	;; [unrolled: 1-line block ×8, first 2 shown]
	s_andn2_b64 exec, exec, s[14:15]
	s_cbranch_execnz .LBB111_17
; %bb.18:
	s_or_b64 exec, exec, s[14:15]
.LBB111_19:
	s_or_b64 exec, exec, s[10:11]
	v_cmp_lt_u64_e32 vcc, 23, v[15:16]
	s_and_saveexec_b64 s[2:3], vcc
	s_cbranch_execz .LBB111_23
; %bb.20:
	v_lshlrev_b64 v[15:16], 2, v[11:12]
	v_mov_b32_e32 v17, s13
	v_add_co_u32_e32 v15, vcc, s12, v15
	v_addc_co_u32_e32 v16, vcc, v17, v16, vcc
	v_add_co_u32_e32 v15, vcc, 64, v15
	v_addc_co_u32_e32 v16, vcc, 0, v16, vcc
	s_mov_b64 s[10:11], 0
	v_mov_b32_e32 v17, s7
	s_movk_i32 s14, 0x400
.LBB111_21:                             ; =>This Inner Loop Header: Depth=1
	global_load_dword v18, v[15:16], off offset:-64
	global_load_dwordx4 v[24:27], v[13:14], off
	s_waitcnt vmcnt(1)
	v_subrev_u32_e32 v18, s20, v18
	v_lshlrev_b32_e32 v18, 2, v18
	v_ashrrev_i32_e32 v19, 31, v18
	v_lshlrev_b64 v[18:19], 1, v[18:19]
	s_waitcnt vmcnt(0)
	v_lshlrev_b32_e32 v20, 16, v24
	v_add_co_u32_e32 v18, vcc, s6, v18
	v_addc_co_u32_e32 v19, vcc, v17, v19, vcc
	global_load_dwordx2 v[18:19], v[18:19], off
	s_waitcnt vmcnt(0)
	v_lshlrev_b32_e32 v28, 16, v18
	v_fmac_f32_e32 v8, v20, v28
	v_and_b32_e32 v20, 0xffff0000, v24
	v_and_b32_e32 v18, 0xffff0000, v18
	v_fmac_f32_e32 v8, v20, v18
	v_lshlrev_b32_e32 v20, 16, v25
	v_lshlrev_b32_e32 v29, 16, v19
	v_fmac_f32_e32 v8, v20, v29
	v_and_b32_e32 v20, 0xffff0000, v25
	v_and_b32_e32 v19, 0xffff0000, v19
	v_fmac_f32_e32 v8, v20, v19
	v_lshlrev_b32_e32 v20, 16, v26
	v_fmac_f32_e32 v23, v20, v28
	v_and_b32_e32 v20, 0xffff0000, v26
	v_fmac_f32_e32 v23, v20, v18
	v_lshlrev_b32_e32 v20, 16, v27
	v_fmac_f32_e32 v23, v20, v29
	v_and_b32_e32 v20, 0xffff0000, v27
	global_load_dwordx4 v[24:27], v[13:14], off offset:16
	v_fmac_f32_e32 v23, v20, v19
	s_waitcnt vmcnt(0)
	v_lshlrev_b32_e32 v20, 16, v24
	v_fmac_f32_e32 v22, v20, v28
	v_and_b32_e32 v20, 0xffff0000, v24
	v_fmac_f32_e32 v22, v20, v18
	v_lshlrev_b32_e32 v20, 16, v25
	v_fmac_f32_e32 v22, v20, v29
	v_and_b32_e32 v20, 0xffff0000, v25
	v_fmac_f32_e32 v22, v20, v19
	;; [unrolled: 4-line block ×4, first 2 shown]
	global_load_dword v18, v[15:16], off offset:-32
	global_load_dwordx4 v[24:27], v[13:14], off offset:256
	s_waitcnt vmcnt(1)
	v_subrev_u32_e32 v18, s20, v18
	v_lshlrev_b32_e32 v18, 2, v18
	v_ashrrev_i32_e32 v19, 31, v18
	v_lshlrev_b64 v[18:19], 1, v[18:19]
	s_waitcnt vmcnt(0)
	v_lshlrev_b32_e32 v20, 16, v24
	v_add_co_u32_e32 v18, vcc, s6, v18
	v_addc_co_u32_e32 v19, vcc, v17, v19, vcc
	global_load_dwordx2 v[18:19], v[18:19], off
	s_waitcnt vmcnt(0)
	v_lshlrev_b32_e32 v28, 16, v18
	v_fmac_f32_e32 v8, v20, v28
	v_and_b32_e32 v20, 0xffff0000, v24
	v_and_b32_e32 v18, 0xffff0000, v18
	v_fmac_f32_e32 v8, v20, v18
	v_lshlrev_b32_e32 v20, 16, v25
	v_lshlrev_b32_e32 v29, 16, v19
	v_fmac_f32_e32 v8, v20, v29
	v_and_b32_e32 v20, 0xffff0000, v25
	v_and_b32_e32 v19, 0xffff0000, v19
	v_fmac_f32_e32 v8, v20, v19
	v_lshlrev_b32_e32 v20, 16, v26
	v_fmac_f32_e32 v23, v20, v28
	v_and_b32_e32 v20, 0xffff0000, v26
	v_fmac_f32_e32 v23, v20, v18
	v_lshlrev_b32_e32 v20, 16, v27
	v_fmac_f32_e32 v23, v20, v29
	v_and_b32_e32 v20, 0xffff0000, v27
	global_load_dwordx4 v[24:27], v[13:14], off offset:272
	v_fmac_f32_e32 v23, v20, v19
	s_waitcnt vmcnt(0)
	v_lshlrev_b32_e32 v20, 16, v24
	v_fmac_f32_e32 v22, v20, v28
	v_and_b32_e32 v20, 0xffff0000, v24
	v_fmac_f32_e32 v22, v20, v18
	v_lshlrev_b32_e32 v20, 16, v25
	v_fmac_f32_e32 v22, v20, v29
	v_and_b32_e32 v20, 0xffff0000, v25
	v_fmac_f32_e32 v22, v20, v19
	;; [unrolled: 4-line block ×4, first 2 shown]
	global_load_dword v18, v[15:16], off
	global_load_dwordx4 v[24:27], v[13:14], off offset:512
	s_waitcnt vmcnt(1)
	v_subrev_u32_e32 v18, s20, v18
	v_lshlrev_b32_e32 v18, 2, v18
	v_ashrrev_i32_e32 v19, 31, v18
	v_lshlrev_b64 v[18:19], 1, v[18:19]
	s_waitcnt vmcnt(0)
	v_lshlrev_b32_e32 v20, 16, v24
	v_add_co_u32_e32 v18, vcc, s6, v18
	v_addc_co_u32_e32 v19, vcc, v17, v19, vcc
	global_load_dwordx2 v[18:19], v[18:19], off
	s_waitcnt vmcnt(0)
	v_lshlrev_b32_e32 v28, 16, v18
	v_fmac_f32_e32 v8, v20, v28
	v_and_b32_e32 v20, 0xffff0000, v24
	v_and_b32_e32 v18, 0xffff0000, v18
	v_fmac_f32_e32 v8, v20, v18
	v_lshlrev_b32_e32 v20, 16, v25
	v_lshlrev_b32_e32 v29, 16, v19
	v_fmac_f32_e32 v8, v20, v29
	v_and_b32_e32 v20, 0xffff0000, v25
	v_and_b32_e32 v19, 0xffff0000, v19
	v_fmac_f32_e32 v8, v20, v19
	v_lshlrev_b32_e32 v20, 16, v26
	v_fmac_f32_e32 v23, v20, v28
	v_and_b32_e32 v20, 0xffff0000, v26
	v_fmac_f32_e32 v23, v20, v18
	v_lshlrev_b32_e32 v20, 16, v27
	v_fmac_f32_e32 v23, v20, v29
	v_and_b32_e32 v20, 0xffff0000, v27
	global_load_dwordx4 v[24:27], v[13:14], off offset:528
	v_fmac_f32_e32 v23, v20, v19
	s_waitcnt vmcnt(0)
	v_lshlrev_b32_e32 v20, 16, v24
	v_fmac_f32_e32 v22, v20, v28
	v_and_b32_e32 v20, 0xffff0000, v24
	v_fmac_f32_e32 v22, v20, v18
	v_lshlrev_b32_e32 v20, 16, v25
	v_fmac_f32_e32 v22, v20, v29
	v_and_b32_e32 v20, 0xffff0000, v25
	v_fmac_f32_e32 v22, v20, v19
	;; [unrolled: 4-line block ×4, first 2 shown]
	global_load_dword v18, v[15:16], off offset:32
	global_load_dwordx4 v[24:27], v[13:14], off offset:768
	s_waitcnt vmcnt(1)
	v_subrev_u32_e32 v18, s20, v18
	v_lshlrev_b32_e32 v18, 2, v18
	v_ashrrev_i32_e32 v19, 31, v18
	v_lshlrev_b64 v[18:19], 1, v[18:19]
	s_waitcnt vmcnt(0)
	v_lshlrev_b32_e32 v20, 16, v24
	v_add_co_u32_e32 v18, vcc, s6, v18
	v_addc_co_u32_e32 v19, vcc, v17, v19, vcc
	global_load_dwordx2 v[18:19], v[18:19], off
	s_waitcnt vmcnt(0)
	v_lshlrev_b32_e32 v28, 16, v18
	v_fmac_f32_e32 v8, v20, v28
	v_and_b32_e32 v20, 0xffff0000, v24
	v_and_b32_e32 v18, 0xffff0000, v18
	v_fmac_f32_e32 v8, v20, v18
	v_lshlrev_b32_e32 v20, 16, v25
	v_lshlrev_b32_e32 v29, 16, v19
	v_fmac_f32_e32 v8, v20, v29
	v_and_b32_e32 v20, 0xffff0000, v25
	v_and_b32_e32 v19, 0xffff0000, v19
	v_fmac_f32_e32 v8, v20, v19
	v_lshlrev_b32_e32 v20, 16, v26
	v_fmac_f32_e32 v23, v20, v28
	v_and_b32_e32 v20, 0xffff0000, v26
	v_fmac_f32_e32 v23, v20, v18
	v_lshlrev_b32_e32 v20, 16, v27
	v_fmac_f32_e32 v23, v20, v29
	v_and_b32_e32 v20, 0xffff0000, v27
	global_load_dwordx4 v[24:27], v[13:14], off offset:784
	v_fmac_f32_e32 v23, v20, v19
	v_add_co_u32_e32 v13, vcc, s14, v13
	v_addc_co_u32_e32 v14, vcc, 0, v14, vcc
	v_add_co_u32_e32 v11, vcc, 32, v11
	v_addc_co_u32_e32 v12, vcc, 0, v12, vcc
	;; [unrolled: 2-line block ×3, first 2 shown]
	v_cmp_ge_i64_e32 vcc, v[11:12], v[2:3]
	s_or_b64 s[10:11], vcc, s[10:11]
	s_waitcnt vmcnt(0)
	v_lshlrev_b32_e32 v20, 16, v24
	v_fmac_f32_e32 v22, v20, v28
	v_and_b32_e32 v20, 0xffff0000, v24
	v_fmac_f32_e32 v22, v20, v18
	v_lshlrev_b32_e32 v20, 16, v25
	v_fmac_f32_e32 v22, v20, v29
	v_and_b32_e32 v20, 0xffff0000, v25
	v_fmac_f32_e32 v22, v20, v19
	v_lshlrev_b32_e32 v20, 16, v26
	v_fmac_f32_e32 v7, v20, v28
	v_and_b32_e32 v20, 0xffff0000, v26
	v_fmac_f32_e32 v7, v20, v18
	v_lshlrev_b32_e32 v18, 16, v27
	v_fmac_f32_e32 v7, v18, v29
	v_and_b32_e32 v18, 0xffff0000, v27
	v_fmac_f32_e32 v7, v18, v19
	s_andn2_b64 exec, exec, s[10:11]
	s_cbranch_execnz .LBB111_21
; %bb.22:
	s_or_b64 exec, exec, s[10:11]
.LBB111_23:
	s_or_b64 exec, exec, s[2:3]
.LBB111_24:
	s_or_b64 exec, exec, s[8:9]
	s_cbranch_execz .LBB111_26
	s_branch .LBB111_37
.LBB111_25:
                                        ; implicit-def: $vgpr7
                                        ; implicit-def: $vgpr22
                                        ; implicit-def: $vgpr23
                                        ; implicit-def: $vgpr8
.LBB111_26:
	v_mov_b32_e32 v7, 0
	v_mov_b32_e32 v22, 0
	v_mov_b32_e32 v23, 0
	v_mov_b32_e32 v8, 0
	s_and_saveexec_b64 s[2:3], s[0:1]
	s_cbranch_execz .LBB111_36
; %bb.27:
	v_or_b32_e32 v7, 8, v21
	v_subrev_co_u32_e32 v7, vcc, s20, v7
	v_subb_co_u32_e64 v8, s[0:1], 0, 0, vcc
	v_add_co_u32_e32 v7, vcc, v7, v9
	v_addc_co_u32_e32 v8, vcc, v8, v10, vcc
	v_cmp_gt_i64_e32 vcc, v[7:8], v[2:3]
	v_not_b32_e32 v9, v9
	v_cndmask_b32_e32 v8, v3, v8, vcc
	v_cndmask_b32_e32 v7, v2, v7, vcc
	v_sub_co_u32_e32 v11, vcc, s20, v21
	v_not_b32_e32 v10, v10
	v_subb_co_u32_e64 v12, s[0:1], 0, 0, vcc
	v_add_co_u32_e32 v9, vcc, v11, v9
	v_addc_co_u32_e32 v10, vcc, v12, v10, vcc
	v_add_co_u32_e32 v9, vcc, v9, v7
	v_addc_co_u32_e32 v10, vcc, v10, v8, vcc
	v_and_b32_e32 v7, 24, v9
	v_mov_b32_e32 v8, 0
	v_cmp_ne_u64_e32 vcc, 24, v[7:8]
	v_mov_b32_e32 v23, v8
	v_mov_b32_e32 v22, v8
	;; [unrolled: 1-line block ×3, first 2 shown]
	s_and_saveexec_b64 s[8:9], vcc
	s_cbranch_execz .LBB111_31
; %bb.28:
	v_lshlrev_b64 v[11:12], 2, v[0:1]
	v_lshrrev_b32_e32 v7, 3, v9
	v_add_u32_e32 v7, 1, v7
	v_mov_b32_e32 v13, s13
	v_add_co_u32_e32 v11, vcc, s12, v11
	v_and_b32_e32 v8, 3, v7
	v_addc_co_u32_e32 v12, vcc, v13, v12, vcc
	v_sub_co_u32_e32 v13, vcc, 0, v8
	v_mov_b32_e32 v7, 0
	s_mov_b64 s[10:11], 0
	v_subb_co_u32_e64 v14, s[0:1], 0, 0, vcc
	s_movk_i32 s14, 0x100
	v_mov_b32_e32 v15, s7
	v_mov_b32_e32 v22, 0
	;; [unrolled: 1-line block ×4, first 2 shown]
.LBB111_29:                             ; =>This Inner Loop Header: Depth=1
	global_load_dword v20, v[11:12], off
	global_load_dwordx4 v[16:19], v[5:6], off
	v_add_co_u32_e64 v0, s[0:1], 8, v0
	v_addc_co_u32_e64 v1, s[0:1], 0, v1, s[0:1]
	v_add_co_u32_e64 v11, s[0:1], 32, v11
	v_addc_co_u32_e64 v12, s[0:1], 0, v12, s[0:1]
	;; [unrolled: 2-line block ×3, first 2 shown]
	v_cmp_eq_u64_e64 s[0:1], 0, v[13:14]
	s_or_b64 s[10:11], s[0:1], s[10:11]
	s_waitcnt vmcnt(1)
	v_subrev_u32_e32 v20, s20, v20
	v_lshlrev_b32_e32 v24, 2, v20
	v_ashrrev_i32_e32 v25, 31, v24
	v_lshlrev_b64 v[24:25], 1, v[24:25]
	s_waitcnt vmcnt(0)
	v_lshlrev_b32_e32 v20, 16, v16
	v_add_co_u32_e32 v28, vcc, s6, v24
	v_addc_co_u32_e32 v29, vcc, v15, v25, vcc
	global_load_dwordx2 v[30:31], v[28:29], off
	global_load_dwordx4 v[24:27], v[5:6], off offset:16
	v_and_b32_e32 v16, 0xffff0000, v16
	v_lshlrev_b32_e32 v28, 16, v17
	v_and_b32_e32 v17, 0xffff0000, v17
	v_lshlrev_b32_e32 v29, 16, v18
	;; [unrolled: 2-line block ×3, first 2 shown]
	v_and_b32_e32 v19, 0xffff0000, v19
	v_add_co_u32_e32 v5, vcc, s14, v5
	v_addc_co_u32_e32 v6, vcc, 0, v6, vcc
	s_waitcnt vmcnt(1)
	v_lshlrev_b32_e32 v37, 16, v30
	v_and_b32_e32 v30, 0xffff0000, v30
	v_fmac_f32_e32 v8, v20, v37
	v_fmac_f32_e32 v23, v16, v37
	;; [unrolled: 1-line block ×4, first 2 shown]
	s_waitcnt vmcnt(0)
	v_lshlrev_b32_e32 v33, 16, v24
	v_and_b32_e32 v24, 0xffff0000, v24
	v_lshlrev_b32_e32 v34, 16, v25
	v_and_b32_e32 v25, 0xffff0000, v25
	v_lshlrev_b32_e32 v38, 16, v31
	v_fmac_f32_e32 v8, v29, v30
	v_fmac_f32_e32 v23, v18, v30
	;; [unrolled: 1-line block ×4, first 2 shown]
	v_lshlrev_b32_e32 v35, 16, v26
	v_and_b32_e32 v26, 0xffff0000, v26
	v_lshlrev_b32_e32 v36, 16, v27
	v_and_b32_e32 v27, 0xffff0000, v27
	v_and_b32_e32 v31, 0xffff0000, v31
	v_fmac_f32_e32 v8, v33, v38
	v_fmac_f32_e32 v23, v24, v38
	;; [unrolled: 1-line block ×8, first 2 shown]
	s_andn2_b64 exec, exec, s[10:11]
	s_cbranch_execnz .LBB111_29
; %bb.30:
	s_or_b64 exec, exec, s[10:11]
.LBB111_31:
	s_or_b64 exec, exec, s[8:9]
	v_cmp_lt_u64_e32 vcc, 23, v[9:10]
	s_and_saveexec_b64 s[0:1], vcc
	s_cbranch_execz .LBB111_35
; %bb.32:
	v_lshlrev_b64 v[9:10], 2, v[0:1]
	v_mov_b32_e32 v11, s13
	v_add_co_u32_e32 v9, vcc, s12, v9
	v_addc_co_u32_e32 v10, vcc, v11, v10, vcc
	v_add_co_u32_e32 v9, vcc, 64, v9
	v_addc_co_u32_e32 v10, vcc, 0, v10, vcc
	s_mov_b64 s[8:9], 0
	v_mov_b32_e32 v11, s7
	s_movk_i32 s7, 0x400
.LBB111_33:                             ; =>This Inner Loop Header: Depth=1
	global_load_dword v12, v[9:10], off offset:-64
	s_waitcnt vmcnt(0)
	v_subrev_u32_e32 v12, s20, v12
	v_lshlrev_b32_e32 v16, 2, v12
	v_ashrrev_i32_e32 v17, 31, v16
	v_lshlrev_b64 v[16:17], 1, v[16:17]
	global_load_dwordx4 v[12:15], v[5:6], off
	v_add_co_u32_e32 v16, vcc, s6, v16
	v_addc_co_u32_e32 v17, vcc, v11, v17, vcc
	global_load_dwordx2 v[16:17], v[16:17], off
	s_waitcnt vmcnt(1)
	v_lshlrev_b32_e32 v18, 16, v12
	v_and_b32_e32 v12, 0xffff0000, v12
	s_waitcnt vmcnt(0)
	v_lshlrev_b32_e32 v19, 16, v16
	v_fmac_f32_e32 v23, v12, v19
	v_lshlrev_b32_e32 v12, 16, v13
	v_fmac_f32_e32 v22, v12, v19
	v_and_b32_e32 v12, 0xffff0000, v13
	v_fmac_f32_e32 v8, v18, v19
	v_fmac_f32_e32 v7, v12, v19
	v_lshlrev_b32_e32 v12, 16, v14
	v_and_b32_e32 v13, 0xffff0000, v16
	v_fmac_f32_e32 v8, v12, v13
	v_and_b32_e32 v12, 0xffff0000, v14
	v_fmac_f32_e32 v23, v12, v13
	v_lshlrev_b32_e32 v12, 16, v15
	v_fmac_f32_e32 v22, v12, v13
	v_and_b32_e32 v12, 0xffff0000, v15
	v_fmac_f32_e32 v7, v12, v13
	global_load_dwordx4 v[12:15], v[5:6], off offset:16
	v_lshlrev_b32_e32 v18, 16, v17
	s_waitcnt vmcnt(0)
	v_lshlrev_b32_e32 v16, 16, v12
	v_and_b32_e32 v12, 0xffff0000, v12
	v_fmac_f32_e32 v23, v12, v18
	v_lshlrev_b32_e32 v12, 16, v13
	v_fmac_f32_e32 v22, v12, v18
	v_and_b32_e32 v12, 0xffff0000, v13
	v_fmac_f32_e32 v8, v16, v18
	v_fmac_f32_e32 v7, v12, v18
	v_lshlrev_b32_e32 v12, 16, v14
	v_and_b32_e32 v13, 0xffff0000, v17
	v_fmac_f32_e32 v8, v12, v13
	v_and_b32_e32 v12, 0xffff0000, v14
	v_fmac_f32_e32 v23, v12, v13
	v_lshlrev_b32_e32 v12, 16, v15
	v_fmac_f32_e32 v22, v12, v13
	v_and_b32_e32 v12, 0xffff0000, v15
	v_fmac_f32_e32 v7, v12, v13
	global_load_dword v12, v[9:10], off offset:-32
	s_waitcnt vmcnt(0)
	v_subrev_u32_e32 v12, s20, v12
	v_lshlrev_b32_e32 v16, 2, v12
	v_ashrrev_i32_e32 v17, 31, v16
	v_lshlrev_b64 v[16:17], 1, v[16:17]
	global_load_dwordx4 v[12:15], v[5:6], off offset:256
	v_add_co_u32_e32 v16, vcc, s6, v16
	v_addc_co_u32_e32 v17, vcc, v11, v17, vcc
	global_load_dwordx2 v[16:17], v[16:17], off
	s_waitcnt vmcnt(1)
	v_lshlrev_b32_e32 v18, 16, v12
	v_and_b32_e32 v12, 0xffff0000, v12
	s_waitcnt vmcnt(0)
	v_lshlrev_b32_e32 v19, 16, v16
	v_fmac_f32_e32 v23, v12, v19
	v_lshlrev_b32_e32 v12, 16, v13
	v_fmac_f32_e32 v22, v12, v19
	v_and_b32_e32 v12, 0xffff0000, v13
	v_fmac_f32_e32 v8, v18, v19
	v_fmac_f32_e32 v7, v12, v19
	v_lshlrev_b32_e32 v12, 16, v14
	v_and_b32_e32 v13, 0xffff0000, v16
	v_fmac_f32_e32 v8, v12, v13
	v_and_b32_e32 v12, 0xffff0000, v14
	v_fmac_f32_e32 v23, v12, v13
	v_lshlrev_b32_e32 v12, 16, v15
	v_fmac_f32_e32 v22, v12, v13
	v_and_b32_e32 v12, 0xffff0000, v15
	v_fmac_f32_e32 v7, v12, v13
	global_load_dwordx4 v[12:15], v[5:6], off offset:272
	v_lshlrev_b32_e32 v18, 16, v17
	s_waitcnt vmcnt(0)
	v_lshlrev_b32_e32 v16, 16, v12
	v_and_b32_e32 v12, 0xffff0000, v12
	v_fmac_f32_e32 v23, v12, v18
	v_lshlrev_b32_e32 v12, 16, v13
	v_fmac_f32_e32 v22, v12, v18
	v_and_b32_e32 v12, 0xffff0000, v13
	v_fmac_f32_e32 v8, v16, v18
	v_fmac_f32_e32 v7, v12, v18
	v_lshlrev_b32_e32 v12, 16, v14
	v_and_b32_e32 v13, 0xffff0000, v17
	v_fmac_f32_e32 v8, v12, v13
	v_and_b32_e32 v12, 0xffff0000, v14
	v_fmac_f32_e32 v23, v12, v13
	v_lshlrev_b32_e32 v12, 16, v15
	v_fmac_f32_e32 v22, v12, v13
	v_and_b32_e32 v12, 0xffff0000, v15
	v_fmac_f32_e32 v7, v12, v13
	global_load_dword v12, v[9:10], off
	s_waitcnt vmcnt(0)
	v_subrev_u32_e32 v12, s20, v12
	v_lshlrev_b32_e32 v16, 2, v12
	v_ashrrev_i32_e32 v17, 31, v16
	v_lshlrev_b64 v[16:17], 1, v[16:17]
	global_load_dwordx4 v[12:15], v[5:6], off offset:512
	v_add_co_u32_e32 v16, vcc, s6, v16
	v_addc_co_u32_e32 v17, vcc, v11, v17, vcc
	global_load_dwordx2 v[16:17], v[16:17], off
	s_waitcnt vmcnt(1)
	v_lshlrev_b32_e32 v18, 16, v12
	v_and_b32_e32 v12, 0xffff0000, v12
	s_waitcnt vmcnt(0)
	v_lshlrev_b32_e32 v19, 16, v16
	v_fmac_f32_e32 v23, v12, v19
	v_lshlrev_b32_e32 v12, 16, v13
	v_fmac_f32_e32 v22, v12, v19
	v_and_b32_e32 v12, 0xffff0000, v13
	v_fmac_f32_e32 v8, v18, v19
	v_fmac_f32_e32 v7, v12, v19
	v_lshlrev_b32_e32 v12, 16, v14
	v_and_b32_e32 v13, 0xffff0000, v16
	v_fmac_f32_e32 v8, v12, v13
	v_and_b32_e32 v12, 0xffff0000, v14
	v_fmac_f32_e32 v23, v12, v13
	v_lshlrev_b32_e32 v12, 16, v15
	v_fmac_f32_e32 v22, v12, v13
	v_and_b32_e32 v12, 0xffff0000, v15
	v_fmac_f32_e32 v7, v12, v13
	global_load_dwordx4 v[12:15], v[5:6], off offset:528
	v_lshlrev_b32_e32 v18, 16, v17
	s_waitcnt vmcnt(0)
	v_lshlrev_b32_e32 v16, 16, v12
	v_and_b32_e32 v12, 0xffff0000, v12
	v_fmac_f32_e32 v23, v12, v18
	v_lshlrev_b32_e32 v12, 16, v13
	v_fmac_f32_e32 v22, v12, v18
	v_and_b32_e32 v12, 0xffff0000, v13
	v_fmac_f32_e32 v8, v16, v18
	v_fmac_f32_e32 v7, v12, v18
	v_lshlrev_b32_e32 v12, 16, v14
	v_and_b32_e32 v13, 0xffff0000, v17
	v_fmac_f32_e32 v8, v12, v13
	v_and_b32_e32 v12, 0xffff0000, v14
	v_fmac_f32_e32 v23, v12, v13
	v_lshlrev_b32_e32 v12, 16, v15
	v_fmac_f32_e32 v22, v12, v13
	v_and_b32_e32 v12, 0xffff0000, v15
	v_fmac_f32_e32 v7, v12, v13
	global_load_dword v12, v[9:10], off offset:32
	s_waitcnt vmcnt(0)
	v_subrev_u32_e32 v12, s20, v12
	v_lshlrev_b32_e32 v16, 2, v12
	v_ashrrev_i32_e32 v17, 31, v16
	v_lshlrev_b64 v[16:17], 1, v[16:17]
	global_load_dwordx4 v[12:15], v[5:6], off offset:768
	v_add_co_u32_e32 v16, vcc, s6, v16
	v_addc_co_u32_e32 v17, vcc, v11, v17, vcc
	global_load_dwordx2 v[16:17], v[16:17], off
	s_waitcnt vmcnt(1)
	v_lshlrev_b32_e32 v18, 16, v12
	v_and_b32_e32 v12, 0xffff0000, v12
	s_waitcnt vmcnt(0)
	v_lshlrev_b32_e32 v19, 16, v16
	v_fmac_f32_e32 v23, v12, v19
	v_lshlrev_b32_e32 v12, 16, v13
	v_fmac_f32_e32 v22, v12, v19
	v_and_b32_e32 v12, 0xffff0000, v13
	v_fmac_f32_e32 v8, v18, v19
	v_fmac_f32_e32 v7, v12, v19
	v_lshlrev_b32_e32 v12, 16, v14
	v_and_b32_e32 v13, 0xffff0000, v16
	v_fmac_f32_e32 v8, v12, v13
	v_and_b32_e32 v12, 0xffff0000, v14
	v_fmac_f32_e32 v23, v12, v13
	v_lshlrev_b32_e32 v12, 16, v15
	v_fmac_f32_e32 v22, v12, v13
	v_and_b32_e32 v12, 0xffff0000, v15
	v_fmac_f32_e32 v7, v12, v13
	global_load_dwordx4 v[12:15], v[5:6], off offset:784
	v_add_co_u32_e32 v5, vcc, s7, v5
	v_lshlrev_b32_e32 v18, 16, v17
	v_addc_co_u32_e32 v6, vcc, 0, v6, vcc
	v_add_co_u32_e32 v0, vcc, 32, v0
	v_addc_co_u32_e32 v1, vcc, 0, v1, vcc
	v_add_co_u32_e32 v9, vcc, 0x80, v9
	v_addc_co_u32_e32 v10, vcc, 0, v10, vcc
	v_cmp_ge_i64_e32 vcc, v[0:1], v[2:3]
	s_or_b64 s[8:9], vcc, s[8:9]
	s_waitcnt vmcnt(0)
	v_lshlrev_b32_e32 v16, 16, v12
	v_and_b32_e32 v12, 0xffff0000, v12
	v_fmac_f32_e32 v23, v12, v18
	v_lshlrev_b32_e32 v12, 16, v13
	v_fmac_f32_e32 v22, v12, v18
	v_and_b32_e32 v12, 0xffff0000, v13
	v_fmac_f32_e32 v8, v16, v18
	v_fmac_f32_e32 v7, v12, v18
	v_lshlrev_b32_e32 v12, 16, v14
	v_and_b32_e32 v13, 0xffff0000, v17
	v_fmac_f32_e32 v8, v12, v13
	v_and_b32_e32 v12, 0xffff0000, v14
	v_fmac_f32_e32 v23, v12, v13
	v_lshlrev_b32_e32 v12, 16, v15
	v_fmac_f32_e32 v22, v12, v13
	v_and_b32_e32 v12, 0xffff0000, v15
	v_fmac_f32_e32 v7, v12, v13
	s_andn2_b64 exec, exec, s[8:9]
	s_cbranch_execnz .LBB111_33
; %bb.34:
	s_or_b64 exec, exec, s[8:9]
.LBB111_35:
	s_or_b64 exec, exec, s[0:1]
.LBB111_36:
	s_or_b64 exec, exec, s[2:3]
.LBB111_37:
	v_mov_b32_dpp v0, v8 row_shr:1 row_mask:0xf bank_mask:0xf
	v_add_f32_e32 v0, v8, v0
	v_mov_b32_dpp v2, v23 row_shr:1 row_mask:0xf bank_mask:0xf
	v_mov_b32_dpp v5, v22 row_shr:1 row_mask:0xf bank_mask:0xf
	;; [unrolled: 1-line block ×3, first 2 shown]
	v_add_f32_e32 v2, v23, v2
	v_add_f32_e32 v5, v22, v5
	v_add_f32_e32 v7, v7, v8
	v_mov_b32_dpp v1, v0 row_shr:2 row_mask:0xf bank_mask:0xf
	v_mov_b32_dpp v3, v2 row_shr:2 row_mask:0xf bank_mask:0xf
	;; [unrolled: 1-line block ×4, first 2 shown]
	v_add_f32_e32 v0, v0, v1
	v_add_f32_e32 v2, v2, v3
	;; [unrolled: 1-line block ×4, first 2 shown]
	v_mov_b32_dpp v1, v0 row_shr:4 row_mask:0xf bank_mask:0xe
	v_mov_b32_dpp v3, v2 row_shr:4 row_mask:0xf bank_mask:0xe
	;; [unrolled: 1-line block ×4, first 2 shown]
	v_cmp_eq_u32_e32 vcc, 7, v21
	s_and_b64 exec, exec, vcc
	s_cbranch_execz .LBB111_10
; %bb.38:
	s_load_dwordx2 s[0:1], s[4:5], 0x50
	v_add_f32_e32 v0, v0, v1
	v_add_f32_e32 v1, v2, v3
	;; [unrolled: 1-line block ×4, first 2 shown]
	v_cmp_eq_f32_e64 s[2:3], s16, 0
	s_and_b64 vcc, exec, s[2:3]
	v_mul_f32_e32 v0, s18, v0
	v_mul_f32_e32 v1, s18, v1
	v_mul_f32_e32 v2, s18, v2
	v_mul_f32_e32 v3, s18, v3
	v_lshlrev_b32_e32 v4, 2, v4
	s_cbranch_vccz .LBB111_40
; %bb.39:
	v_ashrrev_i32_e32 v5, 31, v4
	v_lshlrev_b64 v[5:6], 2, v[4:5]
	s_waitcnt lgkmcnt(0)
	v_mov_b32_e32 v7, s1
	v_add_co_u32_e32 v5, vcc, s0, v5
	v_addc_co_u32_e32 v6, vcc, v7, v6, vcc
	global_store_dwordx4 v[5:6], v[0:3], off
	s_cbranch_execnz .LBB111_10
	s_branch .LBB111_41
.LBB111_40:
.LBB111_41:
	v_ashrrev_i32_e32 v5, 31, v4
	v_lshlrev_b64 v[4:5], 2, v[4:5]
	s_waitcnt lgkmcnt(0)
	v_mov_b32_e32 v6, s1
	v_add_co_u32_e32 v8, vcc, s0, v4
	v_addc_co_u32_e32 v9, vcc, v6, v5, vcc
	global_load_dwordx4 v[4:7], v[8:9], off
	s_waitcnt vmcnt(0)
	v_fmac_f32_e32 v0, s16, v4
	v_fmac_f32_e32 v1, s16, v5
	;; [unrolled: 1-line block ×4, first 2 shown]
	global_store_dwordx4 v[8:9], v[0:3], off
	s_endpgm
	.section	.rodata,"a",@progbits
	.p2align	6, 0x0
	.amdhsa_kernel _ZN9rocsparseL18bsrxmvn_4x4_kernelILj128ELj8Efli18rocsparse_bfloat16S1_fEEvT3_20rocsparse_direction_NS_24const_host_device_scalarIT1_EES2_PKS2_PKT2_SB_S8_PKT4_PKT5_S6_PT6_21rocsparse_index_base_b
		.amdhsa_group_segment_fixed_size 0
		.amdhsa_private_segment_fixed_size 0
		.amdhsa_kernarg_size 96
		.amdhsa_user_sgpr_count 6
		.amdhsa_user_sgpr_private_segment_buffer 1
		.amdhsa_user_sgpr_dispatch_ptr 0
		.amdhsa_user_sgpr_queue_ptr 0
		.amdhsa_user_sgpr_kernarg_segment_ptr 1
		.amdhsa_user_sgpr_dispatch_id 0
		.amdhsa_user_sgpr_flat_scratch_init 0
		.amdhsa_user_sgpr_private_segment_size 0
		.amdhsa_uses_dynamic_stack 0
		.amdhsa_system_sgpr_private_segment_wavefront_offset 0
		.amdhsa_system_sgpr_workgroup_id_x 1
		.amdhsa_system_sgpr_workgroup_id_y 0
		.amdhsa_system_sgpr_workgroup_id_z 0
		.amdhsa_system_sgpr_workgroup_info 0
		.amdhsa_system_vgpr_workitem_id 0
		.amdhsa_next_free_vgpr 45
		.amdhsa_next_free_sgpr 22
		.amdhsa_reserve_vcc 1
		.amdhsa_reserve_flat_scratch 0
		.amdhsa_float_round_mode_32 0
		.amdhsa_float_round_mode_16_64 0
		.amdhsa_float_denorm_mode_32 3
		.amdhsa_float_denorm_mode_16_64 3
		.amdhsa_dx10_clamp 1
		.amdhsa_ieee_mode 1
		.amdhsa_fp16_overflow 0
		.amdhsa_exception_fp_ieee_invalid_op 0
		.amdhsa_exception_fp_denorm_src 0
		.amdhsa_exception_fp_ieee_div_zero 0
		.amdhsa_exception_fp_ieee_overflow 0
		.amdhsa_exception_fp_ieee_underflow 0
		.amdhsa_exception_fp_ieee_inexact 0
		.amdhsa_exception_int_div_zero 0
	.end_amdhsa_kernel
	.section	.text._ZN9rocsparseL18bsrxmvn_4x4_kernelILj128ELj8Efli18rocsparse_bfloat16S1_fEEvT3_20rocsparse_direction_NS_24const_host_device_scalarIT1_EES2_PKS2_PKT2_SB_S8_PKT4_PKT5_S6_PT6_21rocsparse_index_base_b,"axG",@progbits,_ZN9rocsparseL18bsrxmvn_4x4_kernelILj128ELj8Efli18rocsparse_bfloat16S1_fEEvT3_20rocsparse_direction_NS_24const_host_device_scalarIT1_EES2_PKS2_PKT2_SB_S8_PKT4_PKT5_S6_PT6_21rocsparse_index_base_b,comdat
.Lfunc_end111:
	.size	_ZN9rocsparseL18bsrxmvn_4x4_kernelILj128ELj8Efli18rocsparse_bfloat16S1_fEEvT3_20rocsparse_direction_NS_24const_host_device_scalarIT1_EES2_PKS2_PKT2_SB_S8_PKT4_PKT5_S6_PT6_21rocsparse_index_base_b, .Lfunc_end111-_ZN9rocsparseL18bsrxmvn_4x4_kernelILj128ELj8Efli18rocsparse_bfloat16S1_fEEvT3_20rocsparse_direction_NS_24const_host_device_scalarIT1_EES2_PKS2_PKT2_SB_S8_PKT4_PKT5_S6_PT6_21rocsparse_index_base_b
                                        ; -- End function
	.set _ZN9rocsparseL18bsrxmvn_4x4_kernelILj128ELj8Efli18rocsparse_bfloat16S1_fEEvT3_20rocsparse_direction_NS_24const_host_device_scalarIT1_EES2_PKS2_PKT2_SB_S8_PKT4_PKT5_S6_PT6_21rocsparse_index_base_b.num_vgpr, 45
	.set _ZN9rocsparseL18bsrxmvn_4x4_kernelILj128ELj8Efli18rocsparse_bfloat16S1_fEEvT3_20rocsparse_direction_NS_24const_host_device_scalarIT1_EES2_PKS2_PKT2_SB_S8_PKT4_PKT5_S6_PT6_21rocsparse_index_base_b.num_agpr, 0
	.set _ZN9rocsparseL18bsrxmvn_4x4_kernelILj128ELj8Efli18rocsparse_bfloat16S1_fEEvT3_20rocsparse_direction_NS_24const_host_device_scalarIT1_EES2_PKS2_PKT2_SB_S8_PKT4_PKT5_S6_PT6_21rocsparse_index_base_b.numbered_sgpr, 22
	.set _ZN9rocsparseL18bsrxmvn_4x4_kernelILj128ELj8Efli18rocsparse_bfloat16S1_fEEvT3_20rocsparse_direction_NS_24const_host_device_scalarIT1_EES2_PKS2_PKT2_SB_S8_PKT4_PKT5_S6_PT6_21rocsparse_index_base_b.num_named_barrier, 0
	.set _ZN9rocsparseL18bsrxmvn_4x4_kernelILj128ELj8Efli18rocsparse_bfloat16S1_fEEvT3_20rocsparse_direction_NS_24const_host_device_scalarIT1_EES2_PKS2_PKT2_SB_S8_PKT4_PKT5_S6_PT6_21rocsparse_index_base_b.private_seg_size, 0
	.set _ZN9rocsparseL18bsrxmvn_4x4_kernelILj128ELj8Efli18rocsparse_bfloat16S1_fEEvT3_20rocsparse_direction_NS_24const_host_device_scalarIT1_EES2_PKS2_PKT2_SB_S8_PKT4_PKT5_S6_PT6_21rocsparse_index_base_b.uses_vcc, 1
	.set _ZN9rocsparseL18bsrxmvn_4x4_kernelILj128ELj8Efli18rocsparse_bfloat16S1_fEEvT3_20rocsparse_direction_NS_24const_host_device_scalarIT1_EES2_PKS2_PKT2_SB_S8_PKT4_PKT5_S6_PT6_21rocsparse_index_base_b.uses_flat_scratch, 0
	.set _ZN9rocsparseL18bsrxmvn_4x4_kernelILj128ELj8Efli18rocsparse_bfloat16S1_fEEvT3_20rocsparse_direction_NS_24const_host_device_scalarIT1_EES2_PKS2_PKT2_SB_S8_PKT4_PKT5_S6_PT6_21rocsparse_index_base_b.has_dyn_sized_stack, 0
	.set _ZN9rocsparseL18bsrxmvn_4x4_kernelILj128ELj8Efli18rocsparse_bfloat16S1_fEEvT3_20rocsparse_direction_NS_24const_host_device_scalarIT1_EES2_PKS2_PKT2_SB_S8_PKT4_PKT5_S6_PT6_21rocsparse_index_base_b.has_recursion, 0
	.set _ZN9rocsparseL18bsrxmvn_4x4_kernelILj128ELj8Efli18rocsparse_bfloat16S1_fEEvT3_20rocsparse_direction_NS_24const_host_device_scalarIT1_EES2_PKS2_PKT2_SB_S8_PKT4_PKT5_S6_PT6_21rocsparse_index_base_b.has_indirect_call, 0
	.section	.AMDGPU.csdata,"",@progbits
; Kernel info:
; codeLenInByte = 4176
; TotalNumSgprs: 26
; NumVgprs: 45
; ScratchSize: 0
; MemoryBound: 0
; FloatMode: 240
; IeeeMode: 1
; LDSByteSize: 0 bytes/workgroup (compile time only)
; SGPRBlocks: 3
; VGPRBlocks: 11
; NumSGPRsForWavesPerEU: 26
; NumVGPRsForWavesPerEU: 45
; Occupancy: 5
; WaveLimiterHint : 1
; COMPUTE_PGM_RSRC2:SCRATCH_EN: 0
; COMPUTE_PGM_RSRC2:USER_SGPR: 6
; COMPUTE_PGM_RSRC2:TRAP_HANDLER: 0
; COMPUTE_PGM_RSRC2:TGID_X_EN: 1
; COMPUTE_PGM_RSRC2:TGID_Y_EN: 0
; COMPUTE_PGM_RSRC2:TGID_Z_EN: 0
; COMPUTE_PGM_RSRC2:TIDIG_COMP_CNT: 0
	.section	.text._ZN9rocsparseL18bsrxmvn_4x4_kernelILj128ELj16Efli18rocsparse_bfloat16S1_fEEvT3_20rocsparse_direction_NS_24const_host_device_scalarIT1_EES2_PKS2_PKT2_SB_S8_PKT4_PKT5_S6_PT6_21rocsparse_index_base_b,"axG",@progbits,_ZN9rocsparseL18bsrxmvn_4x4_kernelILj128ELj16Efli18rocsparse_bfloat16S1_fEEvT3_20rocsparse_direction_NS_24const_host_device_scalarIT1_EES2_PKS2_PKT2_SB_S8_PKT4_PKT5_S6_PT6_21rocsparse_index_base_b,comdat
	.globl	_ZN9rocsparseL18bsrxmvn_4x4_kernelILj128ELj16Efli18rocsparse_bfloat16S1_fEEvT3_20rocsparse_direction_NS_24const_host_device_scalarIT1_EES2_PKS2_PKT2_SB_S8_PKT4_PKT5_S6_PT6_21rocsparse_index_base_b ; -- Begin function _ZN9rocsparseL18bsrxmvn_4x4_kernelILj128ELj16Efli18rocsparse_bfloat16S1_fEEvT3_20rocsparse_direction_NS_24const_host_device_scalarIT1_EES2_PKS2_PKT2_SB_S8_PKT4_PKT5_S6_PT6_21rocsparse_index_base_b
	.p2align	8
	.type	_ZN9rocsparseL18bsrxmvn_4x4_kernelILj128ELj16Efli18rocsparse_bfloat16S1_fEEvT3_20rocsparse_direction_NS_24const_host_device_scalarIT1_EES2_PKS2_PKT2_SB_S8_PKT4_PKT5_S6_PT6_21rocsparse_index_base_b,@function
_ZN9rocsparseL18bsrxmvn_4x4_kernelILj128ELj16Efli18rocsparse_bfloat16S1_fEEvT3_20rocsparse_direction_NS_24const_host_device_scalarIT1_EES2_PKS2_PKT2_SB_S8_PKT4_PKT5_S6_PT6_21rocsparse_index_base_b: ; @_ZN9rocsparseL18bsrxmvn_4x4_kernelILj128ELj16Efli18rocsparse_bfloat16S1_fEEvT3_20rocsparse_direction_NS_24const_host_device_scalarIT1_EES2_PKS2_PKT2_SB_S8_PKT4_PKT5_S6_PT6_21rocsparse_index_base_b
; %bb.0:
	s_load_dwordx2 s[20:21], s[4:5], 0x58
	s_load_dwordx2 s[18:19], s[4:5], 0x8
	;; [unrolled: 1-line block ×3, first 2 shown]
	s_waitcnt lgkmcnt(0)
	s_bitcmp1_b32 s21, 0
	s_cselect_b64 s[2:3], -1, 0
	s_xor_b64 s[0:1], s[2:3], -1
	s_and_b64 vcc, exec, s[2:3]
	s_cbranch_vccnz .LBB112_2
; %bb.1:
	s_load_dword s18, s[18:19], 0x0
.LBB112_2:
	s_andn2_b64 vcc, exec, s[0:1]
	s_cbranch_vccnz .LBB112_4
; %bb.3:
	s_load_dword s16, s[16:17], 0x0
.LBB112_4:
	s_waitcnt lgkmcnt(0)
	v_cmp_neq_f32_e64 s[0:1], s18, 0
	v_cmp_neq_f32_e64 s[2:3], s16, 1.0
	s_or_b64 s[0:1], s[0:1], s[2:3]
	s_andn2_b64 vcc, exec, s[0:1]
	s_cbranch_vccnz .LBB112_10
; %bb.5:
	s_load_dwordx2 s[8:9], s[4:5], 0x18
	s_load_dwordx2 s[0:1], s[4:5], 0x0
	v_lshrrev_b32_e32 v1, 4, v0
	v_lshl_or_b32 v4, s6, 3, v1
	s_mov_b64 s[2:3], 0
	s_waitcnt lgkmcnt(0)
	s_cmp_lg_u64 s[8:9], 0
	s_cbranch_scc0 .LBB112_11
; %bb.6:
	s_load_dword s6, s[4:5], 0x10
                                        ; implicit-def: $vgpr1
	s_waitcnt lgkmcnt(0)
	v_cmp_gt_i32_e32 vcc, s6, v4
	s_and_saveexec_b64 s[6:7], vcc
	s_xor_b64 s[6:7], exec, s[6:7]
	s_cbranch_execz .LBB112_8
; %bb.7:
	v_ashrrev_i32_e32 v5, 31, v4
	v_lshlrev_b64 v[1:2], 2, v[4:5]
	v_mov_b32_e32 v3, s9
	v_add_co_u32_e32 v1, vcc, s8, v1
	v_addc_co_u32_e32 v2, vcc, v3, v2, vcc
	global_load_dword v1, v[1:2], off
	s_mov_b64 s[2:3], exec
	s_waitcnt vmcnt(0)
	v_subrev_u32_e32 v1, s20, v1
.LBB112_8:
	s_or_b64 exec, exec, s[6:7]
	s_branch .LBB112_12
.LBB112_9:
	v_cmp_gt_i32_e32 vcc, s0, v4
	s_andn2_b64 s[2:3], s[2:3], exec
	s_and_b64 s[6:7], vcc, exec
	s_or_b64 s[2:3], s[2:3], s[6:7]
	s_and_saveexec_b64 s[6:7], s[2:3]
	s_cbranch_execnz .LBB112_13
.LBB112_10:
	s_endpgm
.LBB112_11:
                                        ; implicit-def: $vgpr1
	s_cbranch_execnz .LBB112_9
.LBB112_12:
	v_mov_b32_e32 v4, v1
	s_and_saveexec_b64 s[6:7], s[2:3]
	s_cbranch_execz .LBB112_10
.LBB112_13:
	s_load_dwordx8 s[8:15], s[4:5], 0x20
	v_ashrrev_i32_e32 v5, 31, v4
	v_lshlrev_b64 v[1:2], 3, v[4:5]
	v_and_b32_e32 v21, 15, v0
	s_load_dwordx2 s[6:7], s[4:5], 0x40
	s_waitcnt lgkmcnt(0)
	v_mov_b32_e32 v3, s9
	v_add_co_u32_e32 v5, vcc, s8, v1
	v_addc_co_u32_e32 v6, vcc, v3, v2, vcc
	v_add_co_u32_e32 v3, vcc, 8, v5
	global_load_dwordx2 v[9:10], v[5:6], off
	v_addc_co_u32_e32 v5, vcc, 0, v6, vcc
	v_mov_b32_e32 v6, s11
	v_add_co_u32_e32 v1, vcc, s10, v1
	s_cmp_eq_u64 s[10:11], 0
	v_addc_co_u32_e32 v2, vcc, v6, v2, vcc
	s_cselect_b64 vcc, -1, 0
	v_cndmask_b32_e32 v2, v2, v5, vcc
	v_cndmask_b32_e32 v1, v1, v3, vcc
	global_load_dwordx2 v[2:3], v[1:2], off
	v_mov_b32_e32 v8, s15
	s_cmp_eq_u32 s1, 1
	v_mov_b32_e32 v7, 0
	s_waitcnt vmcnt(1)
	v_subrev_co_u32_e32 v0, vcc, s20, v9
	v_subbrev_co_u32_e32 v1, vcc, 0, v10, vcc
	v_add_co_u32_e32 v0, vcc, v0, v21
	v_addc_co_u32_e32 v1, vcc, 0, v1, vcc
	v_lshlrev_b64 v[5:6], 5, v[0:1]
	s_waitcnt vmcnt(0)
	v_subrev_co_u32_e32 v2, vcc, s20, v2
	v_subbrev_co_u32_e32 v3, vcc, 0, v3, vcc
	v_cmp_lt_i64_e64 s[0:1], v[0:1], v[2:3]
	v_add_co_u32_e32 v5, vcc, s14, v5
	v_addc_co_u32_e32 v6, vcc, v8, v6, vcc
	s_cbranch_scc1 .LBB112_25
; %bb.14:
	v_mov_b32_e32 v22, 0
	v_mov_b32_e32 v23, 0
	;; [unrolled: 1-line block ×3, first 2 shown]
	s_and_saveexec_b64 s[8:9], s[0:1]
	s_cbranch_execz .LBB112_24
; %bb.15:
	v_or_b32_e32 v7, 16, v21
	v_subrev_co_u32_e32 v7, vcc, s20, v7
	v_subb_co_u32_e64 v8, s[2:3], 0, 0, vcc
	v_add_co_u32_e32 v7, vcc, v7, v9
	v_addc_co_u32_e32 v8, vcc, v8, v10, vcc
	v_cmp_gt_i64_e32 vcc, v[7:8], v[2:3]
	v_not_b32_e32 v12, v9
	v_cndmask_b32_e32 v8, v3, v8, vcc
	v_cndmask_b32_e32 v7, v2, v7, vcc
	v_sub_co_u32_e32 v13, vcc, s20, v21
	v_not_b32_e32 v11, v10
	v_subb_co_u32_e64 v14, s[2:3], 0, 0, vcc
	v_add_co_u32_e32 v12, vcc, v13, v12
	v_addc_co_u32_e32 v11, vcc, v14, v11, vcc
	v_add_co_u32_e32 v15, vcc, v12, v7
	v_addc_co_u32_e32 v16, vcc, v11, v8, vcc
	v_and_b32_e32 v7, 48, v15
	v_mov_b32_e32 v8, 0
	v_cmp_ne_u64_e32 vcc, 48, v[7:8]
	v_mov_b32_e32 v12, v1
	v_mov_b32_e32 v14, v6
	;; [unrolled: 1-line block ×7, first 2 shown]
	s_and_saveexec_b64 s[10:11], vcc
	s_cbranch_execz .LBB112_19
; %bb.16:
	v_lshlrev_b64 v[11:12], 2, v[0:1]
	v_lshrrev_b32_e32 v7, 4, v15
	v_add_u32_e32 v7, 1, v7
	v_mov_b32_e32 v13, s13
	v_add_co_u32_e32 v17, vcc, s12, v11
	v_and_b32_e32 v8, 3, v7
	v_addc_co_u32_e32 v18, vcc, v13, v12, vcc
	v_sub_co_u32_e32 v19, vcc, 0, v8
	v_mov_b32_e32 v14, v6
	v_mov_b32_e32 v12, v1
	;; [unrolled: 1-line block ×3, first 2 shown]
	s_mov_b64 s[14:15], 0
	v_subb_co_u32_e64 v20, s[2:3], 0, 0, vcc
	s_movk_i32 s17, 0x200
	v_mov_b32_e32 v24, s7
	v_mov_b32_e32 v13, v5
	;; [unrolled: 1-line block ×6, first 2 shown]
.LBB112_17:                             ; =>This Inner Loop Header: Depth=1
	global_load_dword v33, v[17:18], off
	global_load_dwordx4 v[25:28], v[13:14], off
	global_load_dwordx4 v[29:32], v[13:14], off offset:16
	v_add_co_u32_e64 v11, s[2:3], 16, v11
	v_addc_co_u32_e64 v12, s[2:3], 0, v12, s[2:3]
	v_add_co_u32_e64 v17, s[2:3], 64, v17
	v_addc_co_u32_e64 v18, s[2:3], 0, v18, s[2:3]
	;; [unrolled: 2-line block ×3, first 2 shown]
	v_cmp_eq_u64_e64 s[2:3], 0, v[19:20]
	s_or_b64 s[14:15], s[2:3], s[14:15]
	s_waitcnt vmcnt(2)
	v_subrev_u32_e32 v33, s20, v33
	v_lshlrev_b32_e32 v33, 2, v33
	v_ashrrev_i32_e32 v34, 31, v33
	v_lshlrev_b64 v[33:34], 1, v[33:34]
	s_waitcnt vmcnt(1)
	v_lshlrev_b32_e32 v35, 16, v25
	v_add_co_u32_e32 v33, vcc, s6, v33
	v_addc_co_u32_e32 v34, vcc, v24, v34, vcc
	global_load_dwordx2 v[33:34], v[33:34], off
	v_lshlrev_b32_e32 v37, 16, v27
	s_waitcnt vmcnt(1)
	v_lshlrev_b32_e32 v39, 16, v29
	v_lshlrev_b32_e32 v41, 16, v31
	v_and_b32_e32 v25, 0xffff0000, v25
	v_and_b32_e32 v27, 0xffff0000, v27
	;; [unrolled: 1-line block ×4, first 2 shown]
	v_lshlrev_b32_e32 v36, 16, v26
	v_lshlrev_b32_e32 v38, 16, v28
	;; [unrolled: 1-line block ×4, first 2 shown]
	v_add_co_u32_e32 v13, vcc, s17, v13
	v_and_b32_e32 v26, 0xffff0000, v26
	v_and_b32_e32 v28, 0xffff0000, v28
	;; [unrolled: 1-line block ×4, first 2 shown]
	v_addc_co_u32_e32 v14, vcc, 0, v14, vcc
	s_waitcnt vmcnt(0)
	v_lshlrev_b32_e32 v43, 16, v33
	v_and_b32_e32 v33, 0xffff0000, v33
	v_fmac_f32_e32 v8, v35, v43
	v_fmac_f32_e32 v23, v37, v43
	;; [unrolled: 1-line block ×4, first 2 shown]
	v_lshlrev_b32_e32 v44, 16, v34
	v_fmac_f32_e32 v8, v25, v33
	v_fmac_f32_e32 v23, v27, v33
	;; [unrolled: 1-line block ×4, first 2 shown]
	v_and_b32_e32 v34, 0xffff0000, v34
	v_fmac_f32_e32 v8, v36, v44
	v_fmac_f32_e32 v23, v38, v44
	;; [unrolled: 1-line block ×8, first 2 shown]
	s_andn2_b64 exec, exec, s[14:15]
	s_cbranch_execnz .LBB112_17
; %bb.18:
	s_or_b64 exec, exec, s[14:15]
.LBB112_19:
	s_or_b64 exec, exec, s[10:11]
	v_cmp_lt_u64_e32 vcc, 47, v[15:16]
	s_and_saveexec_b64 s[2:3], vcc
	s_cbranch_execz .LBB112_23
; %bb.20:
	v_lshlrev_b64 v[15:16], 2, v[11:12]
	v_mov_b32_e32 v17, s13
	v_add_co_u32_e32 v15, vcc, s12, v15
	v_addc_co_u32_e32 v16, vcc, v17, v16, vcc
	v_add_co_u32_e32 v15, vcc, 0x80, v15
	v_addc_co_u32_e32 v16, vcc, 0, v16, vcc
	s_mov_b64 s[10:11], 0
	v_mov_b32_e32 v17, s7
	s_movk_i32 s14, 0x800
.LBB112_21:                             ; =>This Inner Loop Header: Depth=1
	global_load_dword v18, v[15:16], off offset:-128
	global_load_dwordx4 v[24:27], v[13:14], off
	s_waitcnt vmcnt(1)
	v_subrev_u32_e32 v18, s20, v18
	v_lshlrev_b32_e32 v18, 2, v18
	v_ashrrev_i32_e32 v19, 31, v18
	v_lshlrev_b64 v[18:19], 1, v[18:19]
	s_waitcnt vmcnt(0)
	v_lshlrev_b32_e32 v20, 16, v24
	v_add_co_u32_e32 v18, vcc, s6, v18
	v_addc_co_u32_e32 v19, vcc, v17, v19, vcc
	global_load_dwordx2 v[18:19], v[18:19], off
	s_waitcnt vmcnt(0)
	v_lshlrev_b32_e32 v28, 16, v18
	v_fmac_f32_e32 v8, v20, v28
	v_and_b32_e32 v20, 0xffff0000, v24
	v_and_b32_e32 v18, 0xffff0000, v18
	v_fmac_f32_e32 v8, v20, v18
	v_lshlrev_b32_e32 v20, 16, v25
	v_lshlrev_b32_e32 v29, 16, v19
	v_fmac_f32_e32 v8, v20, v29
	v_and_b32_e32 v20, 0xffff0000, v25
	v_and_b32_e32 v19, 0xffff0000, v19
	v_fmac_f32_e32 v8, v20, v19
	v_lshlrev_b32_e32 v20, 16, v26
	v_fmac_f32_e32 v23, v20, v28
	v_and_b32_e32 v20, 0xffff0000, v26
	v_fmac_f32_e32 v23, v20, v18
	v_lshlrev_b32_e32 v20, 16, v27
	v_fmac_f32_e32 v23, v20, v29
	v_and_b32_e32 v20, 0xffff0000, v27
	global_load_dwordx4 v[24:27], v[13:14], off offset:16
	v_fmac_f32_e32 v23, v20, v19
	s_waitcnt vmcnt(0)
	v_lshlrev_b32_e32 v20, 16, v24
	v_fmac_f32_e32 v22, v20, v28
	v_and_b32_e32 v20, 0xffff0000, v24
	v_fmac_f32_e32 v22, v20, v18
	v_lshlrev_b32_e32 v20, 16, v25
	v_fmac_f32_e32 v22, v20, v29
	v_and_b32_e32 v20, 0xffff0000, v25
	v_fmac_f32_e32 v22, v20, v19
	;; [unrolled: 4-line block ×4, first 2 shown]
	global_load_dword v18, v[15:16], off offset:-64
	global_load_dwordx4 v[24:27], v[13:14], off offset:512
	s_waitcnt vmcnt(1)
	v_subrev_u32_e32 v18, s20, v18
	v_lshlrev_b32_e32 v18, 2, v18
	v_ashrrev_i32_e32 v19, 31, v18
	v_lshlrev_b64 v[18:19], 1, v[18:19]
	s_waitcnt vmcnt(0)
	v_lshlrev_b32_e32 v20, 16, v24
	v_add_co_u32_e32 v18, vcc, s6, v18
	v_addc_co_u32_e32 v19, vcc, v17, v19, vcc
	global_load_dwordx2 v[18:19], v[18:19], off
	s_waitcnt vmcnt(0)
	v_lshlrev_b32_e32 v28, 16, v18
	v_fmac_f32_e32 v8, v20, v28
	v_and_b32_e32 v20, 0xffff0000, v24
	v_and_b32_e32 v18, 0xffff0000, v18
	v_fmac_f32_e32 v8, v20, v18
	v_lshlrev_b32_e32 v20, 16, v25
	v_lshlrev_b32_e32 v29, 16, v19
	v_fmac_f32_e32 v8, v20, v29
	v_and_b32_e32 v20, 0xffff0000, v25
	v_and_b32_e32 v19, 0xffff0000, v19
	v_fmac_f32_e32 v8, v20, v19
	v_lshlrev_b32_e32 v20, 16, v26
	v_fmac_f32_e32 v23, v20, v28
	v_and_b32_e32 v20, 0xffff0000, v26
	v_fmac_f32_e32 v23, v20, v18
	v_lshlrev_b32_e32 v20, 16, v27
	v_fmac_f32_e32 v23, v20, v29
	v_and_b32_e32 v20, 0xffff0000, v27
	global_load_dwordx4 v[24:27], v[13:14], off offset:528
	v_fmac_f32_e32 v23, v20, v19
	s_waitcnt vmcnt(0)
	v_lshlrev_b32_e32 v20, 16, v24
	v_fmac_f32_e32 v22, v20, v28
	v_and_b32_e32 v20, 0xffff0000, v24
	v_fmac_f32_e32 v22, v20, v18
	v_lshlrev_b32_e32 v20, 16, v25
	v_fmac_f32_e32 v22, v20, v29
	v_and_b32_e32 v20, 0xffff0000, v25
	v_fmac_f32_e32 v22, v20, v19
	;; [unrolled: 4-line block ×4, first 2 shown]
	global_load_dword v18, v[15:16], off
	global_load_dwordx4 v[24:27], v[13:14], off offset:1024
	s_waitcnt vmcnt(1)
	v_subrev_u32_e32 v18, s20, v18
	v_lshlrev_b32_e32 v18, 2, v18
	v_ashrrev_i32_e32 v19, 31, v18
	v_lshlrev_b64 v[18:19], 1, v[18:19]
	s_waitcnt vmcnt(0)
	v_lshlrev_b32_e32 v20, 16, v24
	v_add_co_u32_e32 v18, vcc, s6, v18
	v_addc_co_u32_e32 v19, vcc, v17, v19, vcc
	global_load_dwordx2 v[18:19], v[18:19], off
	s_waitcnt vmcnt(0)
	v_lshlrev_b32_e32 v28, 16, v18
	v_fmac_f32_e32 v8, v20, v28
	v_and_b32_e32 v20, 0xffff0000, v24
	v_and_b32_e32 v18, 0xffff0000, v18
	v_fmac_f32_e32 v8, v20, v18
	v_lshlrev_b32_e32 v20, 16, v25
	v_lshlrev_b32_e32 v29, 16, v19
	v_fmac_f32_e32 v8, v20, v29
	v_and_b32_e32 v20, 0xffff0000, v25
	v_and_b32_e32 v19, 0xffff0000, v19
	v_fmac_f32_e32 v8, v20, v19
	v_lshlrev_b32_e32 v20, 16, v26
	v_fmac_f32_e32 v23, v20, v28
	v_and_b32_e32 v20, 0xffff0000, v26
	v_fmac_f32_e32 v23, v20, v18
	v_lshlrev_b32_e32 v20, 16, v27
	v_fmac_f32_e32 v23, v20, v29
	v_and_b32_e32 v20, 0xffff0000, v27
	global_load_dwordx4 v[24:27], v[13:14], off offset:1040
	v_fmac_f32_e32 v23, v20, v19
	s_waitcnt vmcnt(0)
	v_lshlrev_b32_e32 v20, 16, v24
	v_fmac_f32_e32 v22, v20, v28
	v_and_b32_e32 v20, 0xffff0000, v24
	v_fmac_f32_e32 v22, v20, v18
	v_lshlrev_b32_e32 v20, 16, v25
	v_fmac_f32_e32 v22, v20, v29
	v_and_b32_e32 v20, 0xffff0000, v25
	v_fmac_f32_e32 v22, v20, v19
	;; [unrolled: 4-line block ×4, first 2 shown]
	global_load_dword v18, v[15:16], off offset:64
	global_load_dwordx4 v[24:27], v[13:14], off offset:1536
	s_waitcnt vmcnt(1)
	v_subrev_u32_e32 v18, s20, v18
	v_lshlrev_b32_e32 v18, 2, v18
	v_ashrrev_i32_e32 v19, 31, v18
	v_lshlrev_b64 v[18:19], 1, v[18:19]
	s_waitcnt vmcnt(0)
	v_lshlrev_b32_e32 v20, 16, v24
	v_add_co_u32_e32 v18, vcc, s6, v18
	v_addc_co_u32_e32 v19, vcc, v17, v19, vcc
	global_load_dwordx2 v[18:19], v[18:19], off
	s_waitcnt vmcnt(0)
	v_lshlrev_b32_e32 v28, 16, v18
	v_fmac_f32_e32 v8, v20, v28
	v_and_b32_e32 v20, 0xffff0000, v24
	v_and_b32_e32 v18, 0xffff0000, v18
	v_fmac_f32_e32 v8, v20, v18
	v_lshlrev_b32_e32 v20, 16, v25
	v_lshlrev_b32_e32 v29, 16, v19
	v_fmac_f32_e32 v8, v20, v29
	v_and_b32_e32 v20, 0xffff0000, v25
	v_and_b32_e32 v19, 0xffff0000, v19
	v_fmac_f32_e32 v8, v20, v19
	v_lshlrev_b32_e32 v20, 16, v26
	v_fmac_f32_e32 v23, v20, v28
	v_and_b32_e32 v20, 0xffff0000, v26
	v_fmac_f32_e32 v23, v20, v18
	v_lshlrev_b32_e32 v20, 16, v27
	v_fmac_f32_e32 v23, v20, v29
	v_and_b32_e32 v20, 0xffff0000, v27
	global_load_dwordx4 v[24:27], v[13:14], off offset:1552
	v_fmac_f32_e32 v23, v20, v19
	v_add_co_u32_e32 v13, vcc, s14, v13
	v_addc_co_u32_e32 v14, vcc, 0, v14, vcc
	v_add_co_u32_e32 v11, vcc, 64, v11
	v_addc_co_u32_e32 v12, vcc, 0, v12, vcc
	;; [unrolled: 2-line block ×3, first 2 shown]
	v_cmp_ge_i64_e32 vcc, v[11:12], v[2:3]
	s_or_b64 s[10:11], vcc, s[10:11]
	s_waitcnt vmcnt(0)
	v_lshlrev_b32_e32 v20, 16, v24
	v_fmac_f32_e32 v22, v20, v28
	v_and_b32_e32 v20, 0xffff0000, v24
	v_fmac_f32_e32 v22, v20, v18
	v_lshlrev_b32_e32 v20, 16, v25
	v_fmac_f32_e32 v22, v20, v29
	v_and_b32_e32 v20, 0xffff0000, v25
	v_fmac_f32_e32 v22, v20, v19
	;; [unrolled: 4-line block ×4, first 2 shown]
	s_andn2_b64 exec, exec, s[10:11]
	s_cbranch_execnz .LBB112_21
; %bb.22:
	s_or_b64 exec, exec, s[10:11]
.LBB112_23:
	s_or_b64 exec, exec, s[2:3]
.LBB112_24:
	s_or_b64 exec, exec, s[8:9]
	s_cbranch_execz .LBB112_26
	s_branch .LBB112_37
.LBB112_25:
                                        ; implicit-def: $vgpr7
                                        ; implicit-def: $vgpr22
                                        ; implicit-def: $vgpr23
                                        ; implicit-def: $vgpr8
.LBB112_26:
	v_mov_b32_e32 v7, 0
	v_mov_b32_e32 v22, 0
	;; [unrolled: 1-line block ×4, first 2 shown]
	s_and_saveexec_b64 s[2:3], s[0:1]
	s_cbranch_execz .LBB112_36
; %bb.27:
	v_or_b32_e32 v7, 16, v21
	v_subrev_co_u32_e32 v7, vcc, s20, v7
	v_subb_co_u32_e64 v8, s[0:1], 0, 0, vcc
	v_add_co_u32_e32 v7, vcc, v7, v9
	v_addc_co_u32_e32 v8, vcc, v8, v10, vcc
	v_cmp_gt_i64_e32 vcc, v[7:8], v[2:3]
	v_not_b32_e32 v9, v9
	v_cndmask_b32_e32 v8, v3, v8, vcc
	v_cndmask_b32_e32 v7, v2, v7, vcc
	v_sub_co_u32_e32 v11, vcc, s20, v21
	v_not_b32_e32 v10, v10
	v_subb_co_u32_e64 v12, s[0:1], 0, 0, vcc
	v_add_co_u32_e32 v9, vcc, v11, v9
	v_addc_co_u32_e32 v10, vcc, v12, v10, vcc
	v_add_co_u32_e32 v9, vcc, v9, v7
	v_addc_co_u32_e32 v10, vcc, v10, v8, vcc
	v_and_b32_e32 v7, 48, v9
	v_mov_b32_e32 v8, 0
	v_cmp_ne_u64_e32 vcc, 48, v[7:8]
	v_mov_b32_e32 v23, v8
	v_mov_b32_e32 v22, v8
	;; [unrolled: 1-line block ×3, first 2 shown]
	s_and_saveexec_b64 s[8:9], vcc
	s_cbranch_execz .LBB112_31
; %bb.28:
	v_lshlrev_b64 v[11:12], 2, v[0:1]
	v_lshrrev_b32_e32 v7, 4, v9
	v_add_u32_e32 v7, 1, v7
	v_mov_b32_e32 v13, s13
	v_add_co_u32_e32 v11, vcc, s12, v11
	v_and_b32_e32 v8, 3, v7
	v_addc_co_u32_e32 v12, vcc, v13, v12, vcc
	v_sub_co_u32_e32 v13, vcc, 0, v8
	v_mov_b32_e32 v7, 0
	s_mov_b64 s[10:11], 0
	v_subb_co_u32_e64 v14, s[0:1], 0, 0, vcc
	s_movk_i32 s14, 0x200
	v_mov_b32_e32 v15, s7
	v_mov_b32_e32 v22, 0
	;; [unrolled: 1-line block ×4, first 2 shown]
.LBB112_29:                             ; =>This Inner Loop Header: Depth=1
	global_load_dword v20, v[11:12], off
	global_load_dwordx4 v[16:19], v[5:6], off
	v_add_co_u32_e64 v0, s[0:1], 16, v0
	v_addc_co_u32_e64 v1, s[0:1], 0, v1, s[0:1]
	v_add_co_u32_e64 v11, s[0:1], 64, v11
	v_addc_co_u32_e64 v12, s[0:1], 0, v12, s[0:1]
	;; [unrolled: 2-line block ×3, first 2 shown]
	v_cmp_eq_u64_e64 s[0:1], 0, v[13:14]
	s_or_b64 s[10:11], s[0:1], s[10:11]
	s_waitcnt vmcnt(1)
	v_subrev_u32_e32 v20, s20, v20
	v_lshlrev_b32_e32 v24, 2, v20
	v_ashrrev_i32_e32 v25, 31, v24
	v_lshlrev_b64 v[24:25], 1, v[24:25]
	s_waitcnt vmcnt(0)
	v_lshlrev_b32_e32 v20, 16, v16
	v_add_co_u32_e32 v28, vcc, s6, v24
	v_addc_co_u32_e32 v29, vcc, v15, v25, vcc
	global_load_dwordx2 v[30:31], v[28:29], off
	global_load_dwordx4 v[24:27], v[5:6], off offset:16
	v_and_b32_e32 v16, 0xffff0000, v16
	v_lshlrev_b32_e32 v28, 16, v17
	v_and_b32_e32 v17, 0xffff0000, v17
	v_lshlrev_b32_e32 v29, 16, v18
	;; [unrolled: 2-line block ×3, first 2 shown]
	v_and_b32_e32 v19, 0xffff0000, v19
	v_add_co_u32_e32 v5, vcc, s14, v5
	v_addc_co_u32_e32 v6, vcc, 0, v6, vcc
	s_waitcnt vmcnt(1)
	v_lshlrev_b32_e32 v37, 16, v30
	v_and_b32_e32 v30, 0xffff0000, v30
	v_fmac_f32_e32 v8, v20, v37
	v_fmac_f32_e32 v23, v16, v37
	;; [unrolled: 1-line block ×4, first 2 shown]
	s_waitcnt vmcnt(0)
	v_lshlrev_b32_e32 v33, 16, v24
	v_and_b32_e32 v24, 0xffff0000, v24
	v_lshlrev_b32_e32 v34, 16, v25
	v_and_b32_e32 v25, 0xffff0000, v25
	v_lshlrev_b32_e32 v38, 16, v31
	v_fmac_f32_e32 v8, v29, v30
	v_fmac_f32_e32 v23, v18, v30
	v_fmac_f32_e32 v22, v32, v30
	v_fmac_f32_e32 v7, v19, v30
	v_lshlrev_b32_e32 v35, 16, v26
	v_and_b32_e32 v26, 0xffff0000, v26
	v_lshlrev_b32_e32 v36, 16, v27
	v_and_b32_e32 v27, 0xffff0000, v27
	v_and_b32_e32 v31, 0xffff0000, v31
	v_fmac_f32_e32 v8, v33, v38
	v_fmac_f32_e32 v23, v24, v38
	;; [unrolled: 1-line block ×8, first 2 shown]
	s_andn2_b64 exec, exec, s[10:11]
	s_cbranch_execnz .LBB112_29
; %bb.30:
	s_or_b64 exec, exec, s[10:11]
.LBB112_31:
	s_or_b64 exec, exec, s[8:9]
	v_cmp_lt_u64_e32 vcc, 47, v[9:10]
	s_and_saveexec_b64 s[0:1], vcc
	s_cbranch_execz .LBB112_35
; %bb.32:
	v_lshlrev_b64 v[9:10], 2, v[0:1]
	v_mov_b32_e32 v11, s13
	v_add_co_u32_e32 v9, vcc, s12, v9
	v_addc_co_u32_e32 v10, vcc, v11, v10, vcc
	v_add_co_u32_e32 v9, vcc, 0x80, v9
	v_addc_co_u32_e32 v10, vcc, 0, v10, vcc
	s_mov_b64 s[8:9], 0
	v_mov_b32_e32 v11, s7
	s_movk_i32 s7, 0x800
.LBB112_33:                             ; =>This Inner Loop Header: Depth=1
	global_load_dword v12, v[9:10], off offset:-128
	s_waitcnt vmcnt(0)
	v_subrev_u32_e32 v12, s20, v12
	v_lshlrev_b32_e32 v16, 2, v12
	v_ashrrev_i32_e32 v17, 31, v16
	v_lshlrev_b64 v[16:17], 1, v[16:17]
	global_load_dwordx4 v[12:15], v[5:6], off
	v_add_co_u32_e32 v16, vcc, s6, v16
	v_addc_co_u32_e32 v17, vcc, v11, v17, vcc
	global_load_dwordx2 v[16:17], v[16:17], off
	s_waitcnt vmcnt(1)
	v_lshlrev_b32_e32 v18, 16, v12
	v_and_b32_e32 v12, 0xffff0000, v12
	s_waitcnt vmcnt(0)
	v_lshlrev_b32_e32 v19, 16, v16
	v_fmac_f32_e32 v23, v12, v19
	v_lshlrev_b32_e32 v12, 16, v13
	v_fmac_f32_e32 v22, v12, v19
	v_and_b32_e32 v12, 0xffff0000, v13
	v_fmac_f32_e32 v8, v18, v19
	v_fmac_f32_e32 v7, v12, v19
	v_lshlrev_b32_e32 v12, 16, v14
	v_and_b32_e32 v13, 0xffff0000, v16
	v_fmac_f32_e32 v8, v12, v13
	v_and_b32_e32 v12, 0xffff0000, v14
	v_fmac_f32_e32 v23, v12, v13
	v_lshlrev_b32_e32 v12, 16, v15
	v_fmac_f32_e32 v22, v12, v13
	v_and_b32_e32 v12, 0xffff0000, v15
	v_fmac_f32_e32 v7, v12, v13
	global_load_dwordx4 v[12:15], v[5:6], off offset:16
	v_lshlrev_b32_e32 v18, 16, v17
	s_waitcnt vmcnt(0)
	v_lshlrev_b32_e32 v16, 16, v12
	v_and_b32_e32 v12, 0xffff0000, v12
	v_fmac_f32_e32 v23, v12, v18
	v_lshlrev_b32_e32 v12, 16, v13
	v_fmac_f32_e32 v22, v12, v18
	v_and_b32_e32 v12, 0xffff0000, v13
	v_fmac_f32_e32 v8, v16, v18
	v_fmac_f32_e32 v7, v12, v18
	v_lshlrev_b32_e32 v12, 16, v14
	v_and_b32_e32 v13, 0xffff0000, v17
	v_fmac_f32_e32 v8, v12, v13
	v_and_b32_e32 v12, 0xffff0000, v14
	v_fmac_f32_e32 v23, v12, v13
	v_lshlrev_b32_e32 v12, 16, v15
	v_fmac_f32_e32 v22, v12, v13
	v_and_b32_e32 v12, 0xffff0000, v15
	v_fmac_f32_e32 v7, v12, v13
	global_load_dword v12, v[9:10], off offset:-64
	s_waitcnt vmcnt(0)
	v_subrev_u32_e32 v12, s20, v12
	v_lshlrev_b32_e32 v16, 2, v12
	v_ashrrev_i32_e32 v17, 31, v16
	v_lshlrev_b64 v[16:17], 1, v[16:17]
	global_load_dwordx4 v[12:15], v[5:6], off offset:512
	v_add_co_u32_e32 v16, vcc, s6, v16
	v_addc_co_u32_e32 v17, vcc, v11, v17, vcc
	global_load_dwordx2 v[16:17], v[16:17], off
	s_waitcnt vmcnt(1)
	v_lshlrev_b32_e32 v18, 16, v12
	v_and_b32_e32 v12, 0xffff0000, v12
	s_waitcnt vmcnt(0)
	v_lshlrev_b32_e32 v19, 16, v16
	v_fmac_f32_e32 v23, v12, v19
	v_lshlrev_b32_e32 v12, 16, v13
	v_fmac_f32_e32 v22, v12, v19
	v_and_b32_e32 v12, 0xffff0000, v13
	v_fmac_f32_e32 v8, v18, v19
	v_fmac_f32_e32 v7, v12, v19
	v_lshlrev_b32_e32 v12, 16, v14
	v_and_b32_e32 v13, 0xffff0000, v16
	v_fmac_f32_e32 v8, v12, v13
	v_and_b32_e32 v12, 0xffff0000, v14
	v_fmac_f32_e32 v23, v12, v13
	v_lshlrev_b32_e32 v12, 16, v15
	v_fmac_f32_e32 v22, v12, v13
	v_and_b32_e32 v12, 0xffff0000, v15
	v_fmac_f32_e32 v7, v12, v13
	global_load_dwordx4 v[12:15], v[5:6], off offset:528
	v_lshlrev_b32_e32 v18, 16, v17
	s_waitcnt vmcnt(0)
	v_lshlrev_b32_e32 v16, 16, v12
	v_and_b32_e32 v12, 0xffff0000, v12
	v_fmac_f32_e32 v23, v12, v18
	v_lshlrev_b32_e32 v12, 16, v13
	v_fmac_f32_e32 v22, v12, v18
	v_and_b32_e32 v12, 0xffff0000, v13
	v_fmac_f32_e32 v8, v16, v18
	v_fmac_f32_e32 v7, v12, v18
	v_lshlrev_b32_e32 v12, 16, v14
	v_and_b32_e32 v13, 0xffff0000, v17
	v_fmac_f32_e32 v8, v12, v13
	v_and_b32_e32 v12, 0xffff0000, v14
	v_fmac_f32_e32 v23, v12, v13
	v_lshlrev_b32_e32 v12, 16, v15
	v_fmac_f32_e32 v22, v12, v13
	v_and_b32_e32 v12, 0xffff0000, v15
	v_fmac_f32_e32 v7, v12, v13
	global_load_dword v12, v[9:10], off
	s_waitcnt vmcnt(0)
	v_subrev_u32_e32 v12, s20, v12
	v_lshlrev_b32_e32 v16, 2, v12
	v_ashrrev_i32_e32 v17, 31, v16
	v_lshlrev_b64 v[16:17], 1, v[16:17]
	global_load_dwordx4 v[12:15], v[5:6], off offset:1024
	v_add_co_u32_e32 v16, vcc, s6, v16
	v_addc_co_u32_e32 v17, vcc, v11, v17, vcc
	global_load_dwordx2 v[16:17], v[16:17], off
	s_waitcnt vmcnt(1)
	v_lshlrev_b32_e32 v18, 16, v12
	v_and_b32_e32 v12, 0xffff0000, v12
	s_waitcnt vmcnt(0)
	v_lshlrev_b32_e32 v19, 16, v16
	v_fmac_f32_e32 v23, v12, v19
	v_lshlrev_b32_e32 v12, 16, v13
	v_fmac_f32_e32 v22, v12, v19
	v_and_b32_e32 v12, 0xffff0000, v13
	v_fmac_f32_e32 v8, v18, v19
	v_fmac_f32_e32 v7, v12, v19
	v_lshlrev_b32_e32 v12, 16, v14
	v_and_b32_e32 v13, 0xffff0000, v16
	v_fmac_f32_e32 v8, v12, v13
	v_and_b32_e32 v12, 0xffff0000, v14
	v_fmac_f32_e32 v23, v12, v13
	v_lshlrev_b32_e32 v12, 16, v15
	v_fmac_f32_e32 v22, v12, v13
	v_and_b32_e32 v12, 0xffff0000, v15
	v_fmac_f32_e32 v7, v12, v13
	global_load_dwordx4 v[12:15], v[5:6], off offset:1040
	v_lshlrev_b32_e32 v18, 16, v17
	s_waitcnt vmcnt(0)
	v_lshlrev_b32_e32 v16, 16, v12
	v_and_b32_e32 v12, 0xffff0000, v12
	v_fmac_f32_e32 v23, v12, v18
	v_lshlrev_b32_e32 v12, 16, v13
	v_fmac_f32_e32 v22, v12, v18
	v_and_b32_e32 v12, 0xffff0000, v13
	v_fmac_f32_e32 v8, v16, v18
	v_fmac_f32_e32 v7, v12, v18
	v_lshlrev_b32_e32 v12, 16, v14
	v_and_b32_e32 v13, 0xffff0000, v17
	v_fmac_f32_e32 v8, v12, v13
	v_and_b32_e32 v12, 0xffff0000, v14
	v_fmac_f32_e32 v23, v12, v13
	v_lshlrev_b32_e32 v12, 16, v15
	v_fmac_f32_e32 v22, v12, v13
	v_and_b32_e32 v12, 0xffff0000, v15
	v_fmac_f32_e32 v7, v12, v13
	global_load_dword v12, v[9:10], off offset:64
	s_waitcnt vmcnt(0)
	v_subrev_u32_e32 v12, s20, v12
	v_lshlrev_b32_e32 v16, 2, v12
	v_ashrrev_i32_e32 v17, 31, v16
	v_lshlrev_b64 v[16:17], 1, v[16:17]
	global_load_dwordx4 v[12:15], v[5:6], off offset:1536
	v_add_co_u32_e32 v16, vcc, s6, v16
	v_addc_co_u32_e32 v17, vcc, v11, v17, vcc
	global_load_dwordx2 v[16:17], v[16:17], off
	s_waitcnt vmcnt(1)
	v_lshlrev_b32_e32 v18, 16, v12
	v_and_b32_e32 v12, 0xffff0000, v12
	s_waitcnt vmcnt(0)
	v_lshlrev_b32_e32 v19, 16, v16
	v_fmac_f32_e32 v23, v12, v19
	v_lshlrev_b32_e32 v12, 16, v13
	v_fmac_f32_e32 v22, v12, v19
	v_and_b32_e32 v12, 0xffff0000, v13
	v_fmac_f32_e32 v8, v18, v19
	v_fmac_f32_e32 v7, v12, v19
	v_lshlrev_b32_e32 v12, 16, v14
	v_and_b32_e32 v13, 0xffff0000, v16
	v_fmac_f32_e32 v8, v12, v13
	v_and_b32_e32 v12, 0xffff0000, v14
	v_fmac_f32_e32 v23, v12, v13
	v_lshlrev_b32_e32 v12, 16, v15
	v_fmac_f32_e32 v22, v12, v13
	v_and_b32_e32 v12, 0xffff0000, v15
	v_fmac_f32_e32 v7, v12, v13
	global_load_dwordx4 v[12:15], v[5:6], off offset:1552
	v_add_co_u32_e32 v5, vcc, s7, v5
	v_lshlrev_b32_e32 v18, 16, v17
	v_addc_co_u32_e32 v6, vcc, 0, v6, vcc
	v_add_co_u32_e32 v0, vcc, 64, v0
	v_addc_co_u32_e32 v1, vcc, 0, v1, vcc
	v_add_co_u32_e32 v9, vcc, 0x100, v9
	v_addc_co_u32_e32 v10, vcc, 0, v10, vcc
	v_cmp_ge_i64_e32 vcc, v[0:1], v[2:3]
	s_or_b64 s[8:9], vcc, s[8:9]
	s_waitcnt vmcnt(0)
	v_lshlrev_b32_e32 v16, 16, v12
	v_and_b32_e32 v12, 0xffff0000, v12
	v_fmac_f32_e32 v23, v12, v18
	v_lshlrev_b32_e32 v12, 16, v13
	v_fmac_f32_e32 v22, v12, v18
	v_and_b32_e32 v12, 0xffff0000, v13
	v_fmac_f32_e32 v8, v16, v18
	v_fmac_f32_e32 v7, v12, v18
	v_lshlrev_b32_e32 v12, 16, v14
	v_and_b32_e32 v13, 0xffff0000, v17
	v_fmac_f32_e32 v8, v12, v13
	v_and_b32_e32 v12, 0xffff0000, v14
	v_fmac_f32_e32 v23, v12, v13
	v_lshlrev_b32_e32 v12, 16, v15
	v_fmac_f32_e32 v22, v12, v13
	v_and_b32_e32 v12, 0xffff0000, v15
	v_fmac_f32_e32 v7, v12, v13
	s_andn2_b64 exec, exec, s[8:9]
	s_cbranch_execnz .LBB112_33
; %bb.34:
	s_or_b64 exec, exec, s[8:9]
.LBB112_35:
	s_or_b64 exec, exec, s[0:1]
.LBB112_36:
	s_or_b64 exec, exec, s[2:3]
.LBB112_37:
	v_mov_b32_dpp v0, v8 row_shr:1 row_mask:0xf bank_mask:0xf
	v_add_f32_e32 v0, v8, v0
	v_mov_b32_dpp v2, v23 row_shr:1 row_mask:0xf bank_mask:0xf
	v_mov_b32_dpp v5, v22 row_shr:1 row_mask:0xf bank_mask:0xf
	v_mov_b32_dpp v8, v7 row_shr:1 row_mask:0xf bank_mask:0xf
	v_add_f32_e32 v2, v23, v2
	v_add_f32_e32 v5, v22, v5
	;; [unrolled: 1-line block ×3, first 2 shown]
	v_mov_b32_dpp v1, v0 row_shr:2 row_mask:0xf bank_mask:0xf
	v_mov_b32_dpp v3, v2 row_shr:2 row_mask:0xf bank_mask:0xf
	;; [unrolled: 1-line block ×4, first 2 shown]
	v_add_f32_e32 v0, v0, v1
	v_add_f32_e32 v2, v2, v3
	;; [unrolled: 1-line block ×4, first 2 shown]
	v_mov_b32_dpp v1, v0 row_shr:4 row_mask:0xf bank_mask:0xe
	v_mov_b32_dpp v3, v2 row_shr:4 row_mask:0xf bank_mask:0xe
	;; [unrolled: 1-line block ×4, first 2 shown]
	v_add_f32_e32 v0, v0, v1
	v_add_f32_e32 v2, v2, v3
	;; [unrolled: 1-line block ×4, first 2 shown]
	v_mov_b32_dpp v1, v0 row_shr:8 row_mask:0xf bank_mask:0xc
	v_mov_b32_dpp v3, v2 row_shr:8 row_mask:0xf bank_mask:0xc
	;; [unrolled: 1-line block ×4, first 2 shown]
	v_cmp_eq_u32_e32 vcc, 15, v21
	s_and_b64 exec, exec, vcc
	s_cbranch_execz .LBB112_10
; %bb.38:
	s_load_dwordx2 s[0:1], s[4:5], 0x50
	v_add_f32_e32 v0, v0, v1
	v_add_f32_e32 v1, v2, v3
	;; [unrolled: 1-line block ×4, first 2 shown]
	v_cmp_eq_f32_e64 s[2:3], s16, 0
	s_and_b64 vcc, exec, s[2:3]
	v_mul_f32_e32 v0, s18, v0
	v_mul_f32_e32 v1, s18, v1
	;; [unrolled: 1-line block ×4, first 2 shown]
	v_lshlrev_b32_e32 v4, 2, v4
	s_cbranch_vccz .LBB112_40
; %bb.39:
	v_ashrrev_i32_e32 v5, 31, v4
	v_lshlrev_b64 v[5:6], 2, v[4:5]
	s_waitcnt lgkmcnt(0)
	v_mov_b32_e32 v7, s1
	v_add_co_u32_e32 v5, vcc, s0, v5
	v_addc_co_u32_e32 v6, vcc, v7, v6, vcc
	global_store_dwordx4 v[5:6], v[0:3], off
	s_cbranch_execnz .LBB112_10
	s_branch .LBB112_41
.LBB112_40:
.LBB112_41:
	v_ashrrev_i32_e32 v5, 31, v4
	v_lshlrev_b64 v[4:5], 2, v[4:5]
	s_waitcnt lgkmcnt(0)
	v_mov_b32_e32 v6, s1
	v_add_co_u32_e32 v8, vcc, s0, v4
	v_addc_co_u32_e32 v9, vcc, v6, v5, vcc
	global_load_dwordx4 v[4:7], v[8:9], off
	s_waitcnt vmcnt(0)
	v_fmac_f32_e32 v0, s16, v4
	v_fmac_f32_e32 v1, s16, v5
	;; [unrolled: 1-line block ×4, first 2 shown]
	global_store_dwordx4 v[8:9], v[0:3], off
	s_endpgm
	.section	.rodata,"a",@progbits
	.p2align	6, 0x0
	.amdhsa_kernel _ZN9rocsparseL18bsrxmvn_4x4_kernelILj128ELj16Efli18rocsparse_bfloat16S1_fEEvT3_20rocsparse_direction_NS_24const_host_device_scalarIT1_EES2_PKS2_PKT2_SB_S8_PKT4_PKT5_S6_PT6_21rocsparse_index_base_b
		.amdhsa_group_segment_fixed_size 0
		.amdhsa_private_segment_fixed_size 0
		.amdhsa_kernarg_size 96
		.amdhsa_user_sgpr_count 6
		.amdhsa_user_sgpr_private_segment_buffer 1
		.amdhsa_user_sgpr_dispatch_ptr 0
		.amdhsa_user_sgpr_queue_ptr 0
		.amdhsa_user_sgpr_kernarg_segment_ptr 1
		.amdhsa_user_sgpr_dispatch_id 0
		.amdhsa_user_sgpr_flat_scratch_init 0
		.amdhsa_user_sgpr_private_segment_size 0
		.amdhsa_uses_dynamic_stack 0
		.amdhsa_system_sgpr_private_segment_wavefront_offset 0
		.amdhsa_system_sgpr_workgroup_id_x 1
		.amdhsa_system_sgpr_workgroup_id_y 0
		.amdhsa_system_sgpr_workgroup_id_z 0
		.amdhsa_system_sgpr_workgroup_info 0
		.amdhsa_system_vgpr_workitem_id 0
		.amdhsa_next_free_vgpr 45
		.amdhsa_next_free_sgpr 22
		.amdhsa_reserve_vcc 1
		.amdhsa_reserve_flat_scratch 0
		.amdhsa_float_round_mode_32 0
		.amdhsa_float_round_mode_16_64 0
		.amdhsa_float_denorm_mode_32 3
		.amdhsa_float_denorm_mode_16_64 3
		.amdhsa_dx10_clamp 1
		.amdhsa_ieee_mode 1
		.amdhsa_fp16_overflow 0
		.amdhsa_exception_fp_ieee_invalid_op 0
		.amdhsa_exception_fp_denorm_src 0
		.amdhsa_exception_fp_ieee_div_zero 0
		.amdhsa_exception_fp_ieee_overflow 0
		.amdhsa_exception_fp_ieee_underflow 0
		.amdhsa_exception_fp_ieee_inexact 0
		.amdhsa_exception_int_div_zero 0
	.end_amdhsa_kernel
	.section	.text._ZN9rocsparseL18bsrxmvn_4x4_kernelILj128ELj16Efli18rocsparse_bfloat16S1_fEEvT3_20rocsparse_direction_NS_24const_host_device_scalarIT1_EES2_PKS2_PKT2_SB_S8_PKT4_PKT5_S6_PT6_21rocsparse_index_base_b,"axG",@progbits,_ZN9rocsparseL18bsrxmvn_4x4_kernelILj128ELj16Efli18rocsparse_bfloat16S1_fEEvT3_20rocsparse_direction_NS_24const_host_device_scalarIT1_EES2_PKS2_PKT2_SB_S8_PKT4_PKT5_S6_PT6_21rocsparse_index_base_b,comdat
.Lfunc_end112:
	.size	_ZN9rocsparseL18bsrxmvn_4x4_kernelILj128ELj16Efli18rocsparse_bfloat16S1_fEEvT3_20rocsparse_direction_NS_24const_host_device_scalarIT1_EES2_PKS2_PKT2_SB_S8_PKT4_PKT5_S6_PT6_21rocsparse_index_base_b, .Lfunc_end112-_ZN9rocsparseL18bsrxmvn_4x4_kernelILj128ELj16Efli18rocsparse_bfloat16S1_fEEvT3_20rocsparse_direction_NS_24const_host_device_scalarIT1_EES2_PKS2_PKT2_SB_S8_PKT4_PKT5_S6_PT6_21rocsparse_index_base_b
                                        ; -- End function
	.set _ZN9rocsparseL18bsrxmvn_4x4_kernelILj128ELj16Efli18rocsparse_bfloat16S1_fEEvT3_20rocsparse_direction_NS_24const_host_device_scalarIT1_EES2_PKS2_PKT2_SB_S8_PKT4_PKT5_S6_PT6_21rocsparse_index_base_b.num_vgpr, 45
	.set _ZN9rocsparseL18bsrxmvn_4x4_kernelILj128ELj16Efli18rocsparse_bfloat16S1_fEEvT3_20rocsparse_direction_NS_24const_host_device_scalarIT1_EES2_PKS2_PKT2_SB_S8_PKT4_PKT5_S6_PT6_21rocsparse_index_base_b.num_agpr, 0
	.set _ZN9rocsparseL18bsrxmvn_4x4_kernelILj128ELj16Efli18rocsparse_bfloat16S1_fEEvT3_20rocsparse_direction_NS_24const_host_device_scalarIT1_EES2_PKS2_PKT2_SB_S8_PKT4_PKT5_S6_PT6_21rocsparse_index_base_b.numbered_sgpr, 22
	.set _ZN9rocsparseL18bsrxmvn_4x4_kernelILj128ELj16Efli18rocsparse_bfloat16S1_fEEvT3_20rocsparse_direction_NS_24const_host_device_scalarIT1_EES2_PKS2_PKT2_SB_S8_PKT4_PKT5_S6_PT6_21rocsparse_index_base_b.num_named_barrier, 0
	.set _ZN9rocsparseL18bsrxmvn_4x4_kernelILj128ELj16Efli18rocsparse_bfloat16S1_fEEvT3_20rocsparse_direction_NS_24const_host_device_scalarIT1_EES2_PKS2_PKT2_SB_S8_PKT4_PKT5_S6_PT6_21rocsparse_index_base_b.private_seg_size, 0
	.set _ZN9rocsparseL18bsrxmvn_4x4_kernelILj128ELj16Efli18rocsparse_bfloat16S1_fEEvT3_20rocsparse_direction_NS_24const_host_device_scalarIT1_EES2_PKS2_PKT2_SB_S8_PKT4_PKT5_S6_PT6_21rocsparse_index_base_b.uses_vcc, 1
	.set _ZN9rocsparseL18bsrxmvn_4x4_kernelILj128ELj16Efli18rocsparse_bfloat16S1_fEEvT3_20rocsparse_direction_NS_24const_host_device_scalarIT1_EES2_PKS2_PKT2_SB_S8_PKT4_PKT5_S6_PT6_21rocsparse_index_base_b.uses_flat_scratch, 0
	.set _ZN9rocsparseL18bsrxmvn_4x4_kernelILj128ELj16Efli18rocsparse_bfloat16S1_fEEvT3_20rocsparse_direction_NS_24const_host_device_scalarIT1_EES2_PKS2_PKT2_SB_S8_PKT4_PKT5_S6_PT6_21rocsparse_index_base_b.has_dyn_sized_stack, 0
	.set _ZN9rocsparseL18bsrxmvn_4x4_kernelILj128ELj16Efli18rocsparse_bfloat16S1_fEEvT3_20rocsparse_direction_NS_24const_host_device_scalarIT1_EES2_PKS2_PKT2_SB_S8_PKT4_PKT5_S6_PT6_21rocsparse_index_base_b.has_recursion, 0
	.set _ZN9rocsparseL18bsrxmvn_4x4_kernelILj128ELj16Efli18rocsparse_bfloat16S1_fEEvT3_20rocsparse_direction_NS_24const_host_device_scalarIT1_EES2_PKS2_PKT2_SB_S8_PKT4_PKT5_S6_PT6_21rocsparse_index_base_b.has_indirect_call, 0
	.section	.AMDGPU.csdata,"",@progbits
; Kernel info:
; codeLenInByte = 4232
; TotalNumSgprs: 26
; NumVgprs: 45
; ScratchSize: 0
; MemoryBound: 0
; FloatMode: 240
; IeeeMode: 1
; LDSByteSize: 0 bytes/workgroup (compile time only)
; SGPRBlocks: 3
; VGPRBlocks: 11
; NumSGPRsForWavesPerEU: 26
; NumVGPRsForWavesPerEU: 45
; Occupancy: 5
; WaveLimiterHint : 1
; COMPUTE_PGM_RSRC2:SCRATCH_EN: 0
; COMPUTE_PGM_RSRC2:USER_SGPR: 6
; COMPUTE_PGM_RSRC2:TRAP_HANDLER: 0
; COMPUTE_PGM_RSRC2:TGID_X_EN: 1
; COMPUTE_PGM_RSRC2:TGID_Y_EN: 0
; COMPUTE_PGM_RSRC2:TGID_Z_EN: 0
; COMPUTE_PGM_RSRC2:TIDIG_COMP_CNT: 0
	.section	.text._ZN9rocsparseL18bsrxmvn_4x4_kernelILj128ELj32Efli18rocsparse_bfloat16S1_fEEvT3_20rocsparse_direction_NS_24const_host_device_scalarIT1_EES2_PKS2_PKT2_SB_S8_PKT4_PKT5_S6_PT6_21rocsparse_index_base_b,"axG",@progbits,_ZN9rocsparseL18bsrxmvn_4x4_kernelILj128ELj32Efli18rocsparse_bfloat16S1_fEEvT3_20rocsparse_direction_NS_24const_host_device_scalarIT1_EES2_PKS2_PKT2_SB_S8_PKT4_PKT5_S6_PT6_21rocsparse_index_base_b,comdat
	.globl	_ZN9rocsparseL18bsrxmvn_4x4_kernelILj128ELj32Efli18rocsparse_bfloat16S1_fEEvT3_20rocsparse_direction_NS_24const_host_device_scalarIT1_EES2_PKS2_PKT2_SB_S8_PKT4_PKT5_S6_PT6_21rocsparse_index_base_b ; -- Begin function _ZN9rocsparseL18bsrxmvn_4x4_kernelILj128ELj32Efli18rocsparse_bfloat16S1_fEEvT3_20rocsparse_direction_NS_24const_host_device_scalarIT1_EES2_PKS2_PKT2_SB_S8_PKT4_PKT5_S6_PT6_21rocsparse_index_base_b
	.p2align	8
	.type	_ZN9rocsparseL18bsrxmvn_4x4_kernelILj128ELj32Efli18rocsparse_bfloat16S1_fEEvT3_20rocsparse_direction_NS_24const_host_device_scalarIT1_EES2_PKS2_PKT2_SB_S8_PKT4_PKT5_S6_PT6_21rocsparse_index_base_b,@function
_ZN9rocsparseL18bsrxmvn_4x4_kernelILj128ELj32Efli18rocsparse_bfloat16S1_fEEvT3_20rocsparse_direction_NS_24const_host_device_scalarIT1_EES2_PKS2_PKT2_SB_S8_PKT4_PKT5_S6_PT6_21rocsparse_index_base_b: ; @_ZN9rocsparseL18bsrxmvn_4x4_kernelILj128ELj32Efli18rocsparse_bfloat16S1_fEEvT3_20rocsparse_direction_NS_24const_host_device_scalarIT1_EES2_PKS2_PKT2_SB_S8_PKT4_PKT5_S6_PT6_21rocsparse_index_base_b
; %bb.0:
	s_load_dwordx2 s[20:21], s[4:5], 0x58
	s_load_dwordx2 s[18:19], s[4:5], 0x8
	;; [unrolled: 1-line block ×3, first 2 shown]
	s_waitcnt lgkmcnt(0)
	s_bitcmp1_b32 s21, 0
	s_cselect_b64 s[2:3], -1, 0
	s_xor_b64 s[0:1], s[2:3], -1
	s_and_b64 vcc, exec, s[2:3]
	s_cbranch_vccnz .LBB113_2
; %bb.1:
	s_load_dword s18, s[18:19], 0x0
.LBB113_2:
	s_andn2_b64 vcc, exec, s[0:1]
	s_cbranch_vccnz .LBB113_4
; %bb.3:
	s_load_dword s16, s[16:17], 0x0
.LBB113_4:
	s_waitcnt lgkmcnt(0)
	v_cmp_neq_f32_e64 s[0:1], s18, 0
	v_cmp_neq_f32_e64 s[2:3], s16, 1.0
	s_or_b64 s[0:1], s[0:1], s[2:3]
	s_andn2_b64 vcc, exec, s[0:1]
	s_cbranch_vccnz .LBB113_10
; %bb.5:
	s_load_dwordx2 s[8:9], s[4:5], 0x18
	s_load_dwordx2 s[0:1], s[4:5], 0x0
	v_lshrrev_b32_e32 v1, 5, v0
	v_lshl_or_b32 v4, s6, 2, v1
	s_mov_b64 s[2:3], 0
	s_waitcnt lgkmcnt(0)
	s_cmp_lg_u64 s[8:9], 0
	s_cbranch_scc0 .LBB113_11
; %bb.6:
	s_load_dword s6, s[4:5], 0x10
                                        ; implicit-def: $vgpr1
	s_waitcnt lgkmcnt(0)
	v_cmp_gt_i32_e32 vcc, s6, v4
	s_and_saveexec_b64 s[6:7], vcc
	s_xor_b64 s[6:7], exec, s[6:7]
	s_cbranch_execz .LBB113_8
; %bb.7:
	v_ashrrev_i32_e32 v5, 31, v4
	v_lshlrev_b64 v[1:2], 2, v[4:5]
	v_mov_b32_e32 v3, s9
	v_add_co_u32_e32 v1, vcc, s8, v1
	v_addc_co_u32_e32 v2, vcc, v3, v2, vcc
	global_load_dword v1, v[1:2], off
	s_mov_b64 s[2:3], exec
	s_waitcnt vmcnt(0)
	v_subrev_u32_e32 v1, s20, v1
.LBB113_8:
	s_or_b64 exec, exec, s[6:7]
	s_branch .LBB113_12
.LBB113_9:
	v_cmp_gt_i32_e32 vcc, s0, v4
	s_andn2_b64 s[2:3], s[2:3], exec
	s_and_b64 s[6:7], vcc, exec
	s_or_b64 s[2:3], s[2:3], s[6:7]
	s_and_saveexec_b64 s[6:7], s[2:3]
	s_cbranch_execnz .LBB113_13
.LBB113_10:
	s_endpgm
.LBB113_11:
                                        ; implicit-def: $vgpr1
	s_cbranch_execnz .LBB113_9
.LBB113_12:
	v_mov_b32_e32 v4, v1
	s_and_saveexec_b64 s[6:7], s[2:3]
	s_cbranch_execz .LBB113_10
.LBB113_13:
	s_load_dwordx8 s[8:15], s[4:5], 0x20
	v_ashrrev_i32_e32 v5, 31, v4
	v_lshlrev_b64 v[1:2], 3, v[4:5]
	v_and_b32_e32 v21, 31, v0
	s_load_dwordx2 s[6:7], s[4:5], 0x40
	s_waitcnt lgkmcnt(0)
	v_mov_b32_e32 v3, s9
	v_add_co_u32_e32 v5, vcc, s8, v1
	v_addc_co_u32_e32 v6, vcc, v3, v2, vcc
	v_add_co_u32_e32 v3, vcc, 8, v5
	global_load_dwordx2 v[9:10], v[5:6], off
	v_addc_co_u32_e32 v5, vcc, 0, v6, vcc
	v_mov_b32_e32 v6, s11
	v_add_co_u32_e32 v1, vcc, s10, v1
	s_cmp_eq_u64 s[10:11], 0
	v_addc_co_u32_e32 v2, vcc, v6, v2, vcc
	s_cselect_b64 vcc, -1, 0
	v_cndmask_b32_e32 v2, v2, v5, vcc
	v_cndmask_b32_e32 v1, v1, v3, vcc
	global_load_dwordx2 v[2:3], v[1:2], off
	v_mov_b32_e32 v8, s15
	s_cmp_eq_u32 s1, 1
	v_mov_b32_e32 v7, 0
	s_waitcnt vmcnt(1)
	v_subrev_co_u32_e32 v0, vcc, s20, v9
	v_subbrev_co_u32_e32 v1, vcc, 0, v10, vcc
	v_add_co_u32_e32 v0, vcc, v0, v21
	v_addc_co_u32_e32 v1, vcc, 0, v1, vcc
	v_lshlrev_b64 v[5:6], 5, v[0:1]
	s_waitcnt vmcnt(0)
	v_subrev_co_u32_e32 v2, vcc, s20, v2
	v_subbrev_co_u32_e32 v3, vcc, 0, v3, vcc
	v_cmp_lt_i64_e64 s[0:1], v[0:1], v[2:3]
	v_add_co_u32_e32 v5, vcc, s14, v5
	v_addc_co_u32_e32 v6, vcc, v8, v6, vcc
	s_cbranch_scc1 .LBB113_25
; %bb.14:
	v_mov_b32_e32 v22, 0
	v_mov_b32_e32 v23, 0
	;; [unrolled: 1-line block ×3, first 2 shown]
	s_and_saveexec_b64 s[8:9], s[0:1]
	s_cbranch_execz .LBB113_24
; %bb.15:
	v_or_b32_e32 v7, 32, v21
	v_subrev_co_u32_e32 v7, vcc, s20, v7
	v_subb_co_u32_e64 v8, s[2:3], 0, 0, vcc
	v_add_co_u32_e32 v7, vcc, v7, v9
	v_addc_co_u32_e32 v8, vcc, v8, v10, vcc
	v_cmp_gt_i64_e32 vcc, v[7:8], v[2:3]
	v_not_b32_e32 v12, v9
	v_cndmask_b32_e32 v8, v3, v8, vcc
	v_cndmask_b32_e32 v7, v2, v7, vcc
	v_sub_co_u32_e32 v13, vcc, s20, v21
	v_not_b32_e32 v11, v10
	v_subb_co_u32_e64 v14, s[2:3], 0, 0, vcc
	v_add_co_u32_e32 v12, vcc, v13, v12
	v_addc_co_u32_e32 v11, vcc, v14, v11, vcc
	v_add_co_u32_e32 v15, vcc, v12, v7
	v_addc_co_u32_e32 v16, vcc, v11, v8, vcc
	v_and_b32_e32 v7, 0x60, v15
	v_mov_b32_e32 v8, 0
	s_mov_b64 s[2:3], 0x60
	v_cmp_ne_u64_e32 vcc, s[2:3], v[7:8]
	v_mov_b32_e32 v12, v1
	v_mov_b32_e32 v14, v6
	;; [unrolled: 1-line block ×7, first 2 shown]
	s_and_saveexec_b64 s[10:11], vcc
	s_cbranch_execz .LBB113_19
; %bb.16:
	v_lshlrev_b64 v[11:12], 2, v[0:1]
	v_lshrrev_b32_e32 v7, 5, v15
	v_add_u32_e32 v7, 1, v7
	v_mov_b32_e32 v13, s13
	v_add_co_u32_e32 v17, vcc, s12, v11
	v_and_b32_e32 v8, 3, v7
	v_addc_co_u32_e32 v18, vcc, v13, v12, vcc
	v_sub_co_u32_e32 v19, vcc, 0, v8
	v_mov_b32_e32 v14, v6
	v_mov_b32_e32 v12, v1
	;; [unrolled: 1-line block ×3, first 2 shown]
	s_mov_b64 s[14:15], 0
	v_subb_co_u32_e64 v20, s[2:3], 0, 0, vcc
	s_movk_i32 s17, 0x400
	v_mov_b32_e32 v24, s7
	v_mov_b32_e32 v13, v5
	;; [unrolled: 1-line block ×6, first 2 shown]
.LBB113_17:                             ; =>This Inner Loop Header: Depth=1
	global_load_dword v33, v[17:18], off
	global_load_dwordx4 v[25:28], v[13:14], off
	global_load_dwordx4 v[29:32], v[13:14], off offset:16
	s_waitcnt vmcnt(2)
	v_subrev_u32_e32 v33, s20, v33
	v_lshlrev_b32_e32 v33, 2, v33
	v_ashrrev_i32_e32 v34, 31, v33
	v_lshlrev_b64 v[33:34], 1, v[33:34]
	s_waitcnt vmcnt(1)
	v_lshlrev_b32_e32 v35, 16, v25
	v_add_co_u32_e32 v33, vcc, s6, v33
	v_addc_co_u32_e32 v34, vcc, v24, v34, vcc
	global_load_dwordx2 v[33:34], v[33:34], off
	v_add_co_u32_e32 v13, vcc, s17, v13
	s_mov_b64 s[2:3], vcc
	v_add_co_u32_e32 v11, vcc, 32, v11
	v_addc_co_u32_e32 v12, vcc, 0, v12, vcc
	v_add_co_u32_e32 v19, vcc, 1, v19
	v_lshlrev_b32_e32 v37, 16, v27
	s_waitcnt vmcnt(1)
	v_lshlrev_b32_e32 v39, 16, v29
	v_lshlrev_b32_e32 v41, 16, v31
	v_addc_co_u32_e32 v20, vcc, 0, v20, vcc
	v_addc_co_u32_e64 v14, s[2:3], 0, v14, s[2:3]
	v_and_b32_e32 v25, 0xffff0000, v25
	v_and_b32_e32 v27, 0xffff0000, v27
	;; [unrolled: 1-line block ×4, first 2 shown]
	v_cmp_eq_u64_e64 s[2:3], 0, v[19:20]
	v_lshlrev_b32_e32 v36, 16, v26
	v_lshlrev_b32_e32 v38, 16, v28
	;; [unrolled: 1-line block ×4, first 2 shown]
	v_add_co_u32_e32 v17, vcc, 0x80, v17
	v_and_b32_e32 v26, 0xffff0000, v26
	v_and_b32_e32 v28, 0xffff0000, v28
	;; [unrolled: 1-line block ×4, first 2 shown]
	v_addc_co_u32_e32 v18, vcc, 0, v18, vcc
	s_or_b64 s[14:15], s[2:3], s[14:15]
	s_waitcnt vmcnt(0)
	v_lshlrev_b32_e32 v43, 16, v33
	v_and_b32_e32 v33, 0xffff0000, v33
	v_fmac_f32_e32 v8, v35, v43
	v_fmac_f32_e32 v23, v37, v43
	;; [unrolled: 1-line block ×4, first 2 shown]
	v_lshlrev_b32_e32 v44, 16, v34
	v_fmac_f32_e32 v8, v25, v33
	v_fmac_f32_e32 v23, v27, v33
	;; [unrolled: 1-line block ×4, first 2 shown]
	v_and_b32_e32 v34, 0xffff0000, v34
	v_fmac_f32_e32 v8, v36, v44
	v_fmac_f32_e32 v23, v38, v44
	;; [unrolled: 1-line block ×8, first 2 shown]
	s_andn2_b64 exec, exec, s[14:15]
	s_cbranch_execnz .LBB113_17
; %bb.18:
	s_or_b64 exec, exec, s[14:15]
.LBB113_19:
	s_or_b64 exec, exec, s[10:11]
	s_mov_b64 s[2:3], 0x5f
	v_cmp_lt_u64_e32 vcc, s[2:3], v[15:16]
	s_and_saveexec_b64 s[2:3], vcc
	s_cbranch_execz .LBB113_23
; %bb.20:
	v_lshlrev_b64 v[15:16], 2, v[11:12]
	v_mov_b32_e32 v17, s13
	v_add_co_u32_e32 v15, vcc, s12, v15
	v_addc_co_u32_e32 v16, vcc, v17, v16, vcc
	v_add_co_u32_e32 v15, vcc, 0x100, v15
	v_addc_co_u32_e32 v16, vcc, 0, v16, vcc
	s_mov_b64 s[10:11], 0
	v_mov_b32_e32 v17, s7
	s_movk_i32 s14, 0x1000
.LBB113_21:                             ; =>This Inner Loop Header: Depth=1
	global_load_dword v18, v[15:16], off offset:-256
	global_load_dwordx4 v[24:27], v[13:14], off
	s_waitcnt vmcnt(1)
	v_subrev_u32_e32 v18, s20, v18
	v_lshlrev_b32_e32 v18, 2, v18
	v_ashrrev_i32_e32 v19, 31, v18
	v_lshlrev_b64 v[18:19], 1, v[18:19]
	s_waitcnt vmcnt(0)
	v_lshlrev_b32_e32 v20, 16, v24
	v_add_co_u32_e32 v18, vcc, s6, v18
	v_addc_co_u32_e32 v19, vcc, v17, v19, vcc
	global_load_dwordx2 v[18:19], v[18:19], off
	s_waitcnt vmcnt(0)
	v_lshlrev_b32_e32 v28, 16, v18
	v_fmac_f32_e32 v8, v20, v28
	v_and_b32_e32 v20, 0xffff0000, v24
	v_and_b32_e32 v18, 0xffff0000, v18
	v_fmac_f32_e32 v8, v20, v18
	v_lshlrev_b32_e32 v20, 16, v25
	v_lshlrev_b32_e32 v29, 16, v19
	v_fmac_f32_e32 v8, v20, v29
	v_and_b32_e32 v20, 0xffff0000, v25
	v_and_b32_e32 v19, 0xffff0000, v19
	v_fmac_f32_e32 v8, v20, v19
	v_lshlrev_b32_e32 v20, 16, v26
	v_fmac_f32_e32 v23, v20, v28
	v_and_b32_e32 v20, 0xffff0000, v26
	v_fmac_f32_e32 v23, v20, v18
	v_lshlrev_b32_e32 v20, 16, v27
	v_fmac_f32_e32 v23, v20, v29
	v_and_b32_e32 v20, 0xffff0000, v27
	global_load_dwordx4 v[24:27], v[13:14], off offset:16
	v_fmac_f32_e32 v23, v20, v19
	s_waitcnt vmcnt(0)
	v_lshlrev_b32_e32 v20, 16, v24
	v_fmac_f32_e32 v22, v20, v28
	v_and_b32_e32 v20, 0xffff0000, v24
	v_fmac_f32_e32 v22, v20, v18
	v_lshlrev_b32_e32 v20, 16, v25
	v_fmac_f32_e32 v22, v20, v29
	v_and_b32_e32 v20, 0xffff0000, v25
	v_fmac_f32_e32 v22, v20, v19
	;; [unrolled: 4-line block ×4, first 2 shown]
	global_load_dword v18, v[15:16], off offset:-128
	global_load_dwordx4 v[24:27], v[13:14], off offset:1024
	s_waitcnt vmcnt(1)
	v_subrev_u32_e32 v18, s20, v18
	v_lshlrev_b32_e32 v18, 2, v18
	v_ashrrev_i32_e32 v19, 31, v18
	v_lshlrev_b64 v[18:19], 1, v[18:19]
	s_waitcnt vmcnt(0)
	v_lshlrev_b32_e32 v20, 16, v24
	v_add_co_u32_e32 v18, vcc, s6, v18
	v_addc_co_u32_e32 v19, vcc, v17, v19, vcc
	global_load_dwordx2 v[18:19], v[18:19], off
	s_waitcnt vmcnt(0)
	v_lshlrev_b32_e32 v28, 16, v18
	v_fmac_f32_e32 v8, v20, v28
	v_and_b32_e32 v20, 0xffff0000, v24
	v_and_b32_e32 v18, 0xffff0000, v18
	v_fmac_f32_e32 v8, v20, v18
	v_lshlrev_b32_e32 v20, 16, v25
	v_lshlrev_b32_e32 v29, 16, v19
	v_fmac_f32_e32 v8, v20, v29
	v_and_b32_e32 v20, 0xffff0000, v25
	v_and_b32_e32 v19, 0xffff0000, v19
	v_fmac_f32_e32 v8, v20, v19
	v_lshlrev_b32_e32 v20, 16, v26
	v_fmac_f32_e32 v23, v20, v28
	v_and_b32_e32 v20, 0xffff0000, v26
	v_fmac_f32_e32 v23, v20, v18
	v_lshlrev_b32_e32 v20, 16, v27
	v_fmac_f32_e32 v23, v20, v29
	v_and_b32_e32 v20, 0xffff0000, v27
	global_load_dwordx4 v[24:27], v[13:14], off offset:1040
	v_fmac_f32_e32 v23, v20, v19
	s_waitcnt vmcnt(0)
	v_lshlrev_b32_e32 v20, 16, v24
	v_fmac_f32_e32 v22, v20, v28
	v_and_b32_e32 v20, 0xffff0000, v24
	v_fmac_f32_e32 v22, v20, v18
	v_lshlrev_b32_e32 v20, 16, v25
	v_fmac_f32_e32 v22, v20, v29
	v_and_b32_e32 v20, 0xffff0000, v25
	v_fmac_f32_e32 v22, v20, v19
	;; [unrolled: 4-line block ×4, first 2 shown]
	global_load_dword v18, v[15:16], off
	global_load_dwordx4 v[24:27], v[13:14], off offset:2048
	s_waitcnt vmcnt(1)
	v_subrev_u32_e32 v18, s20, v18
	v_lshlrev_b32_e32 v18, 2, v18
	v_ashrrev_i32_e32 v19, 31, v18
	v_lshlrev_b64 v[18:19], 1, v[18:19]
	s_waitcnt vmcnt(0)
	v_lshlrev_b32_e32 v20, 16, v24
	v_add_co_u32_e32 v18, vcc, s6, v18
	v_addc_co_u32_e32 v19, vcc, v17, v19, vcc
	global_load_dwordx2 v[18:19], v[18:19], off
	s_waitcnt vmcnt(0)
	v_lshlrev_b32_e32 v28, 16, v18
	v_fmac_f32_e32 v8, v20, v28
	v_and_b32_e32 v20, 0xffff0000, v24
	v_and_b32_e32 v18, 0xffff0000, v18
	v_fmac_f32_e32 v8, v20, v18
	v_lshlrev_b32_e32 v20, 16, v25
	v_lshlrev_b32_e32 v29, 16, v19
	v_fmac_f32_e32 v8, v20, v29
	v_and_b32_e32 v20, 0xffff0000, v25
	v_and_b32_e32 v19, 0xffff0000, v19
	v_fmac_f32_e32 v8, v20, v19
	v_lshlrev_b32_e32 v20, 16, v26
	v_fmac_f32_e32 v23, v20, v28
	v_and_b32_e32 v20, 0xffff0000, v26
	v_fmac_f32_e32 v23, v20, v18
	v_lshlrev_b32_e32 v20, 16, v27
	v_fmac_f32_e32 v23, v20, v29
	v_and_b32_e32 v20, 0xffff0000, v27
	global_load_dwordx4 v[24:27], v[13:14], off offset:2064
	v_fmac_f32_e32 v23, v20, v19
	s_waitcnt vmcnt(0)
	v_lshlrev_b32_e32 v20, 16, v24
	v_fmac_f32_e32 v22, v20, v28
	v_and_b32_e32 v20, 0xffff0000, v24
	v_fmac_f32_e32 v22, v20, v18
	v_lshlrev_b32_e32 v20, 16, v25
	v_fmac_f32_e32 v22, v20, v29
	v_and_b32_e32 v20, 0xffff0000, v25
	v_fmac_f32_e32 v22, v20, v19
	;; [unrolled: 4-line block ×4, first 2 shown]
	global_load_dword v18, v[15:16], off offset:128
	global_load_dwordx4 v[24:27], v[13:14], off offset:3072
	s_waitcnt vmcnt(1)
	v_subrev_u32_e32 v18, s20, v18
	v_lshlrev_b32_e32 v18, 2, v18
	v_ashrrev_i32_e32 v19, 31, v18
	v_lshlrev_b64 v[18:19], 1, v[18:19]
	s_waitcnt vmcnt(0)
	v_lshlrev_b32_e32 v20, 16, v24
	v_add_co_u32_e32 v18, vcc, s6, v18
	v_addc_co_u32_e32 v19, vcc, v17, v19, vcc
	global_load_dwordx2 v[18:19], v[18:19], off
	s_waitcnt vmcnt(0)
	v_lshlrev_b32_e32 v28, 16, v18
	v_fmac_f32_e32 v8, v20, v28
	v_and_b32_e32 v20, 0xffff0000, v24
	v_and_b32_e32 v18, 0xffff0000, v18
	v_fmac_f32_e32 v8, v20, v18
	v_lshlrev_b32_e32 v20, 16, v25
	v_lshlrev_b32_e32 v29, 16, v19
	v_fmac_f32_e32 v8, v20, v29
	v_and_b32_e32 v20, 0xffff0000, v25
	v_and_b32_e32 v19, 0xffff0000, v19
	v_fmac_f32_e32 v8, v20, v19
	v_lshlrev_b32_e32 v20, 16, v26
	v_fmac_f32_e32 v23, v20, v28
	v_and_b32_e32 v20, 0xffff0000, v26
	v_fmac_f32_e32 v23, v20, v18
	v_lshlrev_b32_e32 v20, 16, v27
	v_fmac_f32_e32 v23, v20, v29
	v_and_b32_e32 v20, 0xffff0000, v27
	global_load_dwordx4 v[24:27], v[13:14], off offset:3088
	v_fmac_f32_e32 v23, v20, v19
	v_add_co_u32_e32 v13, vcc, s14, v13
	v_addc_co_u32_e32 v14, vcc, 0, v14, vcc
	v_add_co_u32_e32 v11, vcc, 0x80, v11
	v_addc_co_u32_e32 v12, vcc, 0, v12, vcc
	;; [unrolled: 2-line block ×3, first 2 shown]
	v_cmp_ge_i64_e32 vcc, v[11:12], v[2:3]
	s_or_b64 s[10:11], vcc, s[10:11]
	s_waitcnt vmcnt(0)
	v_lshlrev_b32_e32 v20, 16, v24
	v_fmac_f32_e32 v22, v20, v28
	v_and_b32_e32 v20, 0xffff0000, v24
	v_fmac_f32_e32 v22, v20, v18
	v_lshlrev_b32_e32 v20, 16, v25
	v_fmac_f32_e32 v22, v20, v29
	v_and_b32_e32 v20, 0xffff0000, v25
	v_fmac_f32_e32 v22, v20, v19
	;; [unrolled: 4-line block ×4, first 2 shown]
	s_andn2_b64 exec, exec, s[10:11]
	s_cbranch_execnz .LBB113_21
; %bb.22:
	s_or_b64 exec, exec, s[10:11]
.LBB113_23:
	s_or_b64 exec, exec, s[2:3]
.LBB113_24:
	s_or_b64 exec, exec, s[8:9]
	s_cbranch_execz .LBB113_26
	s_branch .LBB113_37
.LBB113_25:
                                        ; implicit-def: $vgpr7
                                        ; implicit-def: $vgpr22
                                        ; implicit-def: $vgpr23
                                        ; implicit-def: $vgpr8
.LBB113_26:
	v_mov_b32_e32 v7, 0
	v_mov_b32_e32 v22, 0
	;; [unrolled: 1-line block ×4, first 2 shown]
	s_and_saveexec_b64 s[2:3], s[0:1]
	s_cbranch_execz .LBB113_36
; %bb.27:
	v_or_b32_e32 v7, 32, v21
	v_subrev_co_u32_e32 v7, vcc, s20, v7
	v_subb_co_u32_e64 v8, s[0:1], 0, 0, vcc
	v_add_co_u32_e32 v7, vcc, v7, v9
	v_addc_co_u32_e32 v8, vcc, v8, v10, vcc
	v_cmp_gt_i64_e32 vcc, v[7:8], v[2:3]
	v_not_b32_e32 v9, v9
	v_cndmask_b32_e32 v8, v3, v8, vcc
	v_cndmask_b32_e32 v7, v2, v7, vcc
	v_sub_co_u32_e32 v11, vcc, s20, v21
	v_not_b32_e32 v10, v10
	v_subb_co_u32_e64 v12, s[0:1], 0, 0, vcc
	v_add_co_u32_e32 v9, vcc, v11, v9
	v_addc_co_u32_e32 v10, vcc, v12, v10, vcc
	v_add_co_u32_e32 v9, vcc, v9, v7
	v_addc_co_u32_e32 v10, vcc, v10, v8, vcc
	v_and_b32_e32 v7, 0x60, v9
	v_mov_b32_e32 v8, 0
	s_mov_b64 s[0:1], 0x60
	v_cmp_ne_u64_e32 vcc, s[0:1], v[7:8]
	v_mov_b32_e32 v23, v8
	v_mov_b32_e32 v22, v8
	;; [unrolled: 1-line block ×3, first 2 shown]
	s_and_saveexec_b64 s[8:9], vcc
	s_cbranch_execz .LBB113_31
; %bb.28:
	v_lshlrev_b64 v[11:12], 2, v[0:1]
	v_lshrrev_b32_e32 v7, 5, v9
	v_add_u32_e32 v7, 1, v7
	v_mov_b32_e32 v13, s13
	v_add_co_u32_e32 v11, vcc, s12, v11
	v_and_b32_e32 v8, 3, v7
	v_addc_co_u32_e32 v12, vcc, v13, v12, vcc
	v_sub_co_u32_e32 v13, vcc, 0, v8
	v_mov_b32_e32 v7, 0
	s_mov_b64 s[10:11], 0
	v_subb_co_u32_e64 v14, s[0:1], 0, 0, vcc
	s_movk_i32 s14, 0x400
	v_mov_b32_e32 v15, s7
	v_mov_b32_e32 v22, 0
	v_mov_b32_e32 v23, 0
	v_mov_b32_e32 v8, 0
.LBB113_29:                             ; =>This Inner Loop Header: Depth=1
	global_load_dword v20, v[11:12], off
	global_load_dwordx4 v[16:19], v[5:6], off
	v_add_co_u32_e64 v0, s[0:1], 32, v0
	v_addc_co_u32_e64 v1, s[0:1], 0, v1, s[0:1]
	v_add_co_u32_e64 v13, s[0:1], 1, v13
	v_addc_co_u32_e64 v14, s[0:1], 0, v14, s[0:1]
	v_cmp_eq_u64_e64 s[0:1], 0, v[13:14]
	s_or_b64 s[10:11], s[0:1], s[10:11]
	s_waitcnt vmcnt(1)
	v_subrev_u32_e32 v20, s20, v20
	v_lshlrev_b32_e32 v24, 2, v20
	v_ashrrev_i32_e32 v25, 31, v24
	v_lshlrev_b64 v[24:25], 1, v[24:25]
	s_waitcnt vmcnt(0)
	v_lshlrev_b32_e32 v20, 16, v16
	v_add_co_u32_e32 v28, vcc, s6, v24
	v_addc_co_u32_e32 v29, vcc, v15, v25, vcc
	global_load_dwordx2 v[30:31], v[28:29], off
	global_load_dwordx4 v[24:27], v[5:6], off offset:16
	v_and_b32_e32 v16, 0xffff0000, v16
	v_lshlrev_b32_e32 v28, 16, v17
	v_and_b32_e32 v17, 0xffff0000, v17
	v_add_co_u32_e32 v5, vcc, s14, v5
	v_lshlrev_b32_e32 v29, 16, v18
	v_and_b32_e32 v18, 0xffff0000, v18
	v_lshlrev_b32_e32 v32, 16, v19
	v_and_b32_e32 v19, 0xffff0000, v19
	v_addc_co_u32_e32 v6, vcc, 0, v6, vcc
	v_add_co_u32_e32 v11, vcc, 0x80, v11
	v_addc_co_u32_e32 v12, vcc, 0, v12, vcc
	s_waitcnt vmcnt(1)
	v_lshlrev_b32_e32 v37, 16, v30
	v_and_b32_e32 v30, 0xffff0000, v30
	v_fmac_f32_e32 v8, v20, v37
	v_fmac_f32_e32 v23, v16, v37
	v_fmac_f32_e32 v22, v28, v37
	v_fmac_f32_e32 v7, v17, v37
	s_waitcnt vmcnt(0)
	v_lshlrev_b32_e32 v33, 16, v24
	v_and_b32_e32 v24, 0xffff0000, v24
	v_lshlrev_b32_e32 v34, 16, v25
	v_and_b32_e32 v25, 0xffff0000, v25
	v_lshlrev_b32_e32 v38, 16, v31
	v_fmac_f32_e32 v8, v29, v30
	v_fmac_f32_e32 v23, v18, v30
	;; [unrolled: 1-line block ×4, first 2 shown]
	v_lshlrev_b32_e32 v35, 16, v26
	v_and_b32_e32 v26, 0xffff0000, v26
	v_lshlrev_b32_e32 v36, 16, v27
	v_and_b32_e32 v27, 0xffff0000, v27
	v_and_b32_e32 v31, 0xffff0000, v31
	v_fmac_f32_e32 v8, v33, v38
	v_fmac_f32_e32 v23, v24, v38
	v_fmac_f32_e32 v22, v34, v38
	v_fmac_f32_e32 v7, v25, v38
	v_fmac_f32_e32 v8, v35, v31
	v_fmac_f32_e32 v23, v26, v31
	v_fmac_f32_e32 v22, v36, v31
	v_fmac_f32_e32 v7, v27, v31
	s_andn2_b64 exec, exec, s[10:11]
	s_cbranch_execnz .LBB113_29
; %bb.30:
	s_or_b64 exec, exec, s[10:11]
.LBB113_31:
	s_or_b64 exec, exec, s[8:9]
	s_mov_b64 s[0:1], 0x5f
	v_cmp_lt_u64_e32 vcc, s[0:1], v[9:10]
	s_and_saveexec_b64 s[0:1], vcc
	s_cbranch_execz .LBB113_35
; %bb.32:
	v_lshlrev_b64 v[9:10], 2, v[0:1]
	v_mov_b32_e32 v11, s13
	v_add_co_u32_e32 v9, vcc, s12, v9
	v_addc_co_u32_e32 v10, vcc, v11, v10, vcc
	v_add_co_u32_e32 v9, vcc, 0x100, v9
	v_addc_co_u32_e32 v10, vcc, 0, v10, vcc
	s_mov_b64 s[8:9], 0
	v_mov_b32_e32 v11, s7
	s_movk_i32 s7, 0x1000
.LBB113_33:                             ; =>This Inner Loop Header: Depth=1
	global_load_dword v12, v[9:10], off offset:-256
	s_waitcnt vmcnt(0)
	v_subrev_u32_e32 v12, s20, v12
	v_lshlrev_b32_e32 v16, 2, v12
	v_ashrrev_i32_e32 v17, 31, v16
	v_lshlrev_b64 v[16:17], 1, v[16:17]
	global_load_dwordx4 v[12:15], v[5:6], off
	v_add_co_u32_e32 v16, vcc, s6, v16
	v_addc_co_u32_e32 v17, vcc, v11, v17, vcc
	global_load_dwordx2 v[16:17], v[16:17], off
	s_waitcnt vmcnt(1)
	v_lshlrev_b32_e32 v18, 16, v12
	v_and_b32_e32 v12, 0xffff0000, v12
	s_waitcnt vmcnt(0)
	v_lshlrev_b32_e32 v19, 16, v16
	v_fmac_f32_e32 v23, v12, v19
	v_lshlrev_b32_e32 v12, 16, v13
	v_fmac_f32_e32 v22, v12, v19
	v_and_b32_e32 v12, 0xffff0000, v13
	v_fmac_f32_e32 v8, v18, v19
	v_fmac_f32_e32 v7, v12, v19
	v_lshlrev_b32_e32 v12, 16, v14
	v_and_b32_e32 v13, 0xffff0000, v16
	v_fmac_f32_e32 v8, v12, v13
	v_and_b32_e32 v12, 0xffff0000, v14
	v_fmac_f32_e32 v23, v12, v13
	v_lshlrev_b32_e32 v12, 16, v15
	v_fmac_f32_e32 v22, v12, v13
	v_and_b32_e32 v12, 0xffff0000, v15
	v_fmac_f32_e32 v7, v12, v13
	global_load_dwordx4 v[12:15], v[5:6], off offset:16
	v_lshlrev_b32_e32 v18, 16, v17
	s_waitcnt vmcnt(0)
	v_lshlrev_b32_e32 v16, 16, v12
	v_and_b32_e32 v12, 0xffff0000, v12
	v_fmac_f32_e32 v23, v12, v18
	v_lshlrev_b32_e32 v12, 16, v13
	v_fmac_f32_e32 v22, v12, v18
	v_and_b32_e32 v12, 0xffff0000, v13
	v_fmac_f32_e32 v8, v16, v18
	v_fmac_f32_e32 v7, v12, v18
	v_lshlrev_b32_e32 v12, 16, v14
	v_and_b32_e32 v13, 0xffff0000, v17
	v_fmac_f32_e32 v8, v12, v13
	v_and_b32_e32 v12, 0xffff0000, v14
	v_fmac_f32_e32 v23, v12, v13
	v_lshlrev_b32_e32 v12, 16, v15
	v_fmac_f32_e32 v22, v12, v13
	v_and_b32_e32 v12, 0xffff0000, v15
	v_fmac_f32_e32 v7, v12, v13
	global_load_dword v12, v[9:10], off offset:-128
	s_waitcnt vmcnt(0)
	v_subrev_u32_e32 v12, s20, v12
	v_lshlrev_b32_e32 v16, 2, v12
	v_ashrrev_i32_e32 v17, 31, v16
	v_lshlrev_b64 v[16:17], 1, v[16:17]
	global_load_dwordx4 v[12:15], v[5:6], off offset:1024
	v_add_co_u32_e32 v16, vcc, s6, v16
	v_addc_co_u32_e32 v17, vcc, v11, v17, vcc
	global_load_dwordx2 v[16:17], v[16:17], off
	s_waitcnt vmcnt(1)
	v_lshlrev_b32_e32 v18, 16, v12
	v_and_b32_e32 v12, 0xffff0000, v12
	s_waitcnt vmcnt(0)
	v_lshlrev_b32_e32 v19, 16, v16
	v_fmac_f32_e32 v23, v12, v19
	v_lshlrev_b32_e32 v12, 16, v13
	v_fmac_f32_e32 v22, v12, v19
	v_and_b32_e32 v12, 0xffff0000, v13
	v_fmac_f32_e32 v8, v18, v19
	v_fmac_f32_e32 v7, v12, v19
	v_lshlrev_b32_e32 v12, 16, v14
	v_and_b32_e32 v13, 0xffff0000, v16
	v_fmac_f32_e32 v8, v12, v13
	v_and_b32_e32 v12, 0xffff0000, v14
	v_fmac_f32_e32 v23, v12, v13
	v_lshlrev_b32_e32 v12, 16, v15
	v_fmac_f32_e32 v22, v12, v13
	v_and_b32_e32 v12, 0xffff0000, v15
	v_fmac_f32_e32 v7, v12, v13
	global_load_dwordx4 v[12:15], v[5:6], off offset:1040
	v_lshlrev_b32_e32 v18, 16, v17
	s_waitcnt vmcnt(0)
	v_lshlrev_b32_e32 v16, 16, v12
	v_and_b32_e32 v12, 0xffff0000, v12
	v_fmac_f32_e32 v23, v12, v18
	v_lshlrev_b32_e32 v12, 16, v13
	v_fmac_f32_e32 v22, v12, v18
	v_and_b32_e32 v12, 0xffff0000, v13
	v_fmac_f32_e32 v8, v16, v18
	v_fmac_f32_e32 v7, v12, v18
	v_lshlrev_b32_e32 v12, 16, v14
	v_and_b32_e32 v13, 0xffff0000, v17
	v_fmac_f32_e32 v8, v12, v13
	v_and_b32_e32 v12, 0xffff0000, v14
	v_fmac_f32_e32 v23, v12, v13
	v_lshlrev_b32_e32 v12, 16, v15
	v_fmac_f32_e32 v22, v12, v13
	v_and_b32_e32 v12, 0xffff0000, v15
	v_fmac_f32_e32 v7, v12, v13
	global_load_dword v12, v[9:10], off
	s_waitcnt vmcnt(0)
	v_subrev_u32_e32 v12, s20, v12
	v_lshlrev_b32_e32 v16, 2, v12
	v_ashrrev_i32_e32 v17, 31, v16
	v_lshlrev_b64 v[16:17], 1, v[16:17]
	global_load_dwordx4 v[12:15], v[5:6], off offset:2048
	v_add_co_u32_e32 v16, vcc, s6, v16
	v_addc_co_u32_e32 v17, vcc, v11, v17, vcc
	global_load_dwordx2 v[16:17], v[16:17], off
	s_waitcnt vmcnt(1)
	v_lshlrev_b32_e32 v18, 16, v12
	v_and_b32_e32 v12, 0xffff0000, v12
	s_waitcnt vmcnt(0)
	v_lshlrev_b32_e32 v19, 16, v16
	v_fmac_f32_e32 v23, v12, v19
	v_lshlrev_b32_e32 v12, 16, v13
	v_fmac_f32_e32 v22, v12, v19
	v_and_b32_e32 v12, 0xffff0000, v13
	v_fmac_f32_e32 v8, v18, v19
	v_fmac_f32_e32 v7, v12, v19
	v_lshlrev_b32_e32 v12, 16, v14
	v_and_b32_e32 v13, 0xffff0000, v16
	v_fmac_f32_e32 v8, v12, v13
	v_and_b32_e32 v12, 0xffff0000, v14
	v_fmac_f32_e32 v23, v12, v13
	v_lshlrev_b32_e32 v12, 16, v15
	v_fmac_f32_e32 v22, v12, v13
	v_and_b32_e32 v12, 0xffff0000, v15
	v_fmac_f32_e32 v7, v12, v13
	global_load_dwordx4 v[12:15], v[5:6], off offset:2064
	v_lshlrev_b32_e32 v18, 16, v17
	s_waitcnt vmcnt(0)
	v_lshlrev_b32_e32 v16, 16, v12
	v_and_b32_e32 v12, 0xffff0000, v12
	v_fmac_f32_e32 v23, v12, v18
	v_lshlrev_b32_e32 v12, 16, v13
	v_fmac_f32_e32 v22, v12, v18
	v_and_b32_e32 v12, 0xffff0000, v13
	v_fmac_f32_e32 v8, v16, v18
	v_fmac_f32_e32 v7, v12, v18
	v_lshlrev_b32_e32 v12, 16, v14
	v_and_b32_e32 v13, 0xffff0000, v17
	v_fmac_f32_e32 v8, v12, v13
	v_and_b32_e32 v12, 0xffff0000, v14
	v_fmac_f32_e32 v23, v12, v13
	v_lshlrev_b32_e32 v12, 16, v15
	v_fmac_f32_e32 v22, v12, v13
	v_and_b32_e32 v12, 0xffff0000, v15
	v_fmac_f32_e32 v7, v12, v13
	global_load_dword v12, v[9:10], off offset:128
	s_waitcnt vmcnt(0)
	v_subrev_u32_e32 v12, s20, v12
	v_lshlrev_b32_e32 v16, 2, v12
	v_ashrrev_i32_e32 v17, 31, v16
	v_lshlrev_b64 v[16:17], 1, v[16:17]
	global_load_dwordx4 v[12:15], v[5:6], off offset:3072
	v_add_co_u32_e32 v16, vcc, s6, v16
	v_addc_co_u32_e32 v17, vcc, v11, v17, vcc
	global_load_dwordx2 v[16:17], v[16:17], off
	s_waitcnt vmcnt(1)
	v_lshlrev_b32_e32 v18, 16, v12
	v_and_b32_e32 v12, 0xffff0000, v12
	s_waitcnt vmcnt(0)
	v_lshlrev_b32_e32 v19, 16, v16
	v_fmac_f32_e32 v23, v12, v19
	v_lshlrev_b32_e32 v12, 16, v13
	v_fmac_f32_e32 v22, v12, v19
	v_and_b32_e32 v12, 0xffff0000, v13
	v_fmac_f32_e32 v8, v18, v19
	v_fmac_f32_e32 v7, v12, v19
	v_lshlrev_b32_e32 v12, 16, v14
	v_and_b32_e32 v13, 0xffff0000, v16
	v_fmac_f32_e32 v8, v12, v13
	v_and_b32_e32 v12, 0xffff0000, v14
	v_fmac_f32_e32 v23, v12, v13
	v_lshlrev_b32_e32 v12, 16, v15
	v_fmac_f32_e32 v22, v12, v13
	v_and_b32_e32 v12, 0xffff0000, v15
	v_fmac_f32_e32 v7, v12, v13
	global_load_dwordx4 v[12:15], v[5:6], off offset:3088
	v_add_co_u32_e32 v5, vcc, s7, v5
	v_lshlrev_b32_e32 v18, 16, v17
	v_addc_co_u32_e32 v6, vcc, 0, v6, vcc
	v_add_co_u32_e32 v0, vcc, 0x80, v0
	v_addc_co_u32_e32 v1, vcc, 0, v1, vcc
	v_add_co_u32_e32 v9, vcc, 0x200, v9
	v_addc_co_u32_e32 v10, vcc, 0, v10, vcc
	v_cmp_ge_i64_e32 vcc, v[0:1], v[2:3]
	s_or_b64 s[8:9], vcc, s[8:9]
	s_waitcnt vmcnt(0)
	v_lshlrev_b32_e32 v16, 16, v12
	v_and_b32_e32 v12, 0xffff0000, v12
	v_fmac_f32_e32 v23, v12, v18
	v_lshlrev_b32_e32 v12, 16, v13
	v_fmac_f32_e32 v22, v12, v18
	v_and_b32_e32 v12, 0xffff0000, v13
	v_fmac_f32_e32 v8, v16, v18
	v_fmac_f32_e32 v7, v12, v18
	v_lshlrev_b32_e32 v12, 16, v14
	v_and_b32_e32 v13, 0xffff0000, v17
	v_fmac_f32_e32 v8, v12, v13
	v_and_b32_e32 v12, 0xffff0000, v14
	v_fmac_f32_e32 v23, v12, v13
	v_lshlrev_b32_e32 v12, 16, v15
	v_fmac_f32_e32 v22, v12, v13
	v_and_b32_e32 v12, 0xffff0000, v15
	v_fmac_f32_e32 v7, v12, v13
	s_andn2_b64 exec, exec, s[8:9]
	s_cbranch_execnz .LBB113_33
; %bb.34:
	s_or_b64 exec, exec, s[8:9]
.LBB113_35:
	s_or_b64 exec, exec, s[0:1]
.LBB113_36:
	s_or_b64 exec, exec, s[2:3]
.LBB113_37:
	v_mov_b32_dpp v0, v8 row_shr:1 row_mask:0xf bank_mask:0xf
	v_add_f32_e32 v0, v8, v0
	v_mov_b32_dpp v2, v23 row_shr:1 row_mask:0xf bank_mask:0xf
	v_mov_b32_dpp v5, v22 row_shr:1 row_mask:0xf bank_mask:0xf
	;; [unrolled: 1-line block ×3, first 2 shown]
	v_add_f32_e32 v2, v23, v2
	v_add_f32_e32 v5, v22, v5
	v_add_f32_e32 v7, v7, v8
	v_mov_b32_dpp v1, v0 row_shr:2 row_mask:0xf bank_mask:0xf
	v_mov_b32_dpp v3, v2 row_shr:2 row_mask:0xf bank_mask:0xf
	v_mov_b32_dpp v6, v5 row_shr:2 row_mask:0xf bank_mask:0xf
	v_mov_b32_dpp v8, v7 row_shr:2 row_mask:0xf bank_mask:0xf
	v_add_f32_e32 v0, v0, v1
	v_add_f32_e32 v2, v2, v3
	v_add_f32_e32 v5, v5, v6
	v_add_f32_e32 v7, v7, v8
	v_mov_b32_dpp v1, v0 row_shr:4 row_mask:0xf bank_mask:0xe
	v_mov_b32_dpp v3, v2 row_shr:4 row_mask:0xf bank_mask:0xe
	v_mov_b32_dpp v6, v5 row_shr:4 row_mask:0xf bank_mask:0xe
	v_mov_b32_dpp v8, v7 row_shr:4 row_mask:0xf bank_mask:0xe
	v_add_f32_e32 v0, v0, v1
	;; [unrolled: 8-line block ×3, first 2 shown]
	v_add_f32_e32 v2, v2, v3
	v_add_f32_e32 v5, v5, v6
	v_add_f32_e32 v7, v7, v8
	v_mov_b32_dpp v1, v0 row_bcast:15 row_mask:0xa bank_mask:0xf
	v_mov_b32_dpp v3, v2 row_bcast:15 row_mask:0xa bank_mask:0xf
	;; [unrolled: 1-line block ×4, first 2 shown]
	v_cmp_eq_u32_e32 vcc, 31, v21
	s_and_b64 exec, exec, vcc
	s_cbranch_execz .LBB113_10
; %bb.38:
	s_load_dwordx2 s[0:1], s[4:5], 0x50
	v_add_f32_e32 v0, v0, v1
	v_add_f32_e32 v1, v2, v3
	;; [unrolled: 1-line block ×4, first 2 shown]
	v_cmp_eq_f32_e64 s[2:3], s16, 0
	s_and_b64 vcc, exec, s[2:3]
	v_mul_f32_e32 v0, s18, v0
	v_mul_f32_e32 v1, s18, v1
	;; [unrolled: 1-line block ×4, first 2 shown]
	v_lshlrev_b32_e32 v4, 2, v4
	s_cbranch_vccz .LBB113_40
; %bb.39:
	v_ashrrev_i32_e32 v5, 31, v4
	v_lshlrev_b64 v[5:6], 2, v[4:5]
	s_waitcnt lgkmcnt(0)
	v_mov_b32_e32 v7, s1
	v_add_co_u32_e32 v5, vcc, s0, v5
	v_addc_co_u32_e32 v6, vcc, v7, v6, vcc
	global_store_dwordx4 v[5:6], v[0:3], off
	s_cbranch_execnz .LBB113_10
	s_branch .LBB113_41
.LBB113_40:
.LBB113_41:
	v_ashrrev_i32_e32 v5, 31, v4
	v_lshlrev_b64 v[4:5], 2, v[4:5]
	s_waitcnt lgkmcnt(0)
	v_mov_b32_e32 v6, s1
	v_add_co_u32_e32 v8, vcc, s0, v4
	v_addc_co_u32_e32 v9, vcc, v6, v5, vcc
	global_load_dwordx4 v[4:7], v[8:9], off
	s_waitcnt vmcnt(0)
	v_fmac_f32_e32 v0, s16, v4
	v_fmac_f32_e32 v1, s16, v5
	;; [unrolled: 1-line block ×4, first 2 shown]
	global_store_dwordx4 v[8:9], v[0:3], off
	s_endpgm
	.section	.rodata,"a",@progbits
	.p2align	6, 0x0
	.amdhsa_kernel _ZN9rocsparseL18bsrxmvn_4x4_kernelILj128ELj32Efli18rocsparse_bfloat16S1_fEEvT3_20rocsparse_direction_NS_24const_host_device_scalarIT1_EES2_PKS2_PKT2_SB_S8_PKT4_PKT5_S6_PT6_21rocsparse_index_base_b
		.amdhsa_group_segment_fixed_size 0
		.amdhsa_private_segment_fixed_size 0
		.amdhsa_kernarg_size 96
		.amdhsa_user_sgpr_count 6
		.amdhsa_user_sgpr_private_segment_buffer 1
		.amdhsa_user_sgpr_dispatch_ptr 0
		.amdhsa_user_sgpr_queue_ptr 0
		.amdhsa_user_sgpr_kernarg_segment_ptr 1
		.amdhsa_user_sgpr_dispatch_id 0
		.amdhsa_user_sgpr_flat_scratch_init 0
		.amdhsa_user_sgpr_private_segment_size 0
		.amdhsa_uses_dynamic_stack 0
		.amdhsa_system_sgpr_private_segment_wavefront_offset 0
		.amdhsa_system_sgpr_workgroup_id_x 1
		.amdhsa_system_sgpr_workgroup_id_y 0
		.amdhsa_system_sgpr_workgroup_id_z 0
		.amdhsa_system_sgpr_workgroup_info 0
		.amdhsa_system_vgpr_workitem_id 0
		.amdhsa_next_free_vgpr 45
		.amdhsa_next_free_sgpr 22
		.amdhsa_reserve_vcc 1
		.amdhsa_reserve_flat_scratch 0
		.amdhsa_float_round_mode_32 0
		.amdhsa_float_round_mode_16_64 0
		.amdhsa_float_denorm_mode_32 3
		.amdhsa_float_denorm_mode_16_64 3
		.amdhsa_dx10_clamp 1
		.amdhsa_ieee_mode 1
		.amdhsa_fp16_overflow 0
		.amdhsa_exception_fp_ieee_invalid_op 0
		.amdhsa_exception_fp_denorm_src 0
		.amdhsa_exception_fp_ieee_div_zero 0
		.amdhsa_exception_fp_ieee_overflow 0
		.amdhsa_exception_fp_ieee_underflow 0
		.amdhsa_exception_fp_ieee_inexact 0
		.amdhsa_exception_int_div_zero 0
	.end_amdhsa_kernel
	.section	.text._ZN9rocsparseL18bsrxmvn_4x4_kernelILj128ELj32Efli18rocsparse_bfloat16S1_fEEvT3_20rocsparse_direction_NS_24const_host_device_scalarIT1_EES2_PKS2_PKT2_SB_S8_PKT4_PKT5_S6_PT6_21rocsparse_index_base_b,"axG",@progbits,_ZN9rocsparseL18bsrxmvn_4x4_kernelILj128ELj32Efli18rocsparse_bfloat16S1_fEEvT3_20rocsparse_direction_NS_24const_host_device_scalarIT1_EES2_PKS2_PKT2_SB_S8_PKT4_PKT5_S6_PT6_21rocsparse_index_base_b,comdat
.Lfunc_end113:
	.size	_ZN9rocsparseL18bsrxmvn_4x4_kernelILj128ELj32Efli18rocsparse_bfloat16S1_fEEvT3_20rocsparse_direction_NS_24const_host_device_scalarIT1_EES2_PKS2_PKT2_SB_S8_PKT4_PKT5_S6_PT6_21rocsparse_index_base_b, .Lfunc_end113-_ZN9rocsparseL18bsrxmvn_4x4_kernelILj128ELj32Efli18rocsparse_bfloat16S1_fEEvT3_20rocsparse_direction_NS_24const_host_device_scalarIT1_EES2_PKS2_PKT2_SB_S8_PKT4_PKT5_S6_PT6_21rocsparse_index_base_b
                                        ; -- End function
	.set _ZN9rocsparseL18bsrxmvn_4x4_kernelILj128ELj32Efli18rocsparse_bfloat16S1_fEEvT3_20rocsparse_direction_NS_24const_host_device_scalarIT1_EES2_PKS2_PKT2_SB_S8_PKT4_PKT5_S6_PT6_21rocsparse_index_base_b.num_vgpr, 45
	.set _ZN9rocsparseL18bsrxmvn_4x4_kernelILj128ELj32Efli18rocsparse_bfloat16S1_fEEvT3_20rocsparse_direction_NS_24const_host_device_scalarIT1_EES2_PKS2_PKT2_SB_S8_PKT4_PKT5_S6_PT6_21rocsparse_index_base_b.num_agpr, 0
	.set _ZN9rocsparseL18bsrxmvn_4x4_kernelILj128ELj32Efli18rocsparse_bfloat16S1_fEEvT3_20rocsparse_direction_NS_24const_host_device_scalarIT1_EES2_PKS2_PKT2_SB_S8_PKT4_PKT5_S6_PT6_21rocsparse_index_base_b.numbered_sgpr, 22
	.set _ZN9rocsparseL18bsrxmvn_4x4_kernelILj128ELj32Efli18rocsparse_bfloat16S1_fEEvT3_20rocsparse_direction_NS_24const_host_device_scalarIT1_EES2_PKS2_PKT2_SB_S8_PKT4_PKT5_S6_PT6_21rocsparse_index_base_b.num_named_barrier, 0
	.set _ZN9rocsparseL18bsrxmvn_4x4_kernelILj128ELj32Efli18rocsparse_bfloat16S1_fEEvT3_20rocsparse_direction_NS_24const_host_device_scalarIT1_EES2_PKS2_PKT2_SB_S8_PKT4_PKT5_S6_PT6_21rocsparse_index_base_b.private_seg_size, 0
	.set _ZN9rocsparseL18bsrxmvn_4x4_kernelILj128ELj32Efli18rocsparse_bfloat16S1_fEEvT3_20rocsparse_direction_NS_24const_host_device_scalarIT1_EES2_PKS2_PKT2_SB_S8_PKT4_PKT5_S6_PT6_21rocsparse_index_base_b.uses_vcc, 1
	.set _ZN9rocsparseL18bsrxmvn_4x4_kernelILj128ELj32Efli18rocsparse_bfloat16S1_fEEvT3_20rocsparse_direction_NS_24const_host_device_scalarIT1_EES2_PKS2_PKT2_SB_S8_PKT4_PKT5_S6_PT6_21rocsparse_index_base_b.uses_flat_scratch, 0
	.set _ZN9rocsparseL18bsrxmvn_4x4_kernelILj128ELj32Efli18rocsparse_bfloat16S1_fEEvT3_20rocsparse_direction_NS_24const_host_device_scalarIT1_EES2_PKS2_PKT2_SB_S8_PKT4_PKT5_S6_PT6_21rocsparse_index_base_b.has_dyn_sized_stack, 0
	.set _ZN9rocsparseL18bsrxmvn_4x4_kernelILj128ELj32Efli18rocsparse_bfloat16S1_fEEvT3_20rocsparse_direction_NS_24const_host_device_scalarIT1_EES2_PKS2_PKT2_SB_S8_PKT4_PKT5_S6_PT6_21rocsparse_index_base_b.has_recursion, 0
	.set _ZN9rocsparseL18bsrxmvn_4x4_kernelILj128ELj32Efli18rocsparse_bfloat16S1_fEEvT3_20rocsparse_direction_NS_24const_host_device_scalarIT1_EES2_PKS2_PKT2_SB_S8_PKT4_PKT5_S6_PT6_21rocsparse_index_base_b.has_indirect_call, 0
	.section	.AMDGPU.csdata,"",@progbits
; Kernel info:
; codeLenInByte = 4312
; TotalNumSgprs: 26
; NumVgprs: 45
; ScratchSize: 0
; MemoryBound: 0
; FloatMode: 240
; IeeeMode: 1
; LDSByteSize: 0 bytes/workgroup (compile time only)
; SGPRBlocks: 3
; VGPRBlocks: 11
; NumSGPRsForWavesPerEU: 26
; NumVGPRsForWavesPerEU: 45
; Occupancy: 5
; WaveLimiterHint : 1
; COMPUTE_PGM_RSRC2:SCRATCH_EN: 0
; COMPUTE_PGM_RSRC2:USER_SGPR: 6
; COMPUTE_PGM_RSRC2:TRAP_HANDLER: 0
; COMPUTE_PGM_RSRC2:TGID_X_EN: 1
; COMPUTE_PGM_RSRC2:TGID_Y_EN: 0
; COMPUTE_PGM_RSRC2:TGID_Z_EN: 0
; COMPUTE_PGM_RSRC2:TIDIG_COMP_CNT: 0
	.section	.text._ZN9rocsparseL18bsrxmvn_4x4_kernelILj128ELj64Efli18rocsparse_bfloat16S1_fEEvT3_20rocsparse_direction_NS_24const_host_device_scalarIT1_EES2_PKS2_PKT2_SB_S8_PKT4_PKT5_S6_PT6_21rocsparse_index_base_b,"axG",@progbits,_ZN9rocsparseL18bsrxmvn_4x4_kernelILj128ELj64Efli18rocsparse_bfloat16S1_fEEvT3_20rocsparse_direction_NS_24const_host_device_scalarIT1_EES2_PKS2_PKT2_SB_S8_PKT4_PKT5_S6_PT6_21rocsparse_index_base_b,comdat
	.globl	_ZN9rocsparseL18bsrxmvn_4x4_kernelILj128ELj64Efli18rocsparse_bfloat16S1_fEEvT3_20rocsparse_direction_NS_24const_host_device_scalarIT1_EES2_PKS2_PKT2_SB_S8_PKT4_PKT5_S6_PT6_21rocsparse_index_base_b ; -- Begin function _ZN9rocsparseL18bsrxmvn_4x4_kernelILj128ELj64Efli18rocsparse_bfloat16S1_fEEvT3_20rocsparse_direction_NS_24const_host_device_scalarIT1_EES2_PKS2_PKT2_SB_S8_PKT4_PKT5_S6_PT6_21rocsparse_index_base_b
	.p2align	8
	.type	_ZN9rocsparseL18bsrxmvn_4x4_kernelILj128ELj64Efli18rocsparse_bfloat16S1_fEEvT3_20rocsparse_direction_NS_24const_host_device_scalarIT1_EES2_PKS2_PKT2_SB_S8_PKT4_PKT5_S6_PT6_21rocsparse_index_base_b,@function
_ZN9rocsparseL18bsrxmvn_4x4_kernelILj128ELj64Efli18rocsparse_bfloat16S1_fEEvT3_20rocsparse_direction_NS_24const_host_device_scalarIT1_EES2_PKS2_PKT2_SB_S8_PKT4_PKT5_S6_PT6_21rocsparse_index_base_b: ; @_ZN9rocsparseL18bsrxmvn_4x4_kernelILj128ELj64Efli18rocsparse_bfloat16S1_fEEvT3_20rocsparse_direction_NS_24const_host_device_scalarIT1_EES2_PKS2_PKT2_SB_S8_PKT4_PKT5_S6_PT6_21rocsparse_index_base_b
; %bb.0:
	s_load_dwordx2 s[20:21], s[4:5], 0x58
	s_load_dwordx2 s[18:19], s[4:5], 0x8
	;; [unrolled: 1-line block ×3, first 2 shown]
	s_waitcnt lgkmcnt(0)
	s_bitcmp1_b32 s21, 0
	s_cselect_b64 s[2:3], -1, 0
	s_xor_b64 s[0:1], s[2:3], -1
	s_and_b64 vcc, exec, s[2:3]
	s_cbranch_vccnz .LBB114_2
; %bb.1:
	s_load_dword s18, s[18:19], 0x0
.LBB114_2:
	s_andn2_b64 vcc, exec, s[0:1]
	s_cbranch_vccnz .LBB114_4
; %bb.3:
	s_load_dword s16, s[16:17], 0x0
.LBB114_4:
	s_waitcnt lgkmcnt(0)
	v_cmp_neq_f32_e64 s[0:1], s18, 0
	v_cmp_neq_f32_e64 s[2:3], s16, 1.0
	s_or_b64 s[0:1], s[0:1], s[2:3]
	s_andn2_b64 vcc, exec, s[0:1]
	s_cbranch_vccnz .LBB114_10
; %bb.5:
	s_load_dwordx2 s[8:9], s[4:5], 0x18
	s_load_dwordx2 s[0:1], s[4:5], 0x0
	v_lshrrev_b32_e32 v1, 6, v0
	v_lshl_or_b32 v4, s6, 1, v1
	s_mov_b64 s[2:3], 0
	s_waitcnt lgkmcnt(0)
	s_cmp_lg_u64 s[8:9], 0
	s_cbranch_scc0 .LBB114_11
; %bb.6:
	s_load_dword s6, s[4:5], 0x10
                                        ; implicit-def: $vgpr1
	s_waitcnt lgkmcnt(0)
	v_cmp_gt_i32_e32 vcc, s6, v4
	s_and_saveexec_b64 s[6:7], vcc
	s_xor_b64 s[6:7], exec, s[6:7]
	s_cbranch_execz .LBB114_8
; %bb.7:
	v_ashrrev_i32_e32 v5, 31, v4
	v_lshlrev_b64 v[1:2], 2, v[4:5]
	v_mov_b32_e32 v3, s9
	v_add_co_u32_e32 v1, vcc, s8, v1
	v_addc_co_u32_e32 v2, vcc, v3, v2, vcc
	global_load_dword v1, v[1:2], off
	s_mov_b64 s[2:3], exec
	s_waitcnt vmcnt(0)
	v_subrev_u32_e32 v1, s20, v1
.LBB114_8:
	s_or_b64 exec, exec, s[6:7]
	s_branch .LBB114_12
.LBB114_9:
	v_cmp_gt_i32_e32 vcc, s0, v4
	s_andn2_b64 s[2:3], s[2:3], exec
	s_and_b64 s[6:7], vcc, exec
	s_or_b64 s[2:3], s[2:3], s[6:7]
	s_and_saveexec_b64 s[6:7], s[2:3]
	s_cbranch_execnz .LBB114_13
.LBB114_10:
	s_endpgm
.LBB114_11:
                                        ; implicit-def: $vgpr1
	s_cbranch_execnz .LBB114_9
.LBB114_12:
	v_mov_b32_e32 v4, v1
	s_and_saveexec_b64 s[6:7], s[2:3]
	s_cbranch_execz .LBB114_10
.LBB114_13:
	s_load_dwordx8 s[8:15], s[4:5], 0x20
	v_ashrrev_i32_e32 v5, 31, v4
	v_lshlrev_b64 v[1:2], 3, v[4:5]
	v_and_b32_e32 v21, 63, v0
	s_load_dwordx2 s[6:7], s[4:5], 0x40
	s_waitcnt lgkmcnt(0)
	v_mov_b32_e32 v3, s9
	v_add_co_u32_e32 v5, vcc, s8, v1
	v_addc_co_u32_e32 v6, vcc, v3, v2, vcc
	v_add_co_u32_e32 v3, vcc, 8, v5
	global_load_dwordx2 v[9:10], v[5:6], off
	v_addc_co_u32_e32 v5, vcc, 0, v6, vcc
	v_mov_b32_e32 v6, s11
	v_add_co_u32_e32 v1, vcc, s10, v1
	s_cmp_eq_u64 s[10:11], 0
	v_addc_co_u32_e32 v2, vcc, v6, v2, vcc
	s_cselect_b64 vcc, -1, 0
	v_cndmask_b32_e32 v2, v2, v5, vcc
	v_cndmask_b32_e32 v1, v1, v3, vcc
	global_load_dwordx2 v[2:3], v[1:2], off
	v_mov_b32_e32 v8, s15
	s_cmp_eq_u32 s1, 1
	v_mov_b32_e32 v7, 0
	s_waitcnt vmcnt(1)
	v_subrev_co_u32_e32 v0, vcc, s20, v9
	v_subbrev_co_u32_e32 v1, vcc, 0, v10, vcc
	v_add_co_u32_e32 v0, vcc, v0, v21
	v_addc_co_u32_e32 v1, vcc, 0, v1, vcc
	v_lshlrev_b64 v[5:6], 5, v[0:1]
	s_waitcnt vmcnt(0)
	v_subrev_co_u32_e32 v2, vcc, s20, v2
	v_subbrev_co_u32_e32 v3, vcc, 0, v3, vcc
	v_cmp_lt_i64_e64 s[0:1], v[0:1], v[2:3]
	v_add_co_u32_e32 v5, vcc, s14, v5
	v_addc_co_u32_e32 v6, vcc, v8, v6, vcc
	s_cbranch_scc1 .LBB114_25
; %bb.14:
	v_mov_b32_e32 v22, 0
	v_mov_b32_e32 v23, 0
	;; [unrolled: 1-line block ×3, first 2 shown]
	s_and_saveexec_b64 s[8:9], s[0:1]
	s_cbranch_execz .LBB114_24
; %bb.15:
	v_or_b32_e32 v7, 64, v21
	v_subrev_co_u32_e32 v7, vcc, s20, v7
	v_subb_co_u32_e64 v8, s[2:3], 0, 0, vcc
	v_add_co_u32_e32 v7, vcc, v7, v9
	v_addc_co_u32_e32 v8, vcc, v8, v10, vcc
	v_cmp_gt_i64_e32 vcc, v[7:8], v[2:3]
	v_not_b32_e32 v12, v9
	v_cndmask_b32_e32 v8, v3, v8, vcc
	v_cndmask_b32_e32 v7, v2, v7, vcc
	v_sub_co_u32_e32 v13, vcc, s20, v21
	v_not_b32_e32 v11, v10
	v_subb_co_u32_e64 v14, s[2:3], 0, 0, vcc
	v_add_co_u32_e32 v12, vcc, v13, v12
	v_addc_co_u32_e32 v11, vcc, v14, v11, vcc
	v_add_co_u32_e32 v15, vcc, v12, v7
	v_addc_co_u32_e32 v16, vcc, v11, v8, vcc
	v_and_b32_e32 v7, 0xc0, v15
	v_mov_b32_e32 v8, 0
	s_mov_b64 s[2:3], 0xc0
	v_cmp_ne_u64_e32 vcc, s[2:3], v[7:8]
	v_mov_b32_e32 v12, v1
	v_mov_b32_e32 v14, v6
	;; [unrolled: 1-line block ×7, first 2 shown]
	s_and_saveexec_b64 s[10:11], vcc
	s_cbranch_execz .LBB114_19
; %bb.16:
	v_lshlrev_b64 v[11:12], 2, v[0:1]
	v_lshrrev_b32_e32 v7, 6, v15
	v_add_u32_e32 v7, 1, v7
	v_mov_b32_e32 v13, s13
	v_add_co_u32_e32 v17, vcc, s12, v11
	v_and_b32_e32 v8, 3, v7
	v_addc_co_u32_e32 v18, vcc, v13, v12, vcc
	v_sub_co_u32_e32 v19, vcc, 0, v8
	v_mov_b32_e32 v14, v6
	v_mov_b32_e32 v12, v1
	;; [unrolled: 1-line block ×3, first 2 shown]
	s_mov_b64 s[14:15], 0
	v_subb_co_u32_e64 v20, s[2:3], 0, 0, vcc
	s_movk_i32 s17, 0x800
	v_mov_b32_e32 v24, s7
	v_mov_b32_e32 v13, v5
	;; [unrolled: 1-line block ×6, first 2 shown]
.LBB114_17:                             ; =>This Inner Loop Header: Depth=1
	global_load_dword v33, v[17:18], off
	global_load_dwordx4 v[25:28], v[13:14], off
	global_load_dwordx4 v[29:32], v[13:14], off offset:16
	s_waitcnt vmcnt(2)
	v_subrev_u32_e32 v33, s20, v33
	v_lshlrev_b32_e32 v33, 2, v33
	v_ashrrev_i32_e32 v34, 31, v33
	v_lshlrev_b64 v[33:34], 1, v[33:34]
	s_waitcnt vmcnt(1)
	v_lshlrev_b32_e32 v35, 16, v25
	v_add_co_u32_e32 v33, vcc, s6, v33
	v_addc_co_u32_e32 v34, vcc, v24, v34, vcc
	global_load_dwordx2 v[33:34], v[33:34], off
	v_add_co_u32_e32 v13, vcc, s17, v13
	s_mov_b64 s[2:3], vcc
	v_add_co_u32_e32 v11, vcc, 64, v11
	v_addc_co_u32_e32 v12, vcc, 0, v12, vcc
	v_add_co_u32_e32 v19, vcc, 1, v19
	v_lshlrev_b32_e32 v37, 16, v27
	s_waitcnt vmcnt(1)
	v_lshlrev_b32_e32 v39, 16, v29
	v_lshlrev_b32_e32 v41, 16, v31
	v_addc_co_u32_e32 v20, vcc, 0, v20, vcc
	v_addc_co_u32_e64 v14, s[2:3], 0, v14, s[2:3]
	v_and_b32_e32 v25, 0xffff0000, v25
	v_and_b32_e32 v27, 0xffff0000, v27
	;; [unrolled: 1-line block ×4, first 2 shown]
	v_cmp_eq_u64_e64 s[2:3], 0, v[19:20]
	v_lshlrev_b32_e32 v36, 16, v26
	v_lshlrev_b32_e32 v38, 16, v28
	;; [unrolled: 1-line block ×4, first 2 shown]
	v_add_co_u32_e32 v17, vcc, 0x100, v17
	v_and_b32_e32 v26, 0xffff0000, v26
	v_and_b32_e32 v28, 0xffff0000, v28
	;; [unrolled: 1-line block ×4, first 2 shown]
	v_addc_co_u32_e32 v18, vcc, 0, v18, vcc
	s_or_b64 s[14:15], s[2:3], s[14:15]
	s_waitcnt vmcnt(0)
	v_lshlrev_b32_e32 v43, 16, v33
	v_and_b32_e32 v33, 0xffff0000, v33
	v_fmac_f32_e32 v8, v35, v43
	v_fmac_f32_e32 v23, v37, v43
	;; [unrolled: 1-line block ×4, first 2 shown]
	v_lshlrev_b32_e32 v44, 16, v34
	v_fmac_f32_e32 v8, v25, v33
	v_fmac_f32_e32 v23, v27, v33
	v_fmac_f32_e32 v22, v29, v33
	v_fmac_f32_e32 v7, v31, v33
	v_and_b32_e32 v34, 0xffff0000, v34
	v_fmac_f32_e32 v8, v36, v44
	v_fmac_f32_e32 v23, v38, v44
	;; [unrolled: 1-line block ×8, first 2 shown]
	s_andn2_b64 exec, exec, s[14:15]
	s_cbranch_execnz .LBB114_17
; %bb.18:
	s_or_b64 exec, exec, s[14:15]
.LBB114_19:
	s_or_b64 exec, exec, s[10:11]
	s_mov_b64 s[2:3], 0xbf
	v_cmp_lt_u64_e32 vcc, s[2:3], v[15:16]
	s_and_saveexec_b64 s[10:11], vcc
	s_cbranch_execz .LBB114_23
; %bb.20:
	v_lshlrev_b64 v[15:16], 2, v[11:12]
	v_mov_b32_e32 v17, s13
	v_add_co_u32_e32 v15, vcc, s12, v15
	v_addc_co_u32_e32 v16, vcc, v17, v16, vcc
	v_add_co_u32_e32 v15, vcc, 0x200, v15
	v_addc_co_u32_e32 v16, vcc, 0, v16, vcc
	s_mov_b64 s[14:15], 0
	v_mov_b32_e32 v17, s7
	s_movk_i32 s17, 0x1000
.LBB114_21:                             ; =>This Inner Loop Header: Depth=1
	global_load_dword v18, v[15:16], off offset:-512
	global_load_dwordx4 v[24:27], v[13:14], off
	s_waitcnt vmcnt(1)
	v_subrev_u32_e32 v18, s20, v18
	v_lshlrev_b32_e32 v18, 2, v18
	v_ashrrev_i32_e32 v19, 31, v18
	v_lshlrev_b64 v[18:19], 1, v[18:19]
	s_waitcnt vmcnt(0)
	v_lshlrev_b32_e32 v20, 16, v24
	v_add_co_u32_e32 v18, vcc, s6, v18
	v_addc_co_u32_e32 v19, vcc, v17, v19, vcc
	global_load_dwordx2 v[18:19], v[18:19], off
	s_waitcnt vmcnt(0)
	v_lshlrev_b32_e32 v28, 16, v18
	v_fmac_f32_e32 v8, v20, v28
	v_and_b32_e32 v20, 0xffff0000, v24
	v_and_b32_e32 v18, 0xffff0000, v18
	v_fmac_f32_e32 v8, v20, v18
	v_lshlrev_b32_e32 v20, 16, v25
	v_lshlrev_b32_e32 v29, 16, v19
	v_fmac_f32_e32 v8, v20, v29
	v_and_b32_e32 v20, 0xffff0000, v25
	v_and_b32_e32 v19, 0xffff0000, v19
	v_fmac_f32_e32 v8, v20, v19
	v_lshlrev_b32_e32 v20, 16, v26
	v_fmac_f32_e32 v23, v20, v28
	v_and_b32_e32 v20, 0xffff0000, v26
	v_fmac_f32_e32 v23, v20, v18
	v_lshlrev_b32_e32 v20, 16, v27
	v_fmac_f32_e32 v23, v20, v29
	v_and_b32_e32 v20, 0xffff0000, v27
	global_load_dwordx4 v[24:27], v[13:14], off offset:16
	v_fmac_f32_e32 v23, v20, v19
	s_waitcnt vmcnt(0)
	v_lshlrev_b32_e32 v20, 16, v24
	v_fmac_f32_e32 v22, v20, v28
	v_and_b32_e32 v20, 0xffff0000, v24
	v_fmac_f32_e32 v22, v20, v18
	v_lshlrev_b32_e32 v20, 16, v25
	v_fmac_f32_e32 v22, v20, v29
	v_and_b32_e32 v20, 0xffff0000, v25
	v_fmac_f32_e32 v22, v20, v19
	;; [unrolled: 4-line block ×4, first 2 shown]
	global_load_dword v18, v[15:16], off offset:-256
	global_load_dwordx4 v[24:27], v[13:14], off offset:2048
	s_waitcnt vmcnt(1)
	v_subrev_u32_e32 v18, s20, v18
	v_lshlrev_b32_e32 v18, 2, v18
	v_ashrrev_i32_e32 v19, 31, v18
	v_lshlrev_b64 v[18:19], 1, v[18:19]
	s_waitcnt vmcnt(0)
	v_lshlrev_b32_e32 v20, 16, v24
	v_add_co_u32_e32 v18, vcc, s6, v18
	v_addc_co_u32_e32 v19, vcc, v17, v19, vcc
	global_load_dwordx2 v[18:19], v[18:19], off
	s_waitcnt vmcnt(0)
	v_lshlrev_b32_e32 v28, 16, v18
	v_fmac_f32_e32 v8, v20, v28
	v_and_b32_e32 v20, 0xffff0000, v24
	v_and_b32_e32 v18, 0xffff0000, v18
	v_fmac_f32_e32 v8, v20, v18
	v_lshlrev_b32_e32 v20, 16, v25
	v_lshlrev_b32_e32 v29, 16, v19
	v_fmac_f32_e32 v8, v20, v29
	v_and_b32_e32 v20, 0xffff0000, v25
	v_and_b32_e32 v19, 0xffff0000, v19
	v_fmac_f32_e32 v8, v20, v19
	v_lshlrev_b32_e32 v20, 16, v26
	v_fmac_f32_e32 v23, v20, v28
	v_and_b32_e32 v20, 0xffff0000, v26
	v_fmac_f32_e32 v23, v20, v18
	v_lshlrev_b32_e32 v20, 16, v27
	v_fmac_f32_e32 v23, v20, v29
	v_and_b32_e32 v20, 0xffff0000, v27
	global_load_dwordx4 v[24:27], v[13:14], off offset:2064
	v_fmac_f32_e32 v23, v20, v19
	s_waitcnt vmcnt(0)
	v_lshlrev_b32_e32 v20, 16, v24
	v_fmac_f32_e32 v22, v20, v28
	v_and_b32_e32 v20, 0xffff0000, v24
	v_fmac_f32_e32 v22, v20, v18
	v_lshlrev_b32_e32 v20, 16, v25
	v_fmac_f32_e32 v22, v20, v29
	v_and_b32_e32 v20, 0xffff0000, v25
	v_fmac_f32_e32 v22, v20, v19
	;; [unrolled: 4-line block ×3, first 2 shown]
	global_load_dword v20, v[15:16], off
	v_lshlrev_b32_e32 v18, 16, v27
	v_fmac_f32_e32 v7, v18, v29
	v_and_b32_e32 v18, 0xffff0000, v27
	v_fmac_f32_e32 v7, v18, v19
	v_add_co_u32_e32 v18, vcc, s17, v13
	v_addc_co_u32_e32 v19, vcc, 0, v14, vcc
	global_load_dwordx4 v[24:27], v[18:19], off
	s_waitcnt vmcnt(1)
	v_subrev_u32_e32 v20, s20, v20
	v_lshlrev_b32_e32 v28, 2, v20
	v_ashrrev_i32_e32 v29, 31, v28
	v_lshlrev_b64 v[28:29], 1, v[28:29]
	v_add_co_u32_e32 v28, vcc, s6, v28
	v_addc_co_u32_e32 v29, vcc, v17, v29, vcc
	global_load_dwordx2 v[28:29], v[28:29], off
	s_waitcnt vmcnt(1)
	v_lshlrev_b32_e32 v20, 16, v24
	s_waitcnt vmcnt(0)
	v_lshlrev_b32_e32 v30, 16, v28
	v_fmac_f32_e32 v8, v20, v30
	v_and_b32_e32 v20, 0xffff0000, v24
	v_and_b32_e32 v28, 0xffff0000, v28
	v_fmac_f32_e32 v8, v20, v28
	v_lshlrev_b32_e32 v20, 16, v25
	v_lshlrev_b32_e32 v31, 16, v29
	v_fmac_f32_e32 v8, v20, v31
	v_and_b32_e32 v20, 0xffff0000, v25
	v_and_b32_e32 v29, 0xffff0000, v29
	v_fmac_f32_e32 v8, v20, v29
	v_lshlrev_b32_e32 v20, 16, v26
	v_fmac_f32_e32 v23, v20, v30
	v_and_b32_e32 v20, 0xffff0000, v26
	v_fmac_f32_e32 v23, v20, v28
	v_lshlrev_b32_e32 v20, 16, v27
	v_fmac_f32_e32 v23, v20, v31
	v_and_b32_e32 v20, 0xffff0000, v27
	global_load_dwordx4 v[24:27], v[18:19], off offset:16
	v_fmac_f32_e32 v23, v20, v29
	s_waitcnt vmcnt(0)
	v_lshlrev_b32_e32 v20, 16, v24
	v_fmac_f32_e32 v22, v20, v30
	v_and_b32_e32 v20, 0xffff0000, v24
	v_fmac_f32_e32 v22, v20, v28
	v_lshlrev_b32_e32 v20, 16, v25
	v_fmac_f32_e32 v22, v20, v31
	v_and_b32_e32 v20, 0xffff0000, v25
	v_fmac_f32_e32 v22, v20, v29
	;; [unrolled: 4-line block ×4, first 2 shown]
	global_load_dword v20, v[15:16], off offset:256
	global_load_dwordx4 v[24:27], v[18:19], off offset:2048
	s_waitcnt vmcnt(1)
	v_subrev_u32_e32 v20, s20, v20
	v_lshlrev_b32_e32 v28, 2, v20
	v_ashrrev_i32_e32 v29, 31, v28
	v_lshlrev_b64 v[28:29], 1, v[28:29]
	s_waitcnt vmcnt(0)
	v_lshlrev_b32_e32 v20, 16, v24
	v_add_co_u32_e32 v28, vcc, s6, v28
	v_addc_co_u32_e32 v29, vcc, v17, v29, vcc
	global_load_dwordx2 v[28:29], v[28:29], off
	v_add_co_u32_e32 v11, vcc, 0x100, v11
	v_addc_co_u32_e32 v12, vcc, 0, v12, vcc
	v_add_co_u32_e32 v15, vcc, 0x400, v15
	v_addc_co_u32_e32 v16, vcc, 0, v16, vcc
	v_cmp_ge_i64_e64 s[2:3], v[11:12], v[2:3]
	v_add_co_u32_e32 v13, vcc, 0x2000, v13
	v_addc_co_u32_e32 v14, vcc, 0, v14, vcc
	s_or_b64 s[14:15], s[2:3], s[14:15]
	s_waitcnt vmcnt(0)
	v_lshlrev_b32_e32 v30, 16, v28
	v_fmac_f32_e32 v8, v20, v30
	v_and_b32_e32 v20, 0xffff0000, v24
	v_and_b32_e32 v28, 0xffff0000, v28
	v_fmac_f32_e32 v8, v20, v28
	v_lshlrev_b32_e32 v20, 16, v25
	v_lshlrev_b32_e32 v31, 16, v29
	v_fmac_f32_e32 v8, v20, v31
	v_and_b32_e32 v20, 0xffff0000, v25
	v_and_b32_e32 v29, 0xffff0000, v29
	v_fmac_f32_e32 v8, v20, v29
	v_lshlrev_b32_e32 v20, 16, v26
	v_fmac_f32_e32 v23, v20, v30
	v_and_b32_e32 v20, 0xffff0000, v26
	v_fmac_f32_e32 v23, v20, v28
	v_lshlrev_b32_e32 v20, 16, v27
	v_fmac_f32_e32 v23, v20, v31
	v_and_b32_e32 v20, 0xffff0000, v27
	global_load_dwordx4 v[24:27], v[18:19], off offset:2064
	v_fmac_f32_e32 v23, v20, v29
	s_waitcnt vmcnt(0)
	v_lshlrev_b32_e32 v18, 16, v24
	v_fmac_f32_e32 v22, v18, v30
	v_and_b32_e32 v18, 0xffff0000, v24
	v_fmac_f32_e32 v22, v18, v28
	v_lshlrev_b32_e32 v18, 16, v25
	v_fmac_f32_e32 v22, v18, v31
	v_and_b32_e32 v18, 0xffff0000, v25
	v_fmac_f32_e32 v22, v18, v29
	v_lshlrev_b32_e32 v18, 16, v26
	v_fmac_f32_e32 v7, v18, v30
	v_and_b32_e32 v18, 0xffff0000, v26
	v_fmac_f32_e32 v7, v18, v28
	v_lshlrev_b32_e32 v18, 16, v27
	v_fmac_f32_e32 v7, v18, v31
	v_and_b32_e32 v18, 0xffff0000, v27
	v_fmac_f32_e32 v7, v18, v29
	s_andn2_b64 exec, exec, s[14:15]
	s_cbranch_execnz .LBB114_21
; %bb.22:
	s_or_b64 exec, exec, s[14:15]
.LBB114_23:
	s_or_b64 exec, exec, s[10:11]
.LBB114_24:
	s_or_b64 exec, exec, s[8:9]
	s_cbranch_execz .LBB114_26
	s_branch .LBB114_37
.LBB114_25:
                                        ; implicit-def: $vgpr7
                                        ; implicit-def: $vgpr22
                                        ; implicit-def: $vgpr23
                                        ; implicit-def: $vgpr8
.LBB114_26:
	v_mov_b32_e32 v7, 0
	v_mov_b32_e32 v22, 0
	;; [unrolled: 1-line block ×4, first 2 shown]
	s_and_saveexec_b64 s[2:3], s[0:1]
	s_cbranch_execz .LBB114_36
; %bb.27:
	v_or_b32_e32 v7, 64, v21
	v_subrev_co_u32_e32 v7, vcc, s20, v7
	v_subb_co_u32_e64 v8, s[0:1], 0, 0, vcc
	v_add_co_u32_e32 v7, vcc, v7, v9
	v_addc_co_u32_e32 v8, vcc, v8, v10, vcc
	v_cmp_gt_i64_e32 vcc, v[7:8], v[2:3]
	v_not_b32_e32 v9, v9
	v_cndmask_b32_e32 v8, v3, v8, vcc
	v_cndmask_b32_e32 v7, v2, v7, vcc
	v_sub_co_u32_e32 v11, vcc, s20, v21
	v_not_b32_e32 v10, v10
	v_subb_co_u32_e64 v12, s[0:1], 0, 0, vcc
	v_add_co_u32_e32 v9, vcc, v11, v9
	v_addc_co_u32_e32 v10, vcc, v12, v10, vcc
	v_add_co_u32_e32 v9, vcc, v9, v7
	v_addc_co_u32_e32 v10, vcc, v10, v8, vcc
	v_and_b32_e32 v7, 0xc0, v9
	v_mov_b32_e32 v8, 0
	s_mov_b64 s[0:1], 0xc0
	v_cmp_ne_u64_e32 vcc, s[0:1], v[7:8]
	v_mov_b32_e32 v23, v8
	v_mov_b32_e32 v22, v8
	;; [unrolled: 1-line block ×3, first 2 shown]
	s_and_saveexec_b64 s[8:9], vcc
	s_cbranch_execz .LBB114_31
; %bb.28:
	v_lshlrev_b64 v[11:12], 2, v[0:1]
	v_lshrrev_b32_e32 v7, 6, v9
	v_add_u32_e32 v7, 1, v7
	v_mov_b32_e32 v13, s13
	v_add_co_u32_e32 v11, vcc, s12, v11
	v_and_b32_e32 v8, 3, v7
	v_addc_co_u32_e32 v12, vcc, v13, v12, vcc
	v_sub_co_u32_e32 v13, vcc, 0, v8
	v_mov_b32_e32 v7, 0
	s_mov_b64 s[10:11], 0
	v_subb_co_u32_e64 v14, s[0:1], 0, 0, vcc
	s_movk_i32 s14, 0x800
	v_mov_b32_e32 v15, s7
	v_mov_b32_e32 v22, 0
	;; [unrolled: 1-line block ×4, first 2 shown]
.LBB114_29:                             ; =>This Inner Loop Header: Depth=1
	global_load_dword v20, v[11:12], off
	global_load_dwordx4 v[16:19], v[5:6], off
	v_add_co_u32_e64 v0, s[0:1], 64, v0
	v_addc_co_u32_e64 v1, s[0:1], 0, v1, s[0:1]
	v_add_co_u32_e64 v13, s[0:1], 1, v13
	v_addc_co_u32_e64 v14, s[0:1], 0, v14, s[0:1]
	v_cmp_eq_u64_e64 s[0:1], 0, v[13:14]
	s_or_b64 s[10:11], s[0:1], s[10:11]
	s_waitcnt vmcnt(1)
	v_subrev_u32_e32 v20, s20, v20
	v_lshlrev_b32_e32 v24, 2, v20
	v_ashrrev_i32_e32 v25, 31, v24
	v_lshlrev_b64 v[24:25], 1, v[24:25]
	s_waitcnt vmcnt(0)
	v_lshlrev_b32_e32 v20, 16, v16
	v_add_co_u32_e32 v28, vcc, s6, v24
	v_addc_co_u32_e32 v29, vcc, v15, v25, vcc
	global_load_dwordx2 v[30:31], v[28:29], off
	global_load_dwordx4 v[24:27], v[5:6], off offset:16
	v_and_b32_e32 v16, 0xffff0000, v16
	v_lshlrev_b32_e32 v28, 16, v17
	v_and_b32_e32 v17, 0xffff0000, v17
	v_add_co_u32_e32 v5, vcc, s14, v5
	v_lshlrev_b32_e32 v29, 16, v18
	v_and_b32_e32 v18, 0xffff0000, v18
	v_lshlrev_b32_e32 v32, 16, v19
	v_and_b32_e32 v19, 0xffff0000, v19
	v_addc_co_u32_e32 v6, vcc, 0, v6, vcc
	v_add_co_u32_e32 v11, vcc, 0x100, v11
	v_addc_co_u32_e32 v12, vcc, 0, v12, vcc
	s_waitcnt vmcnt(1)
	v_lshlrev_b32_e32 v37, 16, v30
	v_and_b32_e32 v30, 0xffff0000, v30
	v_fmac_f32_e32 v8, v20, v37
	v_fmac_f32_e32 v23, v16, v37
	;; [unrolled: 1-line block ×4, first 2 shown]
	s_waitcnt vmcnt(0)
	v_lshlrev_b32_e32 v33, 16, v24
	v_and_b32_e32 v24, 0xffff0000, v24
	v_lshlrev_b32_e32 v34, 16, v25
	v_and_b32_e32 v25, 0xffff0000, v25
	v_lshlrev_b32_e32 v38, 16, v31
	v_fmac_f32_e32 v8, v29, v30
	v_fmac_f32_e32 v23, v18, v30
	;; [unrolled: 1-line block ×4, first 2 shown]
	v_lshlrev_b32_e32 v35, 16, v26
	v_and_b32_e32 v26, 0xffff0000, v26
	v_lshlrev_b32_e32 v36, 16, v27
	v_and_b32_e32 v27, 0xffff0000, v27
	v_and_b32_e32 v31, 0xffff0000, v31
	v_fmac_f32_e32 v8, v33, v38
	v_fmac_f32_e32 v23, v24, v38
	;; [unrolled: 1-line block ×8, first 2 shown]
	s_andn2_b64 exec, exec, s[10:11]
	s_cbranch_execnz .LBB114_29
; %bb.30:
	s_or_b64 exec, exec, s[10:11]
.LBB114_31:
	s_or_b64 exec, exec, s[8:9]
	s_mov_b64 s[0:1], 0xbf
	v_cmp_lt_u64_e32 vcc, s[0:1], v[9:10]
	s_and_saveexec_b64 s[8:9], vcc
	s_cbranch_execz .LBB114_35
; %bb.32:
	v_lshlrev_b64 v[9:10], 2, v[0:1]
	v_mov_b32_e32 v11, s13
	v_add_co_u32_e32 v9, vcc, s12, v9
	v_addc_co_u32_e32 v10, vcc, v11, v10, vcc
	v_add_co_u32_e32 v9, vcc, 0x200, v9
	v_addc_co_u32_e32 v10, vcc, 0, v10, vcc
	s_mov_b64 s[10:11], 0
	v_mov_b32_e32 v11, s7
	s_movk_i32 s7, 0x1000
.LBB114_33:                             ; =>This Inner Loop Header: Depth=1
	global_load_dword v12, v[9:10], off offset:-512
	s_waitcnt vmcnt(0)
	v_subrev_u32_e32 v12, s20, v12
	v_lshlrev_b32_e32 v16, 2, v12
	v_ashrrev_i32_e32 v17, 31, v16
	v_lshlrev_b64 v[16:17], 1, v[16:17]
	global_load_dwordx4 v[12:15], v[5:6], off
	v_add_co_u32_e32 v16, vcc, s6, v16
	v_addc_co_u32_e32 v17, vcc, v11, v17, vcc
	global_load_dwordx2 v[16:17], v[16:17], off
	s_waitcnt vmcnt(1)
	v_lshlrev_b32_e32 v18, 16, v12
	v_and_b32_e32 v12, 0xffff0000, v12
	s_waitcnt vmcnt(0)
	v_lshlrev_b32_e32 v19, 16, v16
	v_fmac_f32_e32 v23, v12, v19
	v_lshlrev_b32_e32 v12, 16, v13
	v_fmac_f32_e32 v22, v12, v19
	v_and_b32_e32 v12, 0xffff0000, v13
	v_fmac_f32_e32 v8, v18, v19
	v_fmac_f32_e32 v7, v12, v19
	v_lshlrev_b32_e32 v12, 16, v14
	v_and_b32_e32 v13, 0xffff0000, v16
	v_fmac_f32_e32 v8, v12, v13
	v_and_b32_e32 v12, 0xffff0000, v14
	v_fmac_f32_e32 v23, v12, v13
	v_lshlrev_b32_e32 v12, 16, v15
	v_fmac_f32_e32 v22, v12, v13
	v_and_b32_e32 v12, 0xffff0000, v15
	v_fmac_f32_e32 v7, v12, v13
	global_load_dwordx4 v[12:15], v[5:6], off offset:16
	v_lshlrev_b32_e32 v18, 16, v17
	s_waitcnt vmcnt(0)
	v_lshlrev_b32_e32 v16, 16, v12
	v_and_b32_e32 v12, 0xffff0000, v12
	v_fmac_f32_e32 v23, v12, v18
	v_lshlrev_b32_e32 v12, 16, v13
	v_fmac_f32_e32 v22, v12, v18
	v_and_b32_e32 v12, 0xffff0000, v13
	v_fmac_f32_e32 v8, v16, v18
	v_fmac_f32_e32 v7, v12, v18
	v_lshlrev_b32_e32 v12, 16, v14
	v_and_b32_e32 v13, 0xffff0000, v17
	v_fmac_f32_e32 v8, v12, v13
	v_and_b32_e32 v12, 0xffff0000, v14
	v_fmac_f32_e32 v23, v12, v13
	v_lshlrev_b32_e32 v12, 16, v15
	v_fmac_f32_e32 v22, v12, v13
	v_and_b32_e32 v12, 0xffff0000, v15
	v_fmac_f32_e32 v7, v12, v13
	global_load_dword v12, v[9:10], off offset:-256
	s_waitcnt vmcnt(0)
	v_subrev_u32_e32 v12, s20, v12
	v_lshlrev_b32_e32 v16, 2, v12
	v_ashrrev_i32_e32 v17, 31, v16
	v_lshlrev_b64 v[16:17], 1, v[16:17]
	global_load_dwordx4 v[12:15], v[5:6], off offset:2048
	v_add_co_u32_e32 v16, vcc, s6, v16
	v_addc_co_u32_e32 v17, vcc, v11, v17, vcc
	global_load_dwordx2 v[16:17], v[16:17], off
	s_waitcnt vmcnt(1)
	v_lshlrev_b32_e32 v18, 16, v12
	v_and_b32_e32 v12, 0xffff0000, v12
	s_waitcnt vmcnt(0)
	v_lshlrev_b32_e32 v19, 16, v16
	v_fmac_f32_e32 v23, v12, v19
	v_lshlrev_b32_e32 v12, 16, v13
	v_fmac_f32_e32 v22, v12, v19
	v_and_b32_e32 v12, 0xffff0000, v13
	v_fmac_f32_e32 v8, v18, v19
	v_fmac_f32_e32 v7, v12, v19
	v_lshlrev_b32_e32 v12, 16, v14
	v_and_b32_e32 v13, 0xffff0000, v16
	v_fmac_f32_e32 v8, v12, v13
	v_and_b32_e32 v12, 0xffff0000, v14
	v_fmac_f32_e32 v23, v12, v13
	v_lshlrev_b32_e32 v12, 16, v15
	v_fmac_f32_e32 v22, v12, v13
	v_and_b32_e32 v12, 0xffff0000, v15
	v_fmac_f32_e32 v7, v12, v13
	global_load_dwordx4 v[12:15], v[5:6], off offset:2064
	v_lshlrev_b32_e32 v18, 16, v17
	s_waitcnt vmcnt(0)
	v_lshlrev_b32_e32 v16, 16, v12
	v_and_b32_e32 v12, 0xffff0000, v12
	v_fmac_f32_e32 v23, v12, v18
	v_lshlrev_b32_e32 v12, 16, v13
	v_fmac_f32_e32 v22, v12, v18
	v_and_b32_e32 v12, 0xffff0000, v13
	v_fmac_f32_e32 v8, v16, v18
	v_fmac_f32_e32 v7, v12, v18
	v_lshlrev_b32_e32 v12, 16, v14
	v_and_b32_e32 v13, 0xffff0000, v17
	v_fmac_f32_e32 v8, v12, v13
	v_and_b32_e32 v12, 0xffff0000, v14
	v_fmac_f32_e32 v23, v12, v13
	v_lshlrev_b32_e32 v12, 16, v15
	v_fmac_f32_e32 v22, v12, v13
	v_and_b32_e32 v12, 0xffff0000, v15
	v_fmac_f32_e32 v7, v12, v13
	global_load_dword v12, v[9:10], off
	v_add_co_u32_e32 v16, vcc, s7, v5
	v_addc_co_u32_e32 v17, vcc, 0, v6, vcc
	s_waitcnt vmcnt(0)
	v_subrev_u32_e32 v12, s20, v12
	v_lshlrev_b32_e32 v18, 2, v12
	v_ashrrev_i32_e32 v19, 31, v18
	v_lshlrev_b64 v[18:19], 1, v[18:19]
	global_load_dwordx4 v[12:15], v[16:17], off
	v_add_co_u32_e32 v18, vcc, s6, v18
	v_addc_co_u32_e32 v19, vcc, v11, v19, vcc
	global_load_dwordx2 v[18:19], v[18:19], off
	s_waitcnt vmcnt(1)
	v_lshlrev_b32_e32 v20, 16, v12
	v_and_b32_e32 v12, 0xffff0000, v12
	s_waitcnt vmcnt(0)
	v_lshlrev_b32_e32 v24, 16, v18
	v_fmac_f32_e32 v23, v12, v24
	v_lshlrev_b32_e32 v12, 16, v13
	v_fmac_f32_e32 v22, v12, v24
	v_and_b32_e32 v12, 0xffff0000, v13
	v_fmac_f32_e32 v8, v20, v24
	v_fmac_f32_e32 v7, v12, v24
	v_lshlrev_b32_e32 v12, 16, v14
	v_and_b32_e32 v13, 0xffff0000, v18
	v_fmac_f32_e32 v8, v12, v13
	v_and_b32_e32 v12, 0xffff0000, v14
	v_fmac_f32_e32 v23, v12, v13
	v_lshlrev_b32_e32 v12, 16, v15
	v_fmac_f32_e32 v22, v12, v13
	v_and_b32_e32 v12, 0xffff0000, v15
	v_fmac_f32_e32 v7, v12, v13
	global_load_dwordx4 v[12:15], v[16:17], off offset:16
	v_lshlrev_b32_e32 v20, 16, v19
	s_waitcnt vmcnt(0)
	v_lshlrev_b32_e32 v18, 16, v12
	v_and_b32_e32 v12, 0xffff0000, v12
	v_fmac_f32_e32 v23, v12, v20
	v_lshlrev_b32_e32 v12, 16, v13
	v_fmac_f32_e32 v22, v12, v20
	v_and_b32_e32 v12, 0xffff0000, v13
	v_fmac_f32_e32 v8, v18, v20
	v_fmac_f32_e32 v7, v12, v20
	v_lshlrev_b32_e32 v12, 16, v14
	v_and_b32_e32 v13, 0xffff0000, v19
	v_fmac_f32_e32 v8, v12, v13
	v_and_b32_e32 v12, 0xffff0000, v14
	v_fmac_f32_e32 v23, v12, v13
	v_lshlrev_b32_e32 v12, 16, v15
	v_fmac_f32_e32 v22, v12, v13
	v_and_b32_e32 v12, 0xffff0000, v15
	v_fmac_f32_e32 v7, v12, v13
	global_load_dword v12, v[9:10], off offset:256
	s_waitcnt vmcnt(0)
	v_subrev_u32_e32 v12, s20, v12
	v_lshlrev_b32_e32 v18, 2, v12
	v_ashrrev_i32_e32 v19, 31, v18
	v_lshlrev_b64 v[18:19], 1, v[18:19]
	global_load_dwordx4 v[12:15], v[16:17], off offset:2048
	v_add_co_u32_e32 v18, vcc, s6, v18
	v_addc_co_u32_e32 v19, vcc, v11, v19, vcc
	global_load_dwordx2 v[18:19], v[18:19], off
	v_add_co_u32_e32 v0, vcc, 0x100, v0
	v_addc_co_u32_e32 v1, vcc, 0, v1, vcc
	v_add_co_u32_e32 v9, vcc, 0x400, v9
	v_addc_co_u32_e32 v10, vcc, 0, v10, vcc
	v_cmp_ge_i64_e64 s[0:1], v[0:1], v[2:3]
	v_add_co_u32_e32 v5, vcc, 0x2000, v5
	v_addc_co_u32_e32 v6, vcc, 0, v6, vcc
	s_or_b64 s[10:11], s[0:1], s[10:11]
	s_waitcnt vmcnt(1)
	v_lshlrev_b32_e32 v20, 16, v12
	v_and_b32_e32 v12, 0xffff0000, v12
	s_waitcnt vmcnt(0)
	v_lshlrev_b32_e32 v24, 16, v18
	v_fmac_f32_e32 v23, v12, v24
	v_lshlrev_b32_e32 v12, 16, v13
	v_fmac_f32_e32 v22, v12, v24
	v_and_b32_e32 v12, 0xffff0000, v13
	v_fmac_f32_e32 v8, v20, v24
	v_fmac_f32_e32 v7, v12, v24
	v_lshlrev_b32_e32 v12, 16, v14
	v_and_b32_e32 v13, 0xffff0000, v18
	v_fmac_f32_e32 v8, v12, v13
	v_and_b32_e32 v12, 0xffff0000, v14
	v_fmac_f32_e32 v23, v12, v13
	v_lshlrev_b32_e32 v12, 16, v15
	v_fmac_f32_e32 v22, v12, v13
	v_and_b32_e32 v12, 0xffff0000, v15
	v_fmac_f32_e32 v7, v12, v13
	global_load_dwordx4 v[12:15], v[16:17], off offset:2064
	v_lshlrev_b32_e32 v17, 16, v19
	s_waitcnt vmcnt(0)
	v_lshlrev_b32_e32 v16, 16, v12
	v_and_b32_e32 v12, 0xffff0000, v12
	v_fmac_f32_e32 v23, v12, v17
	v_lshlrev_b32_e32 v12, 16, v13
	v_fmac_f32_e32 v22, v12, v17
	v_and_b32_e32 v12, 0xffff0000, v13
	v_fmac_f32_e32 v8, v16, v17
	v_fmac_f32_e32 v7, v12, v17
	v_lshlrev_b32_e32 v12, 16, v14
	v_and_b32_e32 v13, 0xffff0000, v19
	v_fmac_f32_e32 v8, v12, v13
	v_and_b32_e32 v12, 0xffff0000, v14
	v_fmac_f32_e32 v23, v12, v13
	v_lshlrev_b32_e32 v12, 16, v15
	v_fmac_f32_e32 v22, v12, v13
	v_and_b32_e32 v12, 0xffff0000, v15
	v_fmac_f32_e32 v7, v12, v13
	s_andn2_b64 exec, exec, s[10:11]
	s_cbranch_execnz .LBB114_33
; %bb.34:
	s_or_b64 exec, exec, s[10:11]
.LBB114_35:
	s_or_b64 exec, exec, s[8:9]
.LBB114_36:
	s_or_b64 exec, exec, s[2:3]
.LBB114_37:
	v_mov_b32_dpp v0, v8 row_shr:1 row_mask:0xf bank_mask:0xf
	v_add_f32_e32 v0, v8, v0
	v_mov_b32_dpp v2, v23 row_shr:1 row_mask:0xf bank_mask:0xf
	v_mov_b32_dpp v5, v22 row_shr:1 row_mask:0xf bank_mask:0xf
	;; [unrolled: 1-line block ×3, first 2 shown]
	v_add_f32_e32 v2, v23, v2
	v_add_f32_e32 v5, v22, v5
	v_add_f32_e32 v7, v7, v8
	v_mov_b32_dpp v1, v0 row_shr:2 row_mask:0xf bank_mask:0xf
	v_mov_b32_dpp v3, v2 row_shr:2 row_mask:0xf bank_mask:0xf
	v_mov_b32_dpp v6, v5 row_shr:2 row_mask:0xf bank_mask:0xf
	v_mov_b32_dpp v8, v7 row_shr:2 row_mask:0xf bank_mask:0xf
	v_add_f32_e32 v0, v0, v1
	v_add_f32_e32 v2, v2, v3
	v_add_f32_e32 v5, v5, v6
	v_add_f32_e32 v7, v7, v8
	v_mov_b32_dpp v1, v0 row_shr:4 row_mask:0xf bank_mask:0xe
	v_mov_b32_dpp v3, v2 row_shr:4 row_mask:0xf bank_mask:0xe
	v_mov_b32_dpp v6, v5 row_shr:4 row_mask:0xf bank_mask:0xe
	v_mov_b32_dpp v8, v7 row_shr:4 row_mask:0xf bank_mask:0xe
	v_add_f32_e32 v0, v0, v1
	;; [unrolled: 8-line block ×3, first 2 shown]
	v_add_f32_e32 v2, v2, v3
	v_add_f32_e32 v5, v5, v6
	;; [unrolled: 1-line block ×3, first 2 shown]
	v_mov_b32_dpp v1, v0 row_bcast:15 row_mask:0xa bank_mask:0xf
	v_mov_b32_dpp v3, v2 row_bcast:15 row_mask:0xa bank_mask:0xf
	;; [unrolled: 1-line block ×4, first 2 shown]
	v_add_f32_e32 v0, v0, v1
	v_add_f32_e32 v2, v2, v3
	;; [unrolled: 1-line block ×4, first 2 shown]
	v_mov_b32_dpp v1, v0 row_bcast:31 row_mask:0xc bank_mask:0xf
	v_mov_b32_dpp v3, v2 row_bcast:31 row_mask:0xc bank_mask:0xf
	;; [unrolled: 1-line block ×4, first 2 shown]
	v_cmp_eq_u32_e32 vcc, 63, v21
	s_and_b64 exec, exec, vcc
	s_cbranch_execz .LBB114_10
; %bb.38:
	s_load_dwordx2 s[0:1], s[4:5], 0x50
	v_add_f32_e32 v0, v0, v1
	v_add_f32_e32 v1, v2, v3
	;; [unrolled: 1-line block ×4, first 2 shown]
	v_cmp_eq_f32_e64 s[2:3], s16, 0
	s_and_b64 vcc, exec, s[2:3]
	v_mul_f32_e32 v0, s18, v0
	v_mul_f32_e32 v1, s18, v1
	;; [unrolled: 1-line block ×4, first 2 shown]
	v_lshlrev_b32_e32 v4, 2, v4
	s_cbranch_vccz .LBB114_40
; %bb.39:
	v_ashrrev_i32_e32 v5, 31, v4
	v_lshlrev_b64 v[5:6], 2, v[4:5]
	s_waitcnt lgkmcnt(0)
	v_mov_b32_e32 v7, s1
	v_add_co_u32_e32 v5, vcc, s0, v5
	v_addc_co_u32_e32 v6, vcc, v7, v6, vcc
	global_store_dwordx4 v[5:6], v[0:3], off
	s_cbranch_execnz .LBB114_10
	s_branch .LBB114_41
.LBB114_40:
.LBB114_41:
	v_ashrrev_i32_e32 v5, 31, v4
	v_lshlrev_b64 v[4:5], 2, v[4:5]
	s_waitcnt lgkmcnt(0)
	v_mov_b32_e32 v6, s1
	v_add_co_u32_e32 v8, vcc, s0, v4
	v_addc_co_u32_e32 v9, vcc, v6, v5, vcc
	global_load_dwordx4 v[4:7], v[8:9], off
	s_waitcnt vmcnt(0)
	v_fmac_f32_e32 v0, s16, v4
	v_fmac_f32_e32 v1, s16, v5
	;; [unrolled: 1-line block ×4, first 2 shown]
	global_store_dwordx4 v[8:9], v[0:3], off
	s_endpgm
	.section	.rodata,"a",@progbits
	.p2align	6, 0x0
	.amdhsa_kernel _ZN9rocsparseL18bsrxmvn_4x4_kernelILj128ELj64Efli18rocsparse_bfloat16S1_fEEvT3_20rocsparse_direction_NS_24const_host_device_scalarIT1_EES2_PKS2_PKT2_SB_S8_PKT4_PKT5_S6_PT6_21rocsparse_index_base_b
		.amdhsa_group_segment_fixed_size 0
		.amdhsa_private_segment_fixed_size 0
		.amdhsa_kernarg_size 96
		.amdhsa_user_sgpr_count 6
		.amdhsa_user_sgpr_private_segment_buffer 1
		.amdhsa_user_sgpr_dispatch_ptr 0
		.amdhsa_user_sgpr_queue_ptr 0
		.amdhsa_user_sgpr_kernarg_segment_ptr 1
		.amdhsa_user_sgpr_dispatch_id 0
		.amdhsa_user_sgpr_flat_scratch_init 0
		.amdhsa_user_sgpr_private_segment_size 0
		.amdhsa_uses_dynamic_stack 0
		.amdhsa_system_sgpr_private_segment_wavefront_offset 0
		.amdhsa_system_sgpr_workgroup_id_x 1
		.amdhsa_system_sgpr_workgroup_id_y 0
		.amdhsa_system_sgpr_workgroup_id_z 0
		.amdhsa_system_sgpr_workgroup_info 0
		.amdhsa_system_vgpr_workitem_id 0
		.amdhsa_next_free_vgpr 45
		.amdhsa_next_free_sgpr 22
		.amdhsa_reserve_vcc 1
		.amdhsa_reserve_flat_scratch 0
		.amdhsa_float_round_mode_32 0
		.amdhsa_float_round_mode_16_64 0
		.amdhsa_float_denorm_mode_32 3
		.amdhsa_float_denorm_mode_16_64 3
		.amdhsa_dx10_clamp 1
		.amdhsa_ieee_mode 1
		.amdhsa_fp16_overflow 0
		.amdhsa_exception_fp_ieee_invalid_op 0
		.amdhsa_exception_fp_denorm_src 0
		.amdhsa_exception_fp_ieee_div_zero 0
		.amdhsa_exception_fp_ieee_overflow 0
		.amdhsa_exception_fp_ieee_underflow 0
		.amdhsa_exception_fp_ieee_inexact 0
		.amdhsa_exception_int_div_zero 0
	.end_amdhsa_kernel
	.section	.text._ZN9rocsparseL18bsrxmvn_4x4_kernelILj128ELj64Efli18rocsparse_bfloat16S1_fEEvT3_20rocsparse_direction_NS_24const_host_device_scalarIT1_EES2_PKS2_PKT2_SB_S8_PKT4_PKT5_S6_PT6_21rocsparse_index_base_b,"axG",@progbits,_ZN9rocsparseL18bsrxmvn_4x4_kernelILj128ELj64Efli18rocsparse_bfloat16S1_fEEvT3_20rocsparse_direction_NS_24const_host_device_scalarIT1_EES2_PKS2_PKT2_SB_S8_PKT4_PKT5_S6_PT6_21rocsparse_index_base_b,comdat
.Lfunc_end114:
	.size	_ZN9rocsparseL18bsrxmvn_4x4_kernelILj128ELj64Efli18rocsparse_bfloat16S1_fEEvT3_20rocsparse_direction_NS_24const_host_device_scalarIT1_EES2_PKS2_PKT2_SB_S8_PKT4_PKT5_S6_PT6_21rocsparse_index_base_b, .Lfunc_end114-_ZN9rocsparseL18bsrxmvn_4x4_kernelILj128ELj64Efli18rocsparse_bfloat16S1_fEEvT3_20rocsparse_direction_NS_24const_host_device_scalarIT1_EES2_PKS2_PKT2_SB_S8_PKT4_PKT5_S6_PT6_21rocsparse_index_base_b
                                        ; -- End function
	.set _ZN9rocsparseL18bsrxmvn_4x4_kernelILj128ELj64Efli18rocsparse_bfloat16S1_fEEvT3_20rocsparse_direction_NS_24const_host_device_scalarIT1_EES2_PKS2_PKT2_SB_S8_PKT4_PKT5_S6_PT6_21rocsparse_index_base_b.num_vgpr, 45
	.set _ZN9rocsparseL18bsrxmvn_4x4_kernelILj128ELj64Efli18rocsparse_bfloat16S1_fEEvT3_20rocsparse_direction_NS_24const_host_device_scalarIT1_EES2_PKS2_PKT2_SB_S8_PKT4_PKT5_S6_PT6_21rocsparse_index_base_b.num_agpr, 0
	.set _ZN9rocsparseL18bsrxmvn_4x4_kernelILj128ELj64Efli18rocsparse_bfloat16S1_fEEvT3_20rocsparse_direction_NS_24const_host_device_scalarIT1_EES2_PKS2_PKT2_SB_S8_PKT4_PKT5_S6_PT6_21rocsparse_index_base_b.numbered_sgpr, 22
	.set _ZN9rocsparseL18bsrxmvn_4x4_kernelILj128ELj64Efli18rocsparse_bfloat16S1_fEEvT3_20rocsparse_direction_NS_24const_host_device_scalarIT1_EES2_PKS2_PKT2_SB_S8_PKT4_PKT5_S6_PT6_21rocsparse_index_base_b.num_named_barrier, 0
	.set _ZN9rocsparseL18bsrxmvn_4x4_kernelILj128ELj64Efli18rocsparse_bfloat16S1_fEEvT3_20rocsparse_direction_NS_24const_host_device_scalarIT1_EES2_PKS2_PKT2_SB_S8_PKT4_PKT5_S6_PT6_21rocsparse_index_base_b.private_seg_size, 0
	.set _ZN9rocsparseL18bsrxmvn_4x4_kernelILj128ELj64Efli18rocsparse_bfloat16S1_fEEvT3_20rocsparse_direction_NS_24const_host_device_scalarIT1_EES2_PKS2_PKT2_SB_S8_PKT4_PKT5_S6_PT6_21rocsparse_index_base_b.uses_vcc, 1
	.set _ZN9rocsparseL18bsrxmvn_4x4_kernelILj128ELj64Efli18rocsparse_bfloat16S1_fEEvT3_20rocsparse_direction_NS_24const_host_device_scalarIT1_EES2_PKS2_PKT2_SB_S8_PKT4_PKT5_S6_PT6_21rocsparse_index_base_b.uses_flat_scratch, 0
	.set _ZN9rocsparseL18bsrxmvn_4x4_kernelILj128ELj64Efli18rocsparse_bfloat16S1_fEEvT3_20rocsparse_direction_NS_24const_host_device_scalarIT1_EES2_PKS2_PKT2_SB_S8_PKT4_PKT5_S6_PT6_21rocsparse_index_base_b.has_dyn_sized_stack, 0
	.set _ZN9rocsparseL18bsrxmvn_4x4_kernelILj128ELj64Efli18rocsparse_bfloat16S1_fEEvT3_20rocsparse_direction_NS_24const_host_device_scalarIT1_EES2_PKS2_PKT2_SB_S8_PKT4_PKT5_S6_PT6_21rocsparse_index_base_b.has_recursion, 0
	.set _ZN9rocsparseL18bsrxmvn_4x4_kernelILj128ELj64Efli18rocsparse_bfloat16S1_fEEvT3_20rocsparse_direction_NS_24const_host_device_scalarIT1_EES2_PKS2_PKT2_SB_S8_PKT4_PKT5_S6_PT6_21rocsparse_index_base_b.has_indirect_call, 0
	.section	.AMDGPU.csdata,"",@progbits
; Kernel info:
; codeLenInByte = 4392
; TotalNumSgprs: 26
; NumVgprs: 45
; ScratchSize: 0
; MemoryBound: 0
; FloatMode: 240
; IeeeMode: 1
; LDSByteSize: 0 bytes/workgroup (compile time only)
; SGPRBlocks: 3
; VGPRBlocks: 11
; NumSGPRsForWavesPerEU: 26
; NumVGPRsForWavesPerEU: 45
; Occupancy: 5
; WaveLimiterHint : 1
; COMPUTE_PGM_RSRC2:SCRATCH_EN: 0
; COMPUTE_PGM_RSRC2:USER_SGPR: 6
; COMPUTE_PGM_RSRC2:TRAP_HANDLER: 0
; COMPUTE_PGM_RSRC2:TGID_X_EN: 1
; COMPUTE_PGM_RSRC2:TGID_Y_EN: 0
; COMPUTE_PGM_RSRC2:TGID_Z_EN: 0
; COMPUTE_PGM_RSRC2:TIDIG_COMP_CNT: 0
	.section	.text._ZN9rocsparseL18bsrxmvn_4x4_kernelILj128ELj4Efll18rocsparse_bfloat16S1_fEEvT3_20rocsparse_direction_NS_24const_host_device_scalarIT1_EES2_PKS2_PKT2_SB_S8_PKT4_PKT5_S6_PT6_21rocsparse_index_base_b,"axG",@progbits,_ZN9rocsparseL18bsrxmvn_4x4_kernelILj128ELj4Efll18rocsparse_bfloat16S1_fEEvT3_20rocsparse_direction_NS_24const_host_device_scalarIT1_EES2_PKS2_PKT2_SB_S8_PKT4_PKT5_S6_PT6_21rocsparse_index_base_b,comdat
	.globl	_ZN9rocsparseL18bsrxmvn_4x4_kernelILj128ELj4Efll18rocsparse_bfloat16S1_fEEvT3_20rocsparse_direction_NS_24const_host_device_scalarIT1_EES2_PKS2_PKT2_SB_S8_PKT4_PKT5_S6_PT6_21rocsparse_index_base_b ; -- Begin function _ZN9rocsparseL18bsrxmvn_4x4_kernelILj128ELj4Efll18rocsparse_bfloat16S1_fEEvT3_20rocsparse_direction_NS_24const_host_device_scalarIT1_EES2_PKS2_PKT2_SB_S8_PKT4_PKT5_S6_PT6_21rocsparse_index_base_b
	.p2align	8
	.type	_ZN9rocsparseL18bsrxmvn_4x4_kernelILj128ELj4Efll18rocsparse_bfloat16S1_fEEvT3_20rocsparse_direction_NS_24const_host_device_scalarIT1_EES2_PKS2_PKT2_SB_S8_PKT4_PKT5_S6_PT6_21rocsparse_index_base_b,@function
_ZN9rocsparseL18bsrxmvn_4x4_kernelILj128ELj4Efll18rocsparse_bfloat16S1_fEEvT3_20rocsparse_direction_NS_24const_host_device_scalarIT1_EES2_PKS2_PKT2_SB_S8_PKT4_PKT5_S6_PT6_21rocsparse_index_base_b: ; @_ZN9rocsparseL18bsrxmvn_4x4_kernelILj128ELj4Efll18rocsparse_bfloat16S1_fEEvT3_20rocsparse_direction_NS_24const_host_device_scalarIT1_EES2_PKS2_PKT2_SB_S8_PKT4_PKT5_S6_PT6_21rocsparse_index_base_b
; %bb.0:
	s_load_dwordx2 s[0:1], s[4:5], 0x60
	s_load_dwordx4 s[16:19], s[4:5], 0x10
	s_load_dwordx2 s[20:21], s[4:5], 0x50
	s_waitcnt lgkmcnt(0)
	s_bitcmp1_b32 s1, 0
	s_cselect_b64 s[8:9], -1, 0
	s_xor_b64 s[2:3], s[8:9], -1
	s_and_b64 vcc, exec, s[8:9]
	s_cbranch_vccnz .LBB115_2
; %bb.1:
	s_load_dword s16, s[16:17], 0x0
.LBB115_2:
	s_andn2_b64 vcc, exec, s[2:3]
	s_cbranch_vccnz .LBB115_4
; %bb.3:
	s_load_dword s20, s[20:21], 0x0
.LBB115_4:
	s_waitcnt lgkmcnt(0)
	v_cmp_neq_f32_e64 s[2:3], s16, 0
	v_cmp_neq_f32_e64 s[8:9], s20, 1.0
	s_or_b64 s[2:3], s[2:3], s[8:9]
	s_andn2_b64 vcc, exec, s[2:3]
	s_cbranch_vccnz .LBB115_10
; %bb.5:
	s_load_dwordx2 s[8:9], s[4:5], 0x20
	v_lshrrev_b32_e32 v1, 2, v0
	v_lshl_or_b32 v6, s6, 5, v1
	v_mov_b32_e32 v7, 0
	s_mov_b64 s[2:3], 0
	s_waitcnt lgkmcnt(0)
	s_cmp_lg_u64 s[8:9], 0
	s_cbranch_scc0 .LBB115_11
; %bb.6:
	v_cmp_gt_i64_e32 vcc, s[18:19], v[6:7]
                                        ; implicit-def: $vgpr4_vgpr5
                                        ; implicit-def: $vgpr1_vgpr2
	s_and_saveexec_b64 s[6:7], vcc
	s_xor_b64 s[6:7], exec, s[6:7]
	s_cbranch_execz .LBB115_8
; %bb.7:
	v_lshlrev_b64 v[1:2], 3, v[6:7]
	v_mov_b32_e32 v3, s9
	v_add_co_u32_e32 v1, vcc, s8, v1
	v_addc_co_u32_e32 v2, vcc, v3, v2, vcc
	global_load_dwordx2 v[1:2], v[1:2], off
	s_mov_b32 s1, 0
	s_mov_b64 s[2:3], exec
	s_waitcnt vmcnt(0)
	v_subrev_co_u32_e32 v4, vcc, s0, v1
	v_subbrev_co_u32_e32 v5, vcc, 0, v2, vcc
	v_mov_b32_e32 v2, s1
	v_mov_b32_e32 v1, s0
.LBB115_8:
	s_or_b64 exec, exec, s[6:7]
.LBB115_9:
	s_and_saveexec_b64 s[0:1], s[2:3]
	s_cbranch_execnz .LBB115_15
.LBB115_10:
	s_endpgm
.LBB115_11:
                                        ; implicit-def: $vgpr4_vgpr5
                                        ; implicit-def: $vgpr1_vgpr2
	s_cbranch_execz .LBB115_9
; %bb.12:
	s_load_dwordx2 s[6:7], s[4:5], 0x0
	s_waitcnt lgkmcnt(0)
	v_cmp_gt_i64_e32 vcc, s[6:7], v[6:7]
	s_and_saveexec_b64 s[6:7], vcc
; %bb.13:
	s_mov_b32 s1, 0
	s_or_b64 s[2:3], s[2:3], exec
; %bb.14:
	s_or_b64 exec, exec, s[6:7]
	v_mov_b32_e32 v2, s1
	v_mov_b32_e32 v4, v6
	;; [unrolled: 1-line block ×4, first 2 shown]
	s_and_saveexec_b64 s[0:1], s[2:3]
	s_cbranch_execz .LBB115_10
.LBB115_15:
	s_load_dwordx8 s[8:15], s[4:5], 0x28
	v_lshlrev_b64 v[6:7], 3, v[4:5]
	v_and_b32_e32 v0, 3, v0
	s_waitcnt lgkmcnt(0)
	v_mov_b32_e32 v3, s9
	v_add_co_u32_e32 v8, vcc, s8, v6
	v_addc_co_u32_e32 v9, vcc, v3, v7, vcc
	v_add_co_u32_e32 v3, vcc, 8, v8
	global_load_dwordx2 v[14:15], v[8:9], off
	v_addc_co_u32_e32 v8, vcc, 0, v9, vcc
	v_mov_b32_e32 v9, s11
	v_add_co_u32_e32 v6, vcc, s10, v6
	s_cmp_eq_u64 s[10:11], 0
	v_addc_co_u32_e32 v7, vcc, v9, v7, vcc
	s_cselect_b64 vcc, -1, 0
	v_cndmask_b32_e32 v7, v7, v8, vcc
	v_cndmask_b32_e32 v6, v6, v3, vcc
	global_load_dwordx2 v[8:9], v[6:7], off
	s_load_dword s0, s[4:5], 0x8
	s_load_dwordx2 s[6:7], s[4:5], 0x48
	v_mov_b32_e32 v12, s15
	v_mov_b32_e32 v3, 0
	s_waitcnt lgkmcnt(0)
	s_cmp_eq_u32 s0, 1
	s_waitcnt vmcnt(1)
	v_sub_co_u32_e32 v6, vcc, v14, v1
	v_subb_co_u32_e32 v7, vcc, v15, v2, vcc
	v_add_co_u32_e32 v6, vcc, v6, v0
	v_addc_co_u32_e32 v7, vcc, 0, v7, vcc
	v_lshlrev_b64 v[10:11], 5, v[6:7]
	s_waitcnt vmcnt(0)
	v_sub_co_u32_e32 v8, vcc, v8, v1
	v_subb_co_u32_e32 v9, vcc, v9, v2, vcc
	v_cmp_lt_i64_e64 s[0:1], v[6:7], v[8:9]
	v_add_co_u32_e32 v10, vcc, s14, v10
	v_addc_co_u32_e32 v11, vcc, v12, v11, vcc
	s_cbranch_scc1 .LBB115_27
; %bb.16:
	v_mov_b32_e32 v12, 0
	v_mov_b32_e32 v26, 0
	v_mov_b32_e32 v13, 0
	s_and_saveexec_b64 s[8:9], s[0:1]
	s_cbranch_execz .LBB115_26
; %bb.17:
	v_or_b32_e32 v3, 4, v0
	v_sub_co_u32_e32 v3, vcc, v3, v1
	v_subb_co_u32_e32 v13, vcc, 0, v2, vcc
	v_add_co_u32_e32 v12, vcc, v3, v14
	v_addc_co_u32_e32 v13, vcc, v13, v15, vcc
	v_cmp_gt_i64_e32 vcc, v[12:13], v[8:9]
	v_not_b32_e32 v16, v14
	v_cndmask_b32_e32 v3, v9, v13, vcc
	v_cndmask_b32_e32 v12, v8, v12, vcc
	v_sub_co_u32_e32 v17, vcc, v1, v0
	v_subbrev_co_u32_e32 v18, vcc, 0, v2, vcc
	v_not_b32_e32 v13, v15
	v_add_co_u32_e32 v16, vcc, v17, v16
	v_addc_co_u32_e32 v13, vcc, v18, v13, vcc
	v_add_co_u32_e32 v20, vcc, v16, v12
	v_addc_co_u32_e32 v21, vcc, v13, v3, vcc
	v_and_b32_e32 v12, 12, v20
	v_mov_b32_e32 v13, 0
	v_cmp_ne_u64_e32 vcc, 12, v[12:13]
	v_mov_b32_e32 v17, v7
	v_mov_b32_e32 v19, v11
	;; [unrolled: 1-line block ×7, first 2 shown]
	s_and_saveexec_b64 s[10:11], vcc
	s_cbranch_execz .LBB115_21
; %bb.18:
	v_lshlrev_b64 v[12:13], 3, v[6:7]
	v_lshrrev_b32_e32 v3, 2, v20
	v_add_u32_e32 v3, 1, v3
	v_mov_b32_e32 v17, s13
	v_add_co_u32_e32 v22, vcc, s12, v12
	v_and_b32_e32 v16, 3, v3
	v_addc_co_u32_e32 v23, vcc, v17, v13, vcc
	v_sub_co_u32_e32 v24, vcc, 0, v16
	v_mov_b32_e32 v19, v11
	v_mov_b32_e32 v17, v7
	;; [unrolled: 1-line block ×3, first 2 shown]
	s_mov_b64 s[14:15], 0
	v_subb_co_u32_e64 v25, s[2:3], 0, 0, vcc
	s_movk_i32 s17, 0x80
	v_mov_b32_e32 v27, s7
	v_mov_b32_e32 v18, v10
	;; [unrolled: 1-line block ×6, first 2 shown]
.LBB115_19:                             ; =>This Inner Loop Header: Depth=1
	global_load_dwordx2 v[36:37], v[22:23], off
	global_load_dwordx4 v[28:31], v[18:19], off
	global_load_dwordx4 v[32:35], v[18:19], off offset:16
	v_add_co_u32_e64 v16, s[2:3], 4, v16
	v_addc_co_u32_e64 v17, s[2:3], 0, v17, s[2:3]
	v_add_co_u32_e64 v22, s[2:3], 32, v22
	v_addc_co_u32_e64 v23, s[2:3], 0, v23, s[2:3]
	;; [unrolled: 2-line block ×3, first 2 shown]
	v_cmp_eq_u64_e64 s[2:3], 0, v[24:25]
	s_or_b64 s[14:15], s[2:3], s[14:15]
	s_waitcnt vmcnt(2)
	v_sub_co_u32_e32 v36, vcc, v36, v1
	v_subb_co_u32_e32 v37, vcc, v37, v2, vcc
	v_lshlrev_b64 v[36:37], 3, v[36:37]
	s_waitcnt vmcnt(1)
	v_lshlrev_b32_e32 v38, 16, v28
	v_add_co_u32_e32 v36, vcc, s6, v36
	v_addc_co_u32_e32 v37, vcc, v27, v37, vcc
	global_load_dwordx2 v[36:37], v[36:37], off
	v_lshlrev_b32_e32 v40, 16, v30
	s_waitcnt vmcnt(1)
	v_lshlrev_b32_e32 v42, 16, v32
	v_lshlrev_b32_e32 v44, 16, v34
	v_and_b32_e32 v28, 0xffff0000, v28
	v_and_b32_e32 v30, 0xffff0000, v30
	;; [unrolled: 1-line block ×4, first 2 shown]
	v_lshlrev_b32_e32 v39, 16, v29
	v_lshlrev_b32_e32 v41, 16, v31
	;; [unrolled: 1-line block ×4, first 2 shown]
	v_add_co_u32_e32 v18, vcc, s17, v18
	v_and_b32_e32 v29, 0xffff0000, v29
	v_and_b32_e32 v31, 0xffff0000, v31
	;; [unrolled: 1-line block ×4, first 2 shown]
	v_addc_co_u32_e32 v19, vcc, 0, v19, vcc
	s_waitcnt vmcnt(0)
	v_lshlrev_b32_e32 v46, 16, v36
	v_and_b32_e32 v36, 0xffff0000, v36
	v_fmac_f32_e32 v13, v38, v46
	v_fmac_f32_e32 v26, v40, v46
	;; [unrolled: 1-line block ×4, first 2 shown]
	v_lshlrev_b32_e32 v47, 16, v37
	v_fmac_f32_e32 v13, v28, v36
	v_fmac_f32_e32 v26, v30, v36
	v_fmac_f32_e32 v12, v32, v36
	v_fmac_f32_e32 v3, v34, v36
	v_and_b32_e32 v37, 0xffff0000, v37
	v_fmac_f32_e32 v13, v39, v47
	v_fmac_f32_e32 v26, v41, v47
	;; [unrolled: 1-line block ×8, first 2 shown]
	s_andn2_b64 exec, exec, s[14:15]
	s_cbranch_execnz .LBB115_19
; %bb.20:
	s_or_b64 exec, exec, s[14:15]
.LBB115_21:
	s_or_b64 exec, exec, s[10:11]
	v_cmp_lt_u64_e32 vcc, 11, v[20:21]
	s_and_saveexec_b64 s[2:3], vcc
	s_cbranch_execz .LBB115_25
; %bb.22:
	v_lshlrev_b64 v[20:21], 3, v[16:17]
	v_mov_b32_e32 v22, s13
	v_add_co_u32_e32 v20, vcc, s12, v20
	v_addc_co_u32_e32 v21, vcc, v22, v21, vcc
	v_add_co_u32_e32 v20, vcc, 64, v20
	v_addc_co_u32_e32 v21, vcc, 0, v21, vcc
	s_mov_b64 s[10:11], 0
	v_mov_b32_e32 v22, s7
	s_movk_i32 s14, 0x200
.LBB115_23:                             ; =>This Inner Loop Header: Depth=1
	global_load_dwordx2 v[23:24], v[20:21], off offset:-64
	global_load_dwordx4 v[27:30], v[18:19], off
	s_waitcnt vmcnt(1)
	v_sub_co_u32_e32 v23, vcc, v23, v1
	v_subb_co_u32_e32 v24, vcc, v24, v2, vcc
	v_lshlrev_b64 v[23:24], 3, v[23:24]
	s_waitcnt vmcnt(0)
	v_lshlrev_b32_e32 v25, 16, v27
	v_add_co_u32_e32 v23, vcc, s6, v23
	v_addc_co_u32_e32 v24, vcc, v22, v24, vcc
	global_load_dwordx2 v[23:24], v[23:24], off
	s_waitcnt vmcnt(0)
	v_lshlrev_b32_e32 v31, 16, v23
	v_fmac_f32_e32 v13, v25, v31
	v_and_b32_e32 v25, 0xffff0000, v27
	v_and_b32_e32 v23, 0xffff0000, v23
	v_fmac_f32_e32 v13, v25, v23
	v_lshlrev_b32_e32 v25, 16, v28
	v_lshlrev_b32_e32 v32, 16, v24
	v_fmac_f32_e32 v13, v25, v32
	v_and_b32_e32 v25, 0xffff0000, v28
	v_and_b32_e32 v24, 0xffff0000, v24
	v_fmac_f32_e32 v13, v25, v24
	v_lshlrev_b32_e32 v25, 16, v29
	v_fmac_f32_e32 v26, v25, v31
	v_and_b32_e32 v25, 0xffff0000, v29
	v_fmac_f32_e32 v26, v25, v23
	v_lshlrev_b32_e32 v25, 16, v30
	v_fmac_f32_e32 v26, v25, v32
	v_and_b32_e32 v25, 0xffff0000, v30
	global_load_dwordx4 v[27:30], v[18:19], off offset:16
	v_fmac_f32_e32 v26, v25, v24
	s_waitcnt vmcnt(0)
	v_lshlrev_b32_e32 v25, 16, v27
	v_fmac_f32_e32 v12, v25, v31
	v_and_b32_e32 v25, 0xffff0000, v27
	v_fmac_f32_e32 v12, v25, v23
	v_lshlrev_b32_e32 v25, 16, v28
	v_fmac_f32_e32 v12, v25, v32
	v_and_b32_e32 v25, 0xffff0000, v28
	v_fmac_f32_e32 v12, v25, v24
	;; [unrolled: 4-line block ×4, first 2 shown]
	global_load_dwordx2 v[23:24], v[20:21], off offset:-32
	global_load_dwordx4 v[27:30], v[18:19], off offset:128
	s_waitcnt vmcnt(1)
	v_sub_co_u32_e32 v23, vcc, v23, v1
	v_subb_co_u32_e32 v24, vcc, v24, v2, vcc
	v_lshlrev_b64 v[23:24], 3, v[23:24]
	s_waitcnt vmcnt(0)
	v_lshlrev_b32_e32 v25, 16, v27
	v_add_co_u32_e32 v23, vcc, s6, v23
	v_addc_co_u32_e32 v24, vcc, v22, v24, vcc
	global_load_dwordx2 v[23:24], v[23:24], off
	s_waitcnt vmcnt(0)
	v_lshlrev_b32_e32 v31, 16, v23
	v_fmac_f32_e32 v13, v25, v31
	v_and_b32_e32 v25, 0xffff0000, v27
	v_and_b32_e32 v23, 0xffff0000, v23
	v_fmac_f32_e32 v13, v25, v23
	v_lshlrev_b32_e32 v25, 16, v28
	v_lshlrev_b32_e32 v32, 16, v24
	v_fmac_f32_e32 v13, v25, v32
	v_and_b32_e32 v25, 0xffff0000, v28
	v_and_b32_e32 v24, 0xffff0000, v24
	v_fmac_f32_e32 v13, v25, v24
	v_lshlrev_b32_e32 v25, 16, v29
	v_fmac_f32_e32 v26, v25, v31
	v_and_b32_e32 v25, 0xffff0000, v29
	v_fmac_f32_e32 v26, v25, v23
	v_lshlrev_b32_e32 v25, 16, v30
	v_fmac_f32_e32 v26, v25, v32
	v_and_b32_e32 v25, 0xffff0000, v30
	global_load_dwordx4 v[27:30], v[18:19], off offset:144
	v_fmac_f32_e32 v26, v25, v24
	s_waitcnt vmcnt(0)
	v_lshlrev_b32_e32 v25, 16, v27
	v_fmac_f32_e32 v12, v25, v31
	v_and_b32_e32 v25, 0xffff0000, v27
	v_fmac_f32_e32 v12, v25, v23
	v_lshlrev_b32_e32 v25, 16, v28
	v_fmac_f32_e32 v12, v25, v32
	v_and_b32_e32 v25, 0xffff0000, v28
	v_fmac_f32_e32 v12, v25, v24
	;; [unrolled: 4-line block ×4, first 2 shown]
	global_load_dwordx2 v[23:24], v[20:21], off
	global_load_dwordx4 v[27:30], v[18:19], off offset:256
	s_waitcnt vmcnt(1)
	v_sub_co_u32_e32 v23, vcc, v23, v1
	v_subb_co_u32_e32 v24, vcc, v24, v2, vcc
	v_lshlrev_b64 v[23:24], 3, v[23:24]
	s_waitcnt vmcnt(0)
	v_lshlrev_b32_e32 v25, 16, v27
	v_add_co_u32_e32 v23, vcc, s6, v23
	v_addc_co_u32_e32 v24, vcc, v22, v24, vcc
	global_load_dwordx2 v[23:24], v[23:24], off
	s_waitcnt vmcnt(0)
	v_lshlrev_b32_e32 v31, 16, v23
	v_fmac_f32_e32 v13, v25, v31
	v_and_b32_e32 v25, 0xffff0000, v27
	v_and_b32_e32 v23, 0xffff0000, v23
	v_fmac_f32_e32 v13, v25, v23
	v_lshlrev_b32_e32 v25, 16, v28
	v_lshlrev_b32_e32 v32, 16, v24
	v_fmac_f32_e32 v13, v25, v32
	v_and_b32_e32 v25, 0xffff0000, v28
	v_and_b32_e32 v24, 0xffff0000, v24
	v_fmac_f32_e32 v13, v25, v24
	v_lshlrev_b32_e32 v25, 16, v29
	v_fmac_f32_e32 v26, v25, v31
	v_and_b32_e32 v25, 0xffff0000, v29
	v_fmac_f32_e32 v26, v25, v23
	v_lshlrev_b32_e32 v25, 16, v30
	v_fmac_f32_e32 v26, v25, v32
	v_and_b32_e32 v25, 0xffff0000, v30
	global_load_dwordx4 v[27:30], v[18:19], off offset:272
	v_fmac_f32_e32 v26, v25, v24
	s_waitcnt vmcnt(0)
	v_lshlrev_b32_e32 v25, 16, v27
	v_fmac_f32_e32 v12, v25, v31
	v_and_b32_e32 v25, 0xffff0000, v27
	v_fmac_f32_e32 v12, v25, v23
	v_lshlrev_b32_e32 v25, 16, v28
	v_fmac_f32_e32 v12, v25, v32
	v_and_b32_e32 v25, 0xffff0000, v28
	v_fmac_f32_e32 v12, v25, v24
	;; [unrolled: 4-line block ×4, first 2 shown]
	global_load_dwordx2 v[23:24], v[20:21], off offset:32
	global_load_dwordx4 v[27:30], v[18:19], off offset:384
	s_waitcnt vmcnt(1)
	v_sub_co_u32_e32 v23, vcc, v23, v1
	v_subb_co_u32_e32 v24, vcc, v24, v2, vcc
	v_lshlrev_b64 v[23:24], 3, v[23:24]
	s_waitcnt vmcnt(0)
	v_lshlrev_b32_e32 v25, 16, v27
	v_add_co_u32_e32 v23, vcc, s6, v23
	v_addc_co_u32_e32 v24, vcc, v22, v24, vcc
	global_load_dwordx2 v[23:24], v[23:24], off
	s_waitcnt vmcnt(0)
	v_lshlrev_b32_e32 v31, 16, v23
	v_fmac_f32_e32 v13, v25, v31
	v_and_b32_e32 v25, 0xffff0000, v27
	v_and_b32_e32 v23, 0xffff0000, v23
	v_fmac_f32_e32 v13, v25, v23
	v_lshlrev_b32_e32 v25, 16, v28
	v_lshlrev_b32_e32 v32, 16, v24
	v_fmac_f32_e32 v13, v25, v32
	v_and_b32_e32 v25, 0xffff0000, v28
	v_and_b32_e32 v24, 0xffff0000, v24
	v_fmac_f32_e32 v13, v25, v24
	v_lshlrev_b32_e32 v25, 16, v29
	v_fmac_f32_e32 v26, v25, v31
	v_and_b32_e32 v25, 0xffff0000, v29
	v_fmac_f32_e32 v26, v25, v23
	v_lshlrev_b32_e32 v25, 16, v30
	v_fmac_f32_e32 v26, v25, v32
	v_and_b32_e32 v25, 0xffff0000, v30
	global_load_dwordx4 v[27:30], v[18:19], off offset:400
	v_fmac_f32_e32 v26, v25, v24
	v_add_co_u32_e32 v18, vcc, s14, v18
	v_addc_co_u32_e32 v19, vcc, 0, v19, vcc
	v_add_co_u32_e32 v16, vcc, 16, v16
	v_addc_co_u32_e32 v17, vcc, 0, v17, vcc
	;; [unrolled: 2-line block ×3, first 2 shown]
	v_cmp_ge_i64_e32 vcc, v[16:17], v[8:9]
	s_or_b64 s[10:11], vcc, s[10:11]
	s_waitcnt vmcnt(0)
	v_lshlrev_b32_e32 v25, 16, v27
	v_fmac_f32_e32 v12, v25, v31
	v_and_b32_e32 v25, 0xffff0000, v27
	v_fmac_f32_e32 v12, v25, v23
	v_lshlrev_b32_e32 v25, 16, v28
	v_fmac_f32_e32 v12, v25, v32
	v_and_b32_e32 v25, 0xffff0000, v28
	v_fmac_f32_e32 v12, v25, v24
	v_lshlrev_b32_e32 v25, 16, v29
	v_fmac_f32_e32 v3, v25, v31
	v_and_b32_e32 v25, 0xffff0000, v29
	v_fmac_f32_e32 v3, v25, v23
	v_lshlrev_b32_e32 v23, 16, v30
	v_fmac_f32_e32 v3, v23, v32
	v_and_b32_e32 v23, 0xffff0000, v30
	v_fmac_f32_e32 v3, v23, v24
	s_andn2_b64 exec, exec, s[10:11]
	s_cbranch_execnz .LBB115_23
; %bb.24:
	s_or_b64 exec, exec, s[10:11]
.LBB115_25:
	s_or_b64 exec, exec, s[2:3]
.LBB115_26:
	s_or_b64 exec, exec, s[8:9]
	s_cbranch_execz .LBB115_28
	s_branch .LBB115_39
.LBB115_27:
                                        ; implicit-def: $vgpr3
                                        ; implicit-def: $vgpr12
                                        ; implicit-def: $vgpr26
                                        ; implicit-def: $vgpr13
.LBB115_28:
	v_mov_b32_e32 v3, 0
	v_mov_b32_e32 v12, 0
	;; [unrolled: 1-line block ×4, first 2 shown]
	s_and_saveexec_b64 s[2:3], s[0:1]
	s_cbranch_execz .LBB115_38
; %bb.29:
	v_or_b32_e32 v3, 4, v0
	v_sub_co_u32_e32 v3, vcc, v3, v1
	v_subb_co_u32_e32 v13, vcc, 0, v2, vcc
	v_add_co_u32_e32 v12, vcc, v3, v14
	v_addc_co_u32_e32 v13, vcc, v13, v15, vcc
	v_cmp_gt_i64_e32 vcc, v[12:13], v[8:9]
	v_not_b32_e32 v14, v14
	v_cndmask_b32_e32 v3, v9, v13, vcc
	v_cndmask_b32_e32 v12, v8, v12, vcc
	v_not_b32_e32 v13, v15
	v_sub_co_u32_e32 v15, vcc, v1, v0
	v_subbrev_co_u32_e32 v16, vcc, 0, v2, vcc
	v_add_co_u32_e32 v14, vcc, v15, v14
	v_addc_co_u32_e32 v13, vcc, v16, v13, vcc
	v_add_co_u32_e32 v14, vcc, v14, v12
	v_addc_co_u32_e32 v15, vcc, v13, v3, vcc
	v_and_b32_e32 v12, 12, v14
	v_mov_b32_e32 v13, 0
	v_cmp_ne_u64_e32 vcc, 12, v[12:13]
	v_mov_b32_e32 v26, v13
	v_mov_b32_e32 v12, v13
	;; [unrolled: 1-line block ×3, first 2 shown]
	s_and_saveexec_b64 s[8:9], vcc
	s_cbranch_execz .LBB115_33
; %bb.30:
	v_lshlrev_b64 v[12:13], 3, v[6:7]
	v_lshrrev_b32_e32 v3, 2, v14
	v_add_u32_e32 v3, 1, v3
	v_mov_b32_e32 v17, s13
	v_add_co_u32_e32 v16, vcc, s12, v12
	v_and_b32_e32 v18, 3, v3
	v_addc_co_u32_e32 v17, vcc, v17, v13, vcc
	v_sub_co_u32_e32 v18, vcc, 0, v18
	v_mov_b32_e32 v3, 0
	s_mov_b64 s[10:11], 0
	v_subb_co_u32_e64 v19, s[0:1], 0, 0, vcc
	s_movk_i32 s14, 0x80
	v_mov_b32_e32 v20, s7
	v_mov_b32_e32 v12, 0
	;; [unrolled: 1-line block ×4, first 2 shown]
.LBB115_31:                             ; =>This Inner Loop Header: Depth=1
	global_load_dwordx2 v[27:28], v[16:17], off
	global_load_dwordx4 v[21:24], v[10:11], off
	v_add_co_u32_e64 v6, s[0:1], 4, v6
	v_addc_co_u32_e64 v7, s[0:1], 0, v7, s[0:1]
	v_add_co_u32_e64 v16, s[0:1], 32, v16
	v_addc_co_u32_e64 v17, s[0:1], 0, v17, s[0:1]
	;; [unrolled: 2-line block ×3, first 2 shown]
	v_cmp_eq_u64_e64 s[0:1], 0, v[18:19]
	s_or_b64 s[10:11], s[0:1], s[10:11]
	s_waitcnt vmcnt(1)
	v_sub_co_u32_e32 v27, vcc, v27, v1
	v_subb_co_u32_e32 v28, vcc, v28, v2, vcc
	v_lshlrev_b64 v[27:28], 3, v[27:28]
	s_waitcnt vmcnt(0)
	v_lshlrev_b32_e32 v25, 16, v21
	v_add_co_u32_e32 v31, vcc, s6, v27
	v_addc_co_u32_e32 v32, vcc, v20, v28, vcc
	global_load_dwordx2 v[33:34], v[31:32], off
	global_load_dwordx4 v[27:30], v[10:11], off offset:16
	v_and_b32_e32 v21, 0xffff0000, v21
	v_lshlrev_b32_e32 v31, 16, v22
	v_and_b32_e32 v22, 0xffff0000, v22
	v_lshlrev_b32_e32 v32, 16, v23
	;; [unrolled: 2-line block ×3, first 2 shown]
	v_and_b32_e32 v24, 0xffff0000, v24
	v_add_co_u32_e32 v10, vcc, s14, v10
	v_addc_co_u32_e32 v11, vcc, 0, v11, vcc
	s_waitcnt vmcnt(1)
	v_lshlrev_b32_e32 v40, 16, v33
	v_and_b32_e32 v33, 0xffff0000, v33
	v_fmac_f32_e32 v13, v25, v40
	v_fmac_f32_e32 v26, v21, v40
	;; [unrolled: 1-line block ×4, first 2 shown]
	s_waitcnt vmcnt(0)
	v_lshlrev_b32_e32 v36, 16, v27
	v_and_b32_e32 v27, 0xffff0000, v27
	v_lshlrev_b32_e32 v37, 16, v28
	v_and_b32_e32 v28, 0xffff0000, v28
	v_lshlrev_b32_e32 v41, 16, v34
	v_fmac_f32_e32 v13, v32, v33
	v_fmac_f32_e32 v26, v23, v33
	;; [unrolled: 1-line block ×4, first 2 shown]
	v_lshlrev_b32_e32 v38, 16, v29
	v_and_b32_e32 v29, 0xffff0000, v29
	v_lshlrev_b32_e32 v39, 16, v30
	v_and_b32_e32 v30, 0xffff0000, v30
	v_and_b32_e32 v34, 0xffff0000, v34
	v_fmac_f32_e32 v13, v36, v41
	v_fmac_f32_e32 v26, v27, v41
	;; [unrolled: 1-line block ×8, first 2 shown]
	s_andn2_b64 exec, exec, s[10:11]
	s_cbranch_execnz .LBB115_31
; %bb.32:
	s_or_b64 exec, exec, s[10:11]
.LBB115_33:
	s_or_b64 exec, exec, s[8:9]
	v_cmp_lt_u64_e32 vcc, 11, v[14:15]
	s_and_saveexec_b64 s[0:1], vcc
	s_cbranch_execz .LBB115_37
; %bb.34:
	v_lshlrev_b64 v[14:15], 3, v[6:7]
	v_mov_b32_e32 v16, s13
	v_add_co_u32_e32 v14, vcc, s12, v14
	v_addc_co_u32_e32 v15, vcc, v16, v15, vcc
	v_add_co_u32_e32 v14, vcc, 64, v14
	v_addc_co_u32_e32 v15, vcc, 0, v15, vcc
	s_mov_b64 s[8:9], 0
	v_mov_b32_e32 v16, s7
	s_movk_i32 s7, 0x200
.LBB115_35:                             ; =>This Inner Loop Header: Depth=1
	global_load_dwordx2 v[17:18], v[14:15], off offset:-64
	s_waitcnt vmcnt(0)
	v_sub_co_u32_e32 v21, vcc, v17, v1
	v_subb_co_u32_e32 v22, vcc, v18, v2, vcc
	v_lshlrev_b64 v[21:22], 3, v[21:22]
	global_load_dwordx4 v[17:20], v[10:11], off
	v_add_co_u32_e32 v21, vcc, s6, v21
	v_addc_co_u32_e32 v22, vcc, v16, v22, vcc
	global_load_dwordx2 v[21:22], v[21:22], off
	s_waitcnt vmcnt(1)
	v_lshlrev_b32_e32 v23, 16, v17
	v_and_b32_e32 v17, 0xffff0000, v17
	s_waitcnt vmcnt(0)
	v_lshlrev_b32_e32 v24, 16, v21
	v_fmac_f32_e32 v26, v17, v24
	v_lshlrev_b32_e32 v17, 16, v18
	v_fmac_f32_e32 v12, v17, v24
	v_and_b32_e32 v17, 0xffff0000, v18
	v_fmac_f32_e32 v13, v23, v24
	v_fmac_f32_e32 v3, v17, v24
	v_lshlrev_b32_e32 v17, 16, v19
	v_and_b32_e32 v18, 0xffff0000, v21
	v_fmac_f32_e32 v13, v17, v18
	v_and_b32_e32 v17, 0xffff0000, v19
	v_fmac_f32_e32 v26, v17, v18
	v_lshlrev_b32_e32 v17, 16, v20
	v_fmac_f32_e32 v12, v17, v18
	v_and_b32_e32 v17, 0xffff0000, v20
	v_fmac_f32_e32 v3, v17, v18
	global_load_dwordx4 v[17:20], v[10:11], off offset:16
	v_lshlrev_b32_e32 v23, 16, v22
	s_waitcnt vmcnt(0)
	v_lshlrev_b32_e32 v21, 16, v17
	v_and_b32_e32 v17, 0xffff0000, v17
	v_fmac_f32_e32 v26, v17, v23
	v_lshlrev_b32_e32 v17, 16, v18
	v_fmac_f32_e32 v12, v17, v23
	v_and_b32_e32 v17, 0xffff0000, v18
	v_fmac_f32_e32 v13, v21, v23
	v_fmac_f32_e32 v3, v17, v23
	v_lshlrev_b32_e32 v17, 16, v19
	v_and_b32_e32 v18, 0xffff0000, v22
	v_fmac_f32_e32 v13, v17, v18
	v_and_b32_e32 v17, 0xffff0000, v19
	v_fmac_f32_e32 v26, v17, v18
	v_lshlrev_b32_e32 v17, 16, v20
	v_fmac_f32_e32 v12, v17, v18
	v_and_b32_e32 v17, 0xffff0000, v20
	v_fmac_f32_e32 v3, v17, v18
	global_load_dwordx2 v[17:18], v[14:15], off offset:-32
	s_waitcnt vmcnt(0)
	v_sub_co_u32_e32 v21, vcc, v17, v1
	v_subb_co_u32_e32 v22, vcc, v18, v2, vcc
	v_lshlrev_b64 v[21:22], 3, v[21:22]
	global_load_dwordx4 v[17:20], v[10:11], off offset:128
	v_add_co_u32_e32 v21, vcc, s6, v21
	v_addc_co_u32_e32 v22, vcc, v16, v22, vcc
	global_load_dwordx2 v[21:22], v[21:22], off
	s_waitcnt vmcnt(1)
	v_lshlrev_b32_e32 v23, 16, v17
	v_and_b32_e32 v17, 0xffff0000, v17
	s_waitcnt vmcnt(0)
	v_lshlrev_b32_e32 v24, 16, v21
	v_fmac_f32_e32 v26, v17, v24
	v_lshlrev_b32_e32 v17, 16, v18
	v_fmac_f32_e32 v12, v17, v24
	v_and_b32_e32 v17, 0xffff0000, v18
	v_fmac_f32_e32 v13, v23, v24
	v_fmac_f32_e32 v3, v17, v24
	v_lshlrev_b32_e32 v17, 16, v19
	v_and_b32_e32 v18, 0xffff0000, v21
	v_fmac_f32_e32 v13, v17, v18
	v_and_b32_e32 v17, 0xffff0000, v19
	v_fmac_f32_e32 v26, v17, v18
	v_lshlrev_b32_e32 v17, 16, v20
	v_fmac_f32_e32 v12, v17, v18
	v_and_b32_e32 v17, 0xffff0000, v20
	v_fmac_f32_e32 v3, v17, v18
	global_load_dwordx4 v[17:20], v[10:11], off offset:144
	v_lshlrev_b32_e32 v23, 16, v22
	s_waitcnt vmcnt(0)
	v_lshlrev_b32_e32 v21, 16, v17
	v_and_b32_e32 v17, 0xffff0000, v17
	v_fmac_f32_e32 v26, v17, v23
	v_lshlrev_b32_e32 v17, 16, v18
	v_fmac_f32_e32 v12, v17, v23
	v_and_b32_e32 v17, 0xffff0000, v18
	v_fmac_f32_e32 v13, v21, v23
	v_fmac_f32_e32 v3, v17, v23
	v_lshlrev_b32_e32 v17, 16, v19
	v_and_b32_e32 v18, 0xffff0000, v22
	v_fmac_f32_e32 v13, v17, v18
	v_and_b32_e32 v17, 0xffff0000, v19
	v_fmac_f32_e32 v26, v17, v18
	v_lshlrev_b32_e32 v17, 16, v20
	v_fmac_f32_e32 v12, v17, v18
	v_and_b32_e32 v17, 0xffff0000, v20
	v_fmac_f32_e32 v3, v17, v18
	global_load_dwordx2 v[17:18], v[14:15], off
	s_waitcnt vmcnt(0)
	v_sub_co_u32_e32 v21, vcc, v17, v1
	v_subb_co_u32_e32 v22, vcc, v18, v2, vcc
	v_lshlrev_b64 v[21:22], 3, v[21:22]
	global_load_dwordx4 v[17:20], v[10:11], off offset:256
	v_add_co_u32_e32 v21, vcc, s6, v21
	v_addc_co_u32_e32 v22, vcc, v16, v22, vcc
	global_load_dwordx2 v[21:22], v[21:22], off
	s_waitcnt vmcnt(1)
	v_lshlrev_b32_e32 v23, 16, v17
	v_and_b32_e32 v17, 0xffff0000, v17
	s_waitcnt vmcnt(0)
	v_lshlrev_b32_e32 v24, 16, v21
	v_fmac_f32_e32 v26, v17, v24
	v_lshlrev_b32_e32 v17, 16, v18
	v_fmac_f32_e32 v12, v17, v24
	v_and_b32_e32 v17, 0xffff0000, v18
	v_fmac_f32_e32 v13, v23, v24
	v_fmac_f32_e32 v3, v17, v24
	v_lshlrev_b32_e32 v17, 16, v19
	v_and_b32_e32 v18, 0xffff0000, v21
	v_fmac_f32_e32 v13, v17, v18
	v_and_b32_e32 v17, 0xffff0000, v19
	v_fmac_f32_e32 v26, v17, v18
	v_lshlrev_b32_e32 v17, 16, v20
	v_fmac_f32_e32 v12, v17, v18
	v_and_b32_e32 v17, 0xffff0000, v20
	v_fmac_f32_e32 v3, v17, v18
	global_load_dwordx4 v[17:20], v[10:11], off offset:272
	v_lshlrev_b32_e32 v23, 16, v22
	s_waitcnt vmcnt(0)
	v_lshlrev_b32_e32 v21, 16, v17
	v_and_b32_e32 v17, 0xffff0000, v17
	v_fmac_f32_e32 v26, v17, v23
	v_lshlrev_b32_e32 v17, 16, v18
	v_fmac_f32_e32 v12, v17, v23
	v_and_b32_e32 v17, 0xffff0000, v18
	v_fmac_f32_e32 v13, v21, v23
	v_fmac_f32_e32 v3, v17, v23
	v_lshlrev_b32_e32 v17, 16, v19
	v_and_b32_e32 v18, 0xffff0000, v22
	v_fmac_f32_e32 v13, v17, v18
	v_and_b32_e32 v17, 0xffff0000, v19
	v_fmac_f32_e32 v26, v17, v18
	v_lshlrev_b32_e32 v17, 16, v20
	v_fmac_f32_e32 v12, v17, v18
	v_and_b32_e32 v17, 0xffff0000, v20
	v_fmac_f32_e32 v3, v17, v18
	global_load_dwordx2 v[17:18], v[14:15], off offset:32
	s_waitcnt vmcnt(0)
	v_sub_co_u32_e32 v21, vcc, v17, v1
	v_subb_co_u32_e32 v22, vcc, v18, v2, vcc
	v_lshlrev_b64 v[21:22], 3, v[21:22]
	global_load_dwordx4 v[17:20], v[10:11], off offset:384
	v_add_co_u32_e32 v21, vcc, s6, v21
	v_addc_co_u32_e32 v22, vcc, v16, v22, vcc
	global_load_dwordx2 v[21:22], v[21:22], off
	s_waitcnt vmcnt(1)
	v_lshlrev_b32_e32 v23, 16, v17
	v_and_b32_e32 v17, 0xffff0000, v17
	s_waitcnt vmcnt(0)
	v_lshlrev_b32_e32 v24, 16, v21
	v_fmac_f32_e32 v26, v17, v24
	v_lshlrev_b32_e32 v17, 16, v18
	v_fmac_f32_e32 v12, v17, v24
	v_and_b32_e32 v17, 0xffff0000, v18
	v_fmac_f32_e32 v13, v23, v24
	v_fmac_f32_e32 v3, v17, v24
	v_lshlrev_b32_e32 v17, 16, v19
	v_and_b32_e32 v18, 0xffff0000, v21
	v_fmac_f32_e32 v13, v17, v18
	v_and_b32_e32 v17, 0xffff0000, v19
	v_fmac_f32_e32 v26, v17, v18
	v_lshlrev_b32_e32 v17, 16, v20
	v_fmac_f32_e32 v12, v17, v18
	v_and_b32_e32 v17, 0xffff0000, v20
	v_fmac_f32_e32 v3, v17, v18
	global_load_dwordx4 v[17:20], v[10:11], off offset:400
	v_add_co_u32_e32 v10, vcc, s7, v10
	v_lshlrev_b32_e32 v23, 16, v22
	v_addc_co_u32_e32 v11, vcc, 0, v11, vcc
	v_add_co_u32_e32 v6, vcc, 16, v6
	v_addc_co_u32_e32 v7, vcc, 0, v7, vcc
	v_add_co_u32_e32 v14, vcc, 0x80, v14
	v_addc_co_u32_e32 v15, vcc, 0, v15, vcc
	v_cmp_ge_i64_e32 vcc, v[6:7], v[8:9]
	s_or_b64 s[8:9], vcc, s[8:9]
	s_waitcnt vmcnt(0)
	v_lshlrev_b32_e32 v21, 16, v17
	v_and_b32_e32 v17, 0xffff0000, v17
	v_fmac_f32_e32 v26, v17, v23
	v_lshlrev_b32_e32 v17, 16, v18
	v_fmac_f32_e32 v12, v17, v23
	v_and_b32_e32 v17, 0xffff0000, v18
	v_fmac_f32_e32 v13, v21, v23
	v_fmac_f32_e32 v3, v17, v23
	v_lshlrev_b32_e32 v17, 16, v19
	v_and_b32_e32 v18, 0xffff0000, v22
	v_fmac_f32_e32 v13, v17, v18
	v_and_b32_e32 v17, 0xffff0000, v19
	v_fmac_f32_e32 v26, v17, v18
	v_lshlrev_b32_e32 v17, 16, v20
	v_fmac_f32_e32 v12, v17, v18
	v_and_b32_e32 v17, 0xffff0000, v20
	v_fmac_f32_e32 v3, v17, v18
	s_andn2_b64 exec, exec, s[8:9]
	s_cbranch_execnz .LBB115_35
; %bb.36:
	s_or_b64 exec, exec, s[8:9]
.LBB115_37:
	s_or_b64 exec, exec, s[0:1]
.LBB115_38:
	s_or_b64 exec, exec, s[2:3]
.LBB115_39:
	v_mov_b32_dpp v1, v13 row_shr:1 row_mask:0xf bank_mask:0xf
	v_mov_b32_dpp v6, v26 row_shr:1 row_mask:0xf bank_mask:0xf
	;; [unrolled: 1-line block ×4, first 2 shown]
	v_add_f32_e32 v1, v13, v1
	v_add_f32_e32 v6, v26, v6
	;; [unrolled: 1-line block ×4, first 2 shown]
	v_mov_b32_dpp v2, v1 row_shr:2 row_mask:0xf bank_mask:0xf
	v_mov_b32_dpp v7, v6 row_shr:2 row_mask:0xf bank_mask:0xf
	;; [unrolled: 1-line block ×4, first 2 shown]
	v_cmp_eq_u32_e32 vcc, 3, v0
	s_and_b64 exec, exec, vcc
	s_cbranch_execz .LBB115_10
; %bb.40:
	s_load_dwordx2 s[0:1], s[4:5], 0x58
	v_add_f32_e32 v0, v1, v2
	v_add_f32_e32 v1, v6, v7
	;; [unrolled: 1-line block ×4, first 2 shown]
	v_cmp_eq_f32_e64 s[2:3], s20, 0
	v_lshlrev_b64 v[4:5], 4, v[4:5]
	s_and_b64 vcc, exec, s[2:3]
	v_mul_f32_e32 v0, s16, v0
	v_mul_f32_e32 v1, s16, v1
	;; [unrolled: 1-line block ×4, first 2 shown]
	s_cbranch_vccz .LBB115_42
; %bb.41:
	s_waitcnt lgkmcnt(0)
	v_mov_b32_e32 v7, s1
	v_add_co_u32_e32 v6, vcc, s0, v4
	v_addc_co_u32_e32 v7, vcc, v7, v5, vcc
	global_store_dwordx4 v[6:7], v[0:3], off
	s_cbranch_execnz .LBB115_10
	s_branch .LBB115_43
.LBB115_42:
.LBB115_43:
	s_waitcnt lgkmcnt(0)
	v_mov_b32_e32 v6, s1
	v_add_co_u32_e32 v8, vcc, s0, v4
	v_addc_co_u32_e32 v9, vcc, v6, v5, vcc
	global_load_dwordx4 v[4:7], v[8:9], off
	s_waitcnt vmcnt(0)
	v_fmac_f32_e32 v0, s20, v4
	v_fmac_f32_e32 v1, s20, v5
	;; [unrolled: 1-line block ×4, first 2 shown]
	global_store_dwordx4 v[8:9], v[0:3], off
	s_endpgm
	.section	.rodata,"a",@progbits
	.p2align	6, 0x0
	.amdhsa_kernel _ZN9rocsparseL18bsrxmvn_4x4_kernelILj128ELj4Efll18rocsparse_bfloat16S1_fEEvT3_20rocsparse_direction_NS_24const_host_device_scalarIT1_EES2_PKS2_PKT2_SB_S8_PKT4_PKT5_S6_PT6_21rocsparse_index_base_b
		.amdhsa_group_segment_fixed_size 0
		.amdhsa_private_segment_fixed_size 0
		.amdhsa_kernarg_size 104
		.amdhsa_user_sgpr_count 6
		.amdhsa_user_sgpr_private_segment_buffer 1
		.amdhsa_user_sgpr_dispatch_ptr 0
		.amdhsa_user_sgpr_queue_ptr 0
		.amdhsa_user_sgpr_kernarg_segment_ptr 1
		.amdhsa_user_sgpr_dispatch_id 0
		.amdhsa_user_sgpr_flat_scratch_init 0
		.amdhsa_user_sgpr_private_segment_size 0
		.amdhsa_uses_dynamic_stack 0
		.amdhsa_system_sgpr_private_segment_wavefront_offset 0
		.amdhsa_system_sgpr_workgroup_id_x 1
		.amdhsa_system_sgpr_workgroup_id_y 0
		.amdhsa_system_sgpr_workgroup_id_z 0
		.amdhsa_system_sgpr_workgroup_info 0
		.amdhsa_system_vgpr_workitem_id 0
		.amdhsa_next_free_vgpr 48
		.amdhsa_next_free_sgpr 22
		.amdhsa_reserve_vcc 1
		.amdhsa_reserve_flat_scratch 0
		.amdhsa_float_round_mode_32 0
		.amdhsa_float_round_mode_16_64 0
		.amdhsa_float_denorm_mode_32 3
		.amdhsa_float_denorm_mode_16_64 3
		.amdhsa_dx10_clamp 1
		.amdhsa_ieee_mode 1
		.amdhsa_fp16_overflow 0
		.amdhsa_exception_fp_ieee_invalid_op 0
		.amdhsa_exception_fp_denorm_src 0
		.amdhsa_exception_fp_ieee_div_zero 0
		.amdhsa_exception_fp_ieee_overflow 0
		.amdhsa_exception_fp_ieee_underflow 0
		.amdhsa_exception_fp_ieee_inexact 0
		.amdhsa_exception_int_div_zero 0
	.end_amdhsa_kernel
	.section	.text._ZN9rocsparseL18bsrxmvn_4x4_kernelILj128ELj4Efll18rocsparse_bfloat16S1_fEEvT3_20rocsparse_direction_NS_24const_host_device_scalarIT1_EES2_PKS2_PKT2_SB_S8_PKT4_PKT5_S6_PT6_21rocsparse_index_base_b,"axG",@progbits,_ZN9rocsparseL18bsrxmvn_4x4_kernelILj128ELj4Efll18rocsparse_bfloat16S1_fEEvT3_20rocsparse_direction_NS_24const_host_device_scalarIT1_EES2_PKS2_PKT2_SB_S8_PKT4_PKT5_S6_PT6_21rocsparse_index_base_b,comdat
.Lfunc_end115:
	.size	_ZN9rocsparseL18bsrxmvn_4x4_kernelILj128ELj4Efll18rocsparse_bfloat16S1_fEEvT3_20rocsparse_direction_NS_24const_host_device_scalarIT1_EES2_PKS2_PKT2_SB_S8_PKT4_PKT5_S6_PT6_21rocsparse_index_base_b, .Lfunc_end115-_ZN9rocsparseL18bsrxmvn_4x4_kernelILj128ELj4Efll18rocsparse_bfloat16S1_fEEvT3_20rocsparse_direction_NS_24const_host_device_scalarIT1_EES2_PKS2_PKT2_SB_S8_PKT4_PKT5_S6_PT6_21rocsparse_index_base_b
                                        ; -- End function
	.set _ZN9rocsparseL18bsrxmvn_4x4_kernelILj128ELj4Efll18rocsparse_bfloat16S1_fEEvT3_20rocsparse_direction_NS_24const_host_device_scalarIT1_EES2_PKS2_PKT2_SB_S8_PKT4_PKT5_S6_PT6_21rocsparse_index_base_b.num_vgpr, 48
	.set _ZN9rocsparseL18bsrxmvn_4x4_kernelILj128ELj4Efll18rocsparse_bfloat16S1_fEEvT3_20rocsparse_direction_NS_24const_host_device_scalarIT1_EES2_PKS2_PKT2_SB_S8_PKT4_PKT5_S6_PT6_21rocsparse_index_base_b.num_agpr, 0
	.set _ZN9rocsparseL18bsrxmvn_4x4_kernelILj128ELj4Efll18rocsparse_bfloat16S1_fEEvT3_20rocsparse_direction_NS_24const_host_device_scalarIT1_EES2_PKS2_PKT2_SB_S8_PKT4_PKT5_S6_PT6_21rocsparse_index_base_b.numbered_sgpr, 22
	.set _ZN9rocsparseL18bsrxmvn_4x4_kernelILj128ELj4Efll18rocsparse_bfloat16S1_fEEvT3_20rocsparse_direction_NS_24const_host_device_scalarIT1_EES2_PKS2_PKT2_SB_S8_PKT4_PKT5_S6_PT6_21rocsparse_index_base_b.num_named_barrier, 0
	.set _ZN9rocsparseL18bsrxmvn_4x4_kernelILj128ELj4Efll18rocsparse_bfloat16S1_fEEvT3_20rocsparse_direction_NS_24const_host_device_scalarIT1_EES2_PKS2_PKT2_SB_S8_PKT4_PKT5_S6_PT6_21rocsparse_index_base_b.private_seg_size, 0
	.set _ZN9rocsparseL18bsrxmvn_4x4_kernelILj128ELj4Efll18rocsparse_bfloat16S1_fEEvT3_20rocsparse_direction_NS_24const_host_device_scalarIT1_EES2_PKS2_PKT2_SB_S8_PKT4_PKT5_S6_PT6_21rocsparse_index_base_b.uses_vcc, 1
	.set _ZN9rocsparseL18bsrxmvn_4x4_kernelILj128ELj4Efll18rocsparse_bfloat16S1_fEEvT3_20rocsparse_direction_NS_24const_host_device_scalarIT1_EES2_PKS2_PKT2_SB_S8_PKT4_PKT5_S6_PT6_21rocsparse_index_base_b.uses_flat_scratch, 0
	.set _ZN9rocsparseL18bsrxmvn_4x4_kernelILj128ELj4Efll18rocsparse_bfloat16S1_fEEvT3_20rocsparse_direction_NS_24const_host_device_scalarIT1_EES2_PKS2_PKT2_SB_S8_PKT4_PKT5_S6_PT6_21rocsparse_index_base_b.has_dyn_sized_stack, 0
	.set _ZN9rocsparseL18bsrxmvn_4x4_kernelILj128ELj4Efll18rocsparse_bfloat16S1_fEEvT3_20rocsparse_direction_NS_24const_host_device_scalarIT1_EES2_PKS2_PKT2_SB_S8_PKT4_PKT5_S6_PT6_21rocsparse_index_base_b.has_recursion, 0
	.set _ZN9rocsparseL18bsrxmvn_4x4_kernelILj128ELj4Efll18rocsparse_bfloat16S1_fEEvT3_20rocsparse_direction_NS_24const_host_device_scalarIT1_EES2_PKS2_PKT2_SB_S8_PKT4_PKT5_S6_PT6_21rocsparse_index_base_b.has_indirect_call, 0
	.section	.AMDGPU.csdata,"",@progbits
; Kernel info:
; codeLenInByte = 4080
; TotalNumSgprs: 26
; NumVgprs: 48
; ScratchSize: 0
; MemoryBound: 0
; FloatMode: 240
; IeeeMode: 1
; LDSByteSize: 0 bytes/workgroup (compile time only)
; SGPRBlocks: 3
; VGPRBlocks: 11
; NumSGPRsForWavesPerEU: 26
; NumVGPRsForWavesPerEU: 48
; Occupancy: 5
; WaveLimiterHint : 1
; COMPUTE_PGM_RSRC2:SCRATCH_EN: 0
; COMPUTE_PGM_RSRC2:USER_SGPR: 6
; COMPUTE_PGM_RSRC2:TRAP_HANDLER: 0
; COMPUTE_PGM_RSRC2:TGID_X_EN: 1
; COMPUTE_PGM_RSRC2:TGID_Y_EN: 0
; COMPUTE_PGM_RSRC2:TGID_Z_EN: 0
; COMPUTE_PGM_RSRC2:TIDIG_COMP_CNT: 0
	.section	.text._ZN9rocsparseL18bsrxmvn_4x4_kernelILj128ELj8Efll18rocsparse_bfloat16S1_fEEvT3_20rocsparse_direction_NS_24const_host_device_scalarIT1_EES2_PKS2_PKT2_SB_S8_PKT4_PKT5_S6_PT6_21rocsparse_index_base_b,"axG",@progbits,_ZN9rocsparseL18bsrxmvn_4x4_kernelILj128ELj8Efll18rocsparse_bfloat16S1_fEEvT3_20rocsparse_direction_NS_24const_host_device_scalarIT1_EES2_PKS2_PKT2_SB_S8_PKT4_PKT5_S6_PT6_21rocsparse_index_base_b,comdat
	.globl	_ZN9rocsparseL18bsrxmvn_4x4_kernelILj128ELj8Efll18rocsparse_bfloat16S1_fEEvT3_20rocsparse_direction_NS_24const_host_device_scalarIT1_EES2_PKS2_PKT2_SB_S8_PKT4_PKT5_S6_PT6_21rocsparse_index_base_b ; -- Begin function _ZN9rocsparseL18bsrxmvn_4x4_kernelILj128ELj8Efll18rocsparse_bfloat16S1_fEEvT3_20rocsparse_direction_NS_24const_host_device_scalarIT1_EES2_PKS2_PKT2_SB_S8_PKT4_PKT5_S6_PT6_21rocsparse_index_base_b
	.p2align	8
	.type	_ZN9rocsparseL18bsrxmvn_4x4_kernelILj128ELj8Efll18rocsparse_bfloat16S1_fEEvT3_20rocsparse_direction_NS_24const_host_device_scalarIT1_EES2_PKS2_PKT2_SB_S8_PKT4_PKT5_S6_PT6_21rocsparse_index_base_b,@function
_ZN9rocsparseL18bsrxmvn_4x4_kernelILj128ELj8Efll18rocsparse_bfloat16S1_fEEvT3_20rocsparse_direction_NS_24const_host_device_scalarIT1_EES2_PKS2_PKT2_SB_S8_PKT4_PKT5_S6_PT6_21rocsparse_index_base_b: ; @_ZN9rocsparseL18bsrxmvn_4x4_kernelILj128ELj8Efll18rocsparse_bfloat16S1_fEEvT3_20rocsparse_direction_NS_24const_host_device_scalarIT1_EES2_PKS2_PKT2_SB_S8_PKT4_PKT5_S6_PT6_21rocsparse_index_base_b
; %bb.0:
	s_load_dwordx2 s[0:1], s[4:5], 0x60
	s_load_dwordx4 s[16:19], s[4:5], 0x10
	s_load_dwordx2 s[20:21], s[4:5], 0x50
	s_waitcnt lgkmcnt(0)
	s_bitcmp1_b32 s1, 0
	s_cselect_b64 s[8:9], -1, 0
	s_xor_b64 s[2:3], s[8:9], -1
	s_and_b64 vcc, exec, s[8:9]
	s_cbranch_vccnz .LBB116_2
; %bb.1:
	s_load_dword s16, s[16:17], 0x0
.LBB116_2:
	s_andn2_b64 vcc, exec, s[2:3]
	s_cbranch_vccnz .LBB116_4
; %bb.3:
	s_load_dword s20, s[20:21], 0x0
.LBB116_4:
	s_waitcnt lgkmcnt(0)
	v_cmp_neq_f32_e64 s[2:3], s16, 0
	v_cmp_neq_f32_e64 s[8:9], s20, 1.0
	s_or_b64 s[2:3], s[2:3], s[8:9]
	s_andn2_b64 vcc, exec, s[2:3]
	s_cbranch_vccnz .LBB116_10
; %bb.5:
	s_load_dwordx2 s[8:9], s[4:5], 0x20
	v_lshrrev_b32_e32 v1, 3, v0
	v_lshl_or_b32 v6, s6, 4, v1
	v_mov_b32_e32 v7, 0
	s_mov_b64 s[2:3], 0
	s_waitcnt lgkmcnt(0)
	s_cmp_lg_u64 s[8:9], 0
	s_cbranch_scc0 .LBB116_11
; %bb.6:
	v_cmp_gt_i64_e32 vcc, s[18:19], v[6:7]
                                        ; implicit-def: $vgpr4_vgpr5
                                        ; implicit-def: $vgpr1_vgpr2
	s_and_saveexec_b64 s[6:7], vcc
	s_xor_b64 s[6:7], exec, s[6:7]
	s_cbranch_execz .LBB116_8
; %bb.7:
	v_lshlrev_b64 v[1:2], 3, v[6:7]
	v_mov_b32_e32 v3, s9
	v_add_co_u32_e32 v1, vcc, s8, v1
	v_addc_co_u32_e32 v2, vcc, v3, v2, vcc
	global_load_dwordx2 v[1:2], v[1:2], off
	s_mov_b32 s1, 0
	s_mov_b64 s[2:3], exec
	s_waitcnt vmcnt(0)
	v_subrev_co_u32_e32 v4, vcc, s0, v1
	v_subbrev_co_u32_e32 v5, vcc, 0, v2, vcc
	v_mov_b32_e32 v2, s1
	v_mov_b32_e32 v1, s0
.LBB116_8:
	s_or_b64 exec, exec, s[6:7]
.LBB116_9:
	s_and_saveexec_b64 s[0:1], s[2:3]
	s_cbranch_execnz .LBB116_15
.LBB116_10:
	s_endpgm
.LBB116_11:
                                        ; implicit-def: $vgpr4_vgpr5
                                        ; implicit-def: $vgpr1_vgpr2
	s_cbranch_execz .LBB116_9
; %bb.12:
	s_load_dwordx2 s[6:7], s[4:5], 0x0
	s_waitcnt lgkmcnt(0)
	v_cmp_gt_i64_e32 vcc, s[6:7], v[6:7]
	s_and_saveexec_b64 s[6:7], vcc
; %bb.13:
	s_mov_b32 s1, 0
	s_or_b64 s[2:3], s[2:3], exec
; %bb.14:
	s_or_b64 exec, exec, s[6:7]
	v_mov_b32_e32 v2, s1
	v_mov_b32_e32 v4, v6
	;; [unrolled: 1-line block ×4, first 2 shown]
	s_and_saveexec_b64 s[0:1], s[2:3]
	s_cbranch_execz .LBB116_10
.LBB116_15:
	s_load_dwordx8 s[8:15], s[4:5], 0x28
	v_lshlrev_b64 v[6:7], 3, v[4:5]
	v_and_b32_e32 v0, 7, v0
	s_waitcnt lgkmcnt(0)
	v_mov_b32_e32 v3, s9
	v_add_co_u32_e32 v8, vcc, s8, v6
	v_addc_co_u32_e32 v9, vcc, v3, v7, vcc
	v_add_co_u32_e32 v3, vcc, 8, v8
	global_load_dwordx2 v[14:15], v[8:9], off
	v_addc_co_u32_e32 v8, vcc, 0, v9, vcc
	v_mov_b32_e32 v9, s11
	v_add_co_u32_e32 v6, vcc, s10, v6
	s_cmp_eq_u64 s[10:11], 0
	v_addc_co_u32_e32 v7, vcc, v9, v7, vcc
	s_cselect_b64 vcc, -1, 0
	v_cndmask_b32_e32 v7, v7, v8, vcc
	v_cndmask_b32_e32 v6, v6, v3, vcc
	global_load_dwordx2 v[8:9], v[6:7], off
	s_load_dword s0, s[4:5], 0x8
	s_load_dwordx2 s[6:7], s[4:5], 0x48
	v_mov_b32_e32 v12, s15
	v_mov_b32_e32 v3, 0
	s_waitcnt lgkmcnt(0)
	s_cmp_eq_u32 s0, 1
	s_waitcnt vmcnt(1)
	v_sub_co_u32_e32 v6, vcc, v14, v1
	v_subb_co_u32_e32 v7, vcc, v15, v2, vcc
	v_add_co_u32_e32 v6, vcc, v6, v0
	v_addc_co_u32_e32 v7, vcc, 0, v7, vcc
	v_lshlrev_b64 v[10:11], 5, v[6:7]
	s_waitcnt vmcnt(0)
	v_sub_co_u32_e32 v8, vcc, v8, v1
	v_subb_co_u32_e32 v9, vcc, v9, v2, vcc
	v_cmp_lt_i64_e64 s[0:1], v[6:7], v[8:9]
	v_add_co_u32_e32 v10, vcc, s14, v10
	v_addc_co_u32_e32 v11, vcc, v12, v11, vcc
	s_cbranch_scc1 .LBB116_27
; %bb.16:
	v_mov_b32_e32 v12, 0
	v_mov_b32_e32 v26, 0
	;; [unrolled: 1-line block ×3, first 2 shown]
	s_and_saveexec_b64 s[8:9], s[0:1]
	s_cbranch_execz .LBB116_26
; %bb.17:
	v_or_b32_e32 v3, 8, v0
	v_sub_co_u32_e32 v3, vcc, v3, v1
	v_subb_co_u32_e32 v13, vcc, 0, v2, vcc
	v_add_co_u32_e32 v12, vcc, v3, v14
	v_addc_co_u32_e32 v13, vcc, v13, v15, vcc
	v_cmp_gt_i64_e32 vcc, v[12:13], v[8:9]
	v_not_b32_e32 v16, v14
	v_cndmask_b32_e32 v3, v9, v13, vcc
	v_cndmask_b32_e32 v12, v8, v12, vcc
	v_sub_co_u32_e32 v17, vcc, v1, v0
	v_subbrev_co_u32_e32 v18, vcc, 0, v2, vcc
	v_not_b32_e32 v13, v15
	v_add_co_u32_e32 v16, vcc, v17, v16
	v_addc_co_u32_e32 v13, vcc, v18, v13, vcc
	v_add_co_u32_e32 v20, vcc, v16, v12
	v_addc_co_u32_e32 v21, vcc, v13, v3, vcc
	v_and_b32_e32 v12, 24, v20
	v_mov_b32_e32 v13, 0
	v_cmp_ne_u64_e32 vcc, 24, v[12:13]
	v_mov_b32_e32 v17, v7
	v_mov_b32_e32 v19, v11
	;; [unrolled: 1-line block ×7, first 2 shown]
	s_and_saveexec_b64 s[10:11], vcc
	s_cbranch_execz .LBB116_21
; %bb.18:
	v_lshlrev_b64 v[12:13], 3, v[6:7]
	v_lshrrev_b32_e32 v3, 3, v20
	v_add_u32_e32 v3, 1, v3
	v_mov_b32_e32 v17, s13
	v_add_co_u32_e32 v22, vcc, s12, v12
	v_and_b32_e32 v16, 3, v3
	v_addc_co_u32_e32 v23, vcc, v17, v13, vcc
	v_sub_co_u32_e32 v24, vcc, 0, v16
	v_mov_b32_e32 v19, v11
	v_mov_b32_e32 v17, v7
	;; [unrolled: 1-line block ×3, first 2 shown]
	s_mov_b64 s[14:15], 0
	v_subb_co_u32_e64 v25, s[2:3], 0, 0, vcc
	s_movk_i32 s17, 0x100
	v_mov_b32_e32 v27, s7
	v_mov_b32_e32 v18, v10
	;; [unrolled: 1-line block ×6, first 2 shown]
.LBB116_19:                             ; =>This Inner Loop Header: Depth=1
	global_load_dwordx2 v[36:37], v[22:23], off
	global_load_dwordx4 v[28:31], v[18:19], off
	global_load_dwordx4 v[32:35], v[18:19], off offset:16
	v_add_co_u32_e64 v16, s[2:3], 8, v16
	v_addc_co_u32_e64 v17, s[2:3], 0, v17, s[2:3]
	v_add_co_u32_e64 v22, s[2:3], 64, v22
	v_addc_co_u32_e64 v23, s[2:3], 0, v23, s[2:3]
	;; [unrolled: 2-line block ×3, first 2 shown]
	v_cmp_eq_u64_e64 s[2:3], 0, v[24:25]
	s_or_b64 s[14:15], s[2:3], s[14:15]
	s_waitcnt vmcnt(2)
	v_sub_co_u32_e32 v36, vcc, v36, v1
	v_subb_co_u32_e32 v37, vcc, v37, v2, vcc
	v_lshlrev_b64 v[36:37], 3, v[36:37]
	s_waitcnt vmcnt(1)
	v_lshlrev_b32_e32 v38, 16, v28
	v_add_co_u32_e32 v36, vcc, s6, v36
	v_addc_co_u32_e32 v37, vcc, v27, v37, vcc
	global_load_dwordx2 v[36:37], v[36:37], off
	v_lshlrev_b32_e32 v40, 16, v30
	s_waitcnt vmcnt(1)
	v_lshlrev_b32_e32 v42, 16, v32
	v_lshlrev_b32_e32 v44, 16, v34
	v_and_b32_e32 v28, 0xffff0000, v28
	v_and_b32_e32 v30, 0xffff0000, v30
	;; [unrolled: 1-line block ×4, first 2 shown]
	v_lshlrev_b32_e32 v39, 16, v29
	v_lshlrev_b32_e32 v41, 16, v31
	;; [unrolled: 1-line block ×4, first 2 shown]
	v_add_co_u32_e32 v18, vcc, s17, v18
	v_and_b32_e32 v29, 0xffff0000, v29
	v_and_b32_e32 v31, 0xffff0000, v31
	;; [unrolled: 1-line block ×4, first 2 shown]
	v_addc_co_u32_e32 v19, vcc, 0, v19, vcc
	s_waitcnt vmcnt(0)
	v_lshlrev_b32_e32 v46, 16, v36
	v_and_b32_e32 v36, 0xffff0000, v36
	v_fmac_f32_e32 v13, v38, v46
	v_fmac_f32_e32 v26, v40, v46
	;; [unrolled: 1-line block ×4, first 2 shown]
	v_lshlrev_b32_e32 v47, 16, v37
	v_fmac_f32_e32 v13, v28, v36
	v_fmac_f32_e32 v26, v30, v36
	;; [unrolled: 1-line block ×4, first 2 shown]
	v_and_b32_e32 v37, 0xffff0000, v37
	v_fmac_f32_e32 v13, v39, v47
	v_fmac_f32_e32 v26, v41, v47
	;; [unrolled: 1-line block ×8, first 2 shown]
	s_andn2_b64 exec, exec, s[14:15]
	s_cbranch_execnz .LBB116_19
; %bb.20:
	s_or_b64 exec, exec, s[14:15]
.LBB116_21:
	s_or_b64 exec, exec, s[10:11]
	v_cmp_lt_u64_e32 vcc, 23, v[20:21]
	s_and_saveexec_b64 s[2:3], vcc
	s_cbranch_execz .LBB116_25
; %bb.22:
	v_lshlrev_b64 v[20:21], 3, v[16:17]
	v_mov_b32_e32 v22, s13
	v_add_co_u32_e32 v20, vcc, s12, v20
	v_addc_co_u32_e32 v21, vcc, v22, v21, vcc
	v_add_co_u32_e32 v20, vcc, 0x80, v20
	v_addc_co_u32_e32 v21, vcc, 0, v21, vcc
	s_mov_b64 s[10:11], 0
	v_mov_b32_e32 v22, s7
	s_movk_i32 s14, 0x400
.LBB116_23:                             ; =>This Inner Loop Header: Depth=1
	global_load_dwordx2 v[23:24], v[20:21], off offset:-128
	global_load_dwordx4 v[27:30], v[18:19], off
	s_waitcnt vmcnt(1)
	v_sub_co_u32_e32 v23, vcc, v23, v1
	v_subb_co_u32_e32 v24, vcc, v24, v2, vcc
	v_lshlrev_b64 v[23:24], 3, v[23:24]
	s_waitcnt vmcnt(0)
	v_lshlrev_b32_e32 v25, 16, v27
	v_add_co_u32_e32 v23, vcc, s6, v23
	v_addc_co_u32_e32 v24, vcc, v22, v24, vcc
	global_load_dwordx2 v[23:24], v[23:24], off
	s_waitcnt vmcnt(0)
	v_lshlrev_b32_e32 v31, 16, v23
	v_fmac_f32_e32 v13, v25, v31
	v_and_b32_e32 v25, 0xffff0000, v27
	v_and_b32_e32 v23, 0xffff0000, v23
	v_fmac_f32_e32 v13, v25, v23
	v_lshlrev_b32_e32 v25, 16, v28
	v_lshlrev_b32_e32 v32, 16, v24
	v_fmac_f32_e32 v13, v25, v32
	v_and_b32_e32 v25, 0xffff0000, v28
	v_and_b32_e32 v24, 0xffff0000, v24
	v_fmac_f32_e32 v13, v25, v24
	v_lshlrev_b32_e32 v25, 16, v29
	v_fmac_f32_e32 v26, v25, v31
	v_and_b32_e32 v25, 0xffff0000, v29
	v_fmac_f32_e32 v26, v25, v23
	v_lshlrev_b32_e32 v25, 16, v30
	v_fmac_f32_e32 v26, v25, v32
	v_and_b32_e32 v25, 0xffff0000, v30
	global_load_dwordx4 v[27:30], v[18:19], off offset:16
	v_fmac_f32_e32 v26, v25, v24
	s_waitcnt vmcnt(0)
	v_lshlrev_b32_e32 v25, 16, v27
	v_fmac_f32_e32 v12, v25, v31
	v_and_b32_e32 v25, 0xffff0000, v27
	v_fmac_f32_e32 v12, v25, v23
	v_lshlrev_b32_e32 v25, 16, v28
	v_fmac_f32_e32 v12, v25, v32
	v_and_b32_e32 v25, 0xffff0000, v28
	v_fmac_f32_e32 v12, v25, v24
	;; [unrolled: 4-line block ×4, first 2 shown]
	global_load_dwordx2 v[23:24], v[20:21], off offset:-64
	global_load_dwordx4 v[27:30], v[18:19], off offset:256
	s_waitcnt vmcnt(1)
	v_sub_co_u32_e32 v23, vcc, v23, v1
	v_subb_co_u32_e32 v24, vcc, v24, v2, vcc
	v_lshlrev_b64 v[23:24], 3, v[23:24]
	s_waitcnt vmcnt(0)
	v_lshlrev_b32_e32 v25, 16, v27
	v_add_co_u32_e32 v23, vcc, s6, v23
	v_addc_co_u32_e32 v24, vcc, v22, v24, vcc
	global_load_dwordx2 v[23:24], v[23:24], off
	s_waitcnt vmcnt(0)
	v_lshlrev_b32_e32 v31, 16, v23
	v_fmac_f32_e32 v13, v25, v31
	v_and_b32_e32 v25, 0xffff0000, v27
	v_and_b32_e32 v23, 0xffff0000, v23
	v_fmac_f32_e32 v13, v25, v23
	v_lshlrev_b32_e32 v25, 16, v28
	v_lshlrev_b32_e32 v32, 16, v24
	v_fmac_f32_e32 v13, v25, v32
	v_and_b32_e32 v25, 0xffff0000, v28
	v_and_b32_e32 v24, 0xffff0000, v24
	v_fmac_f32_e32 v13, v25, v24
	v_lshlrev_b32_e32 v25, 16, v29
	v_fmac_f32_e32 v26, v25, v31
	v_and_b32_e32 v25, 0xffff0000, v29
	v_fmac_f32_e32 v26, v25, v23
	v_lshlrev_b32_e32 v25, 16, v30
	v_fmac_f32_e32 v26, v25, v32
	v_and_b32_e32 v25, 0xffff0000, v30
	global_load_dwordx4 v[27:30], v[18:19], off offset:272
	v_fmac_f32_e32 v26, v25, v24
	s_waitcnt vmcnt(0)
	v_lshlrev_b32_e32 v25, 16, v27
	v_fmac_f32_e32 v12, v25, v31
	v_and_b32_e32 v25, 0xffff0000, v27
	v_fmac_f32_e32 v12, v25, v23
	v_lshlrev_b32_e32 v25, 16, v28
	v_fmac_f32_e32 v12, v25, v32
	v_and_b32_e32 v25, 0xffff0000, v28
	v_fmac_f32_e32 v12, v25, v24
	v_lshlrev_b32_e32 v25, 16, v29
	v_fmac_f32_e32 v3, v25, v31
	v_and_b32_e32 v25, 0xffff0000, v29
	v_fmac_f32_e32 v3, v25, v23
	v_lshlrev_b32_e32 v23, 16, v30
	v_fmac_f32_e32 v3, v23, v32
	v_and_b32_e32 v23, 0xffff0000, v30
	v_fmac_f32_e32 v3, v23, v24
	global_load_dwordx2 v[23:24], v[20:21], off
	global_load_dwordx4 v[27:30], v[18:19], off offset:512
	s_waitcnt vmcnt(1)
	v_sub_co_u32_e32 v23, vcc, v23, v1
	v_subb_co_u32_e32 v24, vcc, v24, v2, vcc
	v_lshlrev_b64 v[23:24], 3, v[23:24]
	s_waitcnt vmcnt(0)
	v_lshlrev_b32_e32 v25, 16, v27
	v_add_co_u32_e32 v23, vcc, s6, v23
	v_addc_co_u32_e32 v24, vcc, v22, v24, vcc
	global_load_dwordx2 v[23:24], v[23:24], off
	s_waitcnt vmcnt(0)
	v_lshlrev_b32_e32 v31, 16, v23
	v_fmac_f32_e32 v13, v25, v31
	v_and_b32_e32 v25, 0xffff0000, v27
	v_and_b32_e32 v23, 0xffff0000, v23
	v_fmac_f32_e32 v13, v25, v23
	v_lshlrev_b32_e32 v25, 16, v28
	v_lshlrev_b32_e32 v32, 16, v24
	v_fmac_f32_e32 v13, v25, v32
	v_and_b32_e32 v25, 0xffff0000, v28
	v_and_b32_e32 v24, 0xffff0000, v24
	v_fmac_f32_e32 v13, v25, v24
	v_lshlrev_b32_e32 v25, 16, v29
	v_fmac_f32_e32 v26, v25, v31
	v_and_b32_e32 v25, 0xffff0000, v29
	v_fmac_f32_e32 v26, v25, v23
	v_lshlrev_b32_e32 v25, 16, v30
	v_fmac_f32_e32 v26, v25, v32
	v_and_b32_e32 v25, 0xffff0000, v30
	global_load_dwordx4 v[27:30], v[18:19], off offset:528
	v_fmac_f32_e32 v26, v25, v24
	s_waitcnt vmcnt(0)
	v_lshlrev_b32_e32 v25, 16, v27
	v_fmac_f32_e32 v12, v25, v31
	v_and_b32_e32 v25, 0xffff0000, v27
	v_fmac_f32_e32 v12, v25, v23
	v_lshlrev_b32_e32 v25, 16, v28
	v_fmac_f32_e32 v12, v25, v32
	v_and_b32_e32 v25, 0xffff0000, v28
	v_fmac_f32_e32 v12, v25, v24
	;; [unrolled: 4-line block ×4, first 2 shown]
	global_load_dwordx2 v[23:24], v[20:21], off offset:64
	global_load_dwordx4 v[27:30], v[18:19], off offset:768
	s_waitcnt vmcnt(1)
	v_sub_co_u32_e32 v23, vcc, v23, v1
	v_subb_co_u32_e32 v24, vcc, v24, v2, vcc
	v_lshlrev_b64 v[23:24], 3, v[23:24]
	s_waitcnt vmcnt(0)
	v_lshlrev_b32_e32 v25, 16, v27
	v_add_co_u32_e32 v23, vcc, s6, v23
	v_addc_co_u32_e32 v24, vcc, v22, v24, vcc
	global_load_dwordx2 v[23:24], v[23:24], off
	s_waitcnt vmcnt(0)
	v_lshlrev_b32_e32 v31, 16, v23
	v_fmac_f32_e32 v13, v25, v31
	v_and_b32_e32 v25, 0xffff0000, v27
	v_and_b32_e32 v23, 0xffff0000, v23
	v_fmac_f32_e32 v13, v25, v23
	v_lshlrev_b32_e32 v25, 16, v28
	v_lshlrev_b32_e32 v32, 16, v24
	v_fmac_f32_e32 v13, v25, v32
	v_and_b32_e32 v25, 0xffff0000, v28
	v_and_b32_e32 v24, 0xffff0000, v24
	v_fmac_f32_e32 v13, v25, v24
	v_lshlrev_b32_e32 v25, 16, v29
	v_fmac_f32_e32 v26, v25, v31
	v_and_b32_e32 v25, 0xffff0000, v29
	v_fmac_f32_e32 v26, v25, v23
	v_lshlrev_b32_e32 v25, 16, v30
	v_fmac_f32_e32 v26, v25, v32
	v_and_b32_e32 v25, 0xffff0000, v30
	global_load_dwordx4 v[27:30], v[18:19], off offset:784
	v_fmac_f32_e32 v26, v25, v24
	v_add_co_u32_e32 v18, vcc, s14, v18
	v_addc_co_u32_e32 v19, vcc, 0, v19, vcc
	v_add_co_u32_e32 v16, vcc, 32, v16
	v_addc_co_u32_e32 v17, vcc, 0, v17, vcc
	;; [unrolled: 2-line block ×3, first 2 shown]
	v_cmp_ge_i64_e32 vcc, v[16:17], v[8:9]
	s_or_b64 s[10:11], vcc, s[10:11]
	s_waitcnt vmcnt(0)
	v_lshlrev_b32_e32 v25, 16, v27
	v_fmac_f32_e32 v12, v25, v31
	v_and_b32_e32 v25, 0xffff0000, v27
	v_fmac_f32_e32 v12, v25, v23
	v_lshlrev_b32_e32 v25, 16, v28
	v_fmac_f32_e32 v12, v25, v32
	v_and_b32_e32 v25, 0xffff0000, v28
	v_fmac_f32_e32 v12, v25, v24
	;; [unrolled: 4-line block ×4, first 2 shown]
	s_andn2_b64 exec, exec, s[10:11]
	s_cbranch_execnz .LBB116_23
; %bb.24:
	s_or_b64 exec, exec, s[10:11]
.LBB116_25:
	s_or_b64 exec, exec, s[2:3]
.LBB116_26:
	s_or_b64 exec, exec, s[8:9]
	s_cbranch_execz .LBB116_28
	s_branch .LBB116_39
.LBB116_27:
                                        ; implicit-def: $vgpr3
                                        ; implicit-def: $vgpr12
                                        ; implicit-def: $vgpr26
                                        ; implicit-def: $vgpr13
.LBB116_28:
	v_mov_b32_e32 v3, 0
	v_mov_b32_e32 v12, 0
	;; [unrolled: 1-line block ×4, first 2 shown]
	s_and_saveexec_b64 s[2:3], s[0:1]
	s_cbranch_execz .LBB116_38
; %bb.29:
	v_or_b32_e32 v3, 8, v0
	v_sub_co_u32_e32 v3, vcc, v3, v1
	v_subb_co_u32_e32 v13, vcc, 0, v2, vcc
	v_add_co_u32_e32 v12, vcc, v3, v14
	v_addc_co_u32_e32 v13, vcc, v13, v15, vcc
	v_cmp_gt_i64_e32 vcc, v[12:13], v[8:9]
	v_not_b32_e32 v14, v14
	v_cndmask_b32_e32 v3, v9, v13, vcc
	v_cndmask_b32_e32 v12, v8, v12, vcc
	v_not_b32_e32 v13, v15
	v_sub_co_u32_e32 v15, vcc, v1, v0
	v_subbrev_co_u32_e32 v16, vcc, 0, v2, vcc
	v_add_co_u32_e32 v14, vcc, v15, v14
	v_addc_co_u32_e32 v13, vcc, v16, v13, vcc
	v_add_co_u32_e32 v14, vcc, v14, v12
	v_addc_co_u32_e32 v15, vcc, v13, v3, vcc
	v_and_b32_e32 v12, 24, v14
	v_mov_b32_e32 v13, 0
	v_cmp_ne_u64_e32 vcc, 24, v[12:13]
	v_mov_b32_e32 v26, v13
	v_mov_b32_e32 v12, v13
	;; [unrolled: 1-line block ×3, first 2 shown]
	s_and_saveexec_b64 s[8:9], vcc
	s_cbranch_execz .LBB116_33
; %bb.30:
	v_lshlrev_b64 v[12:13], 3, v[6:7]
	v_lshrrev_b32_e32 v3, 3, v14
	v_add_u32_e32 v3, 1, v3
	v_mov_b32_e32 v17, s13
	v_add_co_u32_e32 v16, vcc, s12, v12
	v_and_b32_e32 v18, 3, v3
	v_addc_co_u32_e32 v17, vcc, v17, v13, vcc
	v_sub_co_u32_e32 v18, vcc, 0, v18
	v_mov_b32_e32 v3, 0
	s_mov_b64 s[10:11], 0
	v_subb_co_u32_e64 v19, s[0:1], 0, 0, vcc
	s_movk_i32 s14, 0x100
	v_mov_b32_e32 v20, s7
	v_mov_b32_e32 v12, 0
	;; [unrolled: 1-line block ×4, first 2 shown]
.LBB116_31:                             ; =>This Inner Loop Header: Depth=1
	global_load_dwordx2 v[27:28], v[16:17], off
	global_load_dwordx4 v[21:24], v[10:11], off
	v_add_co_u32_e64 v6, s[0:1], 8, v6
	v_addc_co_u32_e64 v7, s[0:1], 0, v7, s[0:1]
	v_add_co_u32_e64 v16, s[0:1], 64, v16
	v_addc_co_u32_e64 v17, s[0:1], 0, v17, s[0:1]
	;; [unrolled: 2-line block ×3, first 2 shown]
	v_cmp_eq_u64_e64 s[0:1], 0, v[18:19]
	s_or_b64 s[10:11], s[0:1], s[10:11]
	s_waitcnt vmcnt(1)
	v_sub_co_u32_e32 v27, vcc, v27, v1
	v_subb_co_u32_e32 v28, vcc, v28, v2, vcc
	v_lshlrev_b64 v[27:28], 3, v[27:28]
	s_waitcnt vmcnt(0)
	v_lshlrev_b32_e32 v25, 16, v21
	v_add_co_u32_e32 v31, vcc, s6, v27
	v_addc_co_u32_e32 v32, vcc, v20, v28, vcc
	global_load_dwordx2 v[33:34], v[31:32], off
	global_load_dwordx4 v[27:30], v[10:11], off offset:16
	v_and_b32_e32 v21, 0xffff0000, v21
	v_lshlrev_b32_e32 v31, 16, v22
	v_and_b32_e32 v22, 0xffff0000, v22
	v_lshlrev_b32_e32 v32, 16, v23
	;; [unrolled: 2-line block ×3, first 2 shown]
	v_and_b32_e32 v24, 0xffff0000, v24
	v_add_co_u32_e32 v10, vcc, s14, v10
	v_addc_co_u32_e32 v11, vcc, 0, v11, vcc
	s_waitcnt vmcnt(1)
	v_lshlrev_b32_e32 v40, 16, v33
	v_and_b32_e32 v33, 0xffff0000, v33
	v_fmac_f32_e32 v13, v25, v40
	v_fmac_f32_e32 v26, v21, v40
	;; [unrolled: 1-line block ×4, first 2 shown]
	s_waitcnt vmcnt(0)
	v_lshlrev_b32_e32 v36, 16, v27
	v_and_b32_e32 v27, 0xffff0000, v27
	v_lshlrev_b32_e32 v37, 16, v28
	v_and_b32_e32 v28, 0xffff0000, v28
	v_lshlrev_b32_e32 v41, 16, v34
	v_fmac_f32_e32 v13, v32, v33
	v_fmac_f32_e32 v26, v23, v33
	;; [unrolled: 1-line block ×4, first 2 shown]
	v_lshlrev_b32_e32 v38, 16, v29
	v_and_b32_e32 v29, 0xffff0000, v29
	v_lshlrev_b32_e32 v39, 16, v30
	v_and_b32_e32 v30, 0xffff0000, v30
	v_and_b32_e32 v34, 0xffff0000, v34
	v_fmac_f32_e32 v13, v36, v41
	v_fmac_f32_e32 v26, v27, v41
	v_fmac_f32_e32 v12, v37, v41
	v_fmac_f32_e32 v3, v28, v41
	v_fmac_f32_e32 v13, v38, v34
	v_fmac_f32_e32 v26, v29, v34
	v_fmac_f32_e32 v12, v39, v34
	v_fmac_f32_e32 v3, v30, v34
	s_andn2_b64 exec, exec, s[10:11]
	s_cbranch_execnz .LBB116_31
; %bb.32:
	s_or_b64 exec, exec, s[10:11]
.LBB116_33:
	s_or_b64 exec, exec, s[8:9]
	v_cmp_lt_u64_e32 vcc, 23, v[14:15]
	s_and_saveexec_b64 s[0:1], vcc
	s_cbranch_execz .LBB116_37
; %bb.34:
	v_lshlrev_b64 v[14:15], 3, v[6:7]
	v_mov_b32_e32 v16, s13
	v_add_co_u32_e32 v14, vcc, s12, v14
	v_addc_co_u32_e32 v15, vcc, v16, v15, vcc
	v_add_co_u32_e32 v14, vcc, 0x80, v14
	v_addc_co_u32_e32 v15, vcc, 0, v15, vcc
	s_mov_b64 s[8:9], 0
	v_mov_b32_e32 v16, s7
	s_movk_i32 s7, 0x400
.LBB116_35:                             ; =>This Inner Loop Header: Depth=1
	global_load_dwordx2 v[17:18], v[14:15], off offset:-128
	s_waitcnt vmcnt(0)
	v_sub_co_u32_e32 v21, vcc, v17, v1
	v_subb_co_u32_e32 v22, vcc, v18, v2, vcc
	v_lshlrev_b64 v[21:22], 3, v[21:22]
	global_load_dwordx4 v[17:20], v[10:11], off
	v_add_co_u32_e32 v21, vcc, s6, v21
	v_addc_co_u32_e32 v22, vcc, v16, v22, vcc
	global_load_dwordx2 v[21:22], v[21:22], off
	s_waitcnt vmcnt(1)
	v_lshlrev_b32_e32 v23, 16, v17
	v_and_b32_e32 v17, 0xffff0000, v17
	s_waitcnt vmcnt(0)
	v_lshlrev_b32_e32 v24, 16, v21
	v_fmac_f32_e32 v26, v17, v24
	v_lshlrev_b32_e32 v17, 16, v18
	v_fmac_f32_e32 v12, v17, v24
	v_and_b32_e32 v17, 0xffff0000, v18
	v_fmac_f32_e32 v13, v23, v24
	v_fmac_f32_e32 v3, v17, v24
	v_lshlrev_b32_e32 v17, 16, v19
	v_and_b32_e32 v18, 0xffff0000, v21
	v_fmac_f32_e32 v13, v17, v18
	v_and_b32_e32 v17, 0xffff0000, v19
	v_fmac_f32_e32 v26, v17, v18
	v_lshlrev_b32_e32 v17, 16, v20
	v_fmac_f32_e32 v12, v17, v18
	v_and_b32_e32 v17, 0xffff0000, v20
	v_fmac_f32_e32 v3, v17, v18
	global_load_dwordx4 v[17:20], v[10:11], off offset:16
	v_lshlrev_b32_e32 v23, 16, v22
	s_waitcnt vmcnt(0)
	v_lshlrev_b32_e32 v21, 16, v17
	v_and_b32_e32 v17, 0xffff0000, v17
	v_fmac_f32_e32 v26, v17, v23
	v_lshlrev_b32_e32 v17, 16, v18
	v_fmac_f32_e32 v12, v17, v23
	v_and_b32_e32 v17, 0xffff0000, v18
	v_fmac_f32_e32 v13, v21, v23
	v_fmac_f32_e32 v3, v17, v23
	v_lshlrev_b32_e32 v17, 16, v19
	v_and_b32_e32 v18, 0xffff0000, v22
	v_fmac_f32_e32 v13, v17, v18
	v_and_b32_e32 v17, 0xffff0000, v19
	v_fmac_f32_e32 v26, v17, v18
	v_lshlrev_b32_e32 v17, 16, v20
	v_fmac_f32_e32 v12, v17, v18
	v_and_b32_e32 v17, 0xffff0000, v20
	v_fmac_f32_e32 v3, v17, v18
	global_load_dwordx2 v[17:18], v[14:15], off offset:-64
	s_waitcnt vmcnt(0)
	v_sub_co_u32_e32 v21, vcc, v17, v1
	v_subb_co_u32_e32 v22, vcc, v18, v2, vcc
	v_lshlrev_b64 v[21:22], 3, v[21:22]
	global_load_dwordx4 v[17:20], v[10:11], off offset:256
	v_add_co_u32_e32 v21, vcc, s6, v21
	v_addc_co_u32_e32 v22, vcc, v16, v22, vcc
	global_load_dwordx2 v[21:22], v[21:22], off
	s_waitcnt vmcnt(1)
	v_lshlrev_b32_e32 v23, 16, v17
	v_and_b32_e32 v17, 0xffff0000, v17
	s_waitcnt vmcnt(0)
	v_lshlrev_b32_e32 v24, 16, v21
	v_fmac_f32_e32 v26, v17, v24
	v_lshlrev_b32_e32 v17, 16, v18
	v_fmac_f32_e32 v12, v17, v24
	v_and_b32_e32 v17, 0xffff0000, v18
	v_fmac_f32_e32 v13, v23, v24
	v_fmac_f32_e32 v3, v17, v24
	v_lshlrev_b32_e32 v17, 16, v19
	v_and_b32_e32 v18, 0xffff0000, v21
	v_fmac_f32_e32 v13, v17, v18
	v_and_b32_e32 v17, 0xffff0000, v19
	v_fmac_f32_e32 v26, v17, v18
	v_lshlrev_b32_e32 v17, 16, v20
	v_fmac_f32_e32 v12, v17, v18
	v_and_b32_e32 v17, 0xffff0000, v20
	v_fmac_f32_e32 v3, v17, v18
	global_load_dwordx4 v[17:20], v[10:11], off offset:272
	v_lshlrev_b32_e32 v23, 16, v22
	s_waitcnt vmcnt(0)
	v_lshlrev_b32_e32 v21, 16, v17
	v_and_b32_e32 v17, 0xffff0000, v17
	v_fmac_f32_e32 v26, v17, v23
	v_lshlrev_b32_e32 v17, 16, v18
	v_fmac_f32_e32 v12, v17, v23
	v_and_b32_e32 v17, 0xffff0000, v18
	v_fmac_f32_e32 v13, v21, v23
	v_fmac_f32_e32 v3, v17, v23
	v_lshlrev_b32_e32 v17, 16, v19
	v_and_b32_e32 v18, 0xffff0000, v22
	v_fmac_f32_e32 v13, v17, v18
	v_and_b32_e32 v17, 0xffff0000, v19
	v_fmac_f32_e32 v26, v17, v18
	v_lshlrev_b32_e32 v17, 16, v20
	v_fmac_f32_e32 v12, v17, v18
	v_and_b32_e32 v17, 0xffff0000, v20
	v_fmac_f32_e32 v3, v17, v18
	global_load_dwordx2 v[17:18], v[14:15], off
	s_waitcnt vmcnt(0)
	v_sub_co_u32_e32 v21, vcc, v17, v1
	v_subb_co_u32_e32 v22, vcc, v18, v2, vcc
	v_lshlrev_b64 v[21:22], 3, v[21:22]
	global_load_dwordx4 v[17:20], v[10:11], off offset:512
	v_add_co_u32_e32 v21, vcc, s6, v21
	v_addc_co_u32_e32 v22, vcc, v16, v22, vcc
	global_load_dwordx2 v[21:22], v[21:22], off
	s_waitcnt vmcnt(1)
	v_lshlrev_b32_e32 v23, 16, v17
	v_and_b32_e32 v17, 0xffff0000, v17
	s_waitcnt vmcnt(0)
	v_lshlrev_b32_e32 v24, 16, v21
	v_fmac_f32_e32 v26, v17, v24
	v_lshlrev_b32_e32 v17, 16, v18
	v_fmac_f32_e32 v12, v17, v24
	v_and_b32_e32 v17, 0xffff0000, v18
	v_fmac_f32_e32 v13, v23, v24
	v_fmac_f32_e32 v3, v17, v24
	v_lshlrev_b32_e32 v17, 16, v19
	v_and_b32_e32 v18, 0xffff0000, v21
	v_fmac_f32_e32 v13, v17, v18
	v_and_b32_e32 v17, 0xffff0000, v19
	v_fmac_f32_e32 v26, v17, v18
	v_lshlrev_b32_e32 v17, 16, v20
	v_fmac_f32_e32 v12, v17, v18
	v_and_b32_e32 v17, 0xffff0000, v20
	v_fmac_f32_e32 v3, v17, v18
	global_load_dwordx4 v[17:20], v[10:11], off offset:528
	v_lshlrev_b32_e32 v23, 16, v22
	s_waitcnt vmcnt(0)
	v_lshlrev_b32_e32 v21, 16, v17
	v_and_b32_e32 v17, 0xffff0000, v17
	v_fmac_f32_e32 v26, v17, v23
	v_lshlrev_b32_e32 v17, 16, v18
	v_fmac_f32_e32 v12, v17, v23
	v_and_b32_e32 v17, 0xffff0000, v18
	v_fmac_f32_e32 v13, v21, v23
	v_fmac_f32_e32 v3, v17, v23
	v_lshlrev_b32_e32 v17, 16, v19
	v_and_b32_e32 v18, 0xffff0000, v22
	v_fmac_f32_e32 v13, v17, v18
	v_and_b32_e32 v17, 0xffff0000, v19
	v_fmac_f32_e32 v26, v17, v18
	v_lshlrev_b32_e32 v17, 16, v20
	v_fmac_f32_e32 v12, v17, v18
	v_and_b32_e32 v17, 0xffff0000, v20
	v_fmac_f32_e32 v3, v17, v18
	global_load_dwordx2 v[17:18], v[14:15], off offset:64
	s_waitcnt vmcnt(0)
	v_sub_co_u32_e32 v21, vcc, v17, v1
	v_subb_co_u32_e32 v22, vcc, v18, v2, vcc
	v_lshlrev_b64 v[21:22], 3, v[21:22]
	global_load_dwordx4 v[17:20], v[10:11], off offset:768
	v_add_co_u32_e32 v21, vcc, s6, v21
	v_addc_co_u32_e32 v22, vcc, v16, v22, vcc
	global_load_dwordx2 v[21:22], v[21:22], off
	s_waitcnt vmcnt(1)
	v_lshlrev_b32_e32 v23, 16, v17
	v_and_b32_e32 v17, 0xffff0000, v17
	s_waitcnt vmcnt(0)
	v_lshlrev_b32_e32 v24, 16, v21
	v_fmac_f32_e32 v26, v17, v24
	v_lshlrev_b32_e32 v17, 16, v18
	v_fmac_f32_e32 v12, v17, v24
	v_and_b32_e32 v17, 0xffff0000, v18
	v_fmac_f32_e32 v13, v23, v24
	v_fmac_f32_e32 v3, v17, v24
	v_lshlrev_b32_e32 v17, 16, v19
	v_and_b32_e32 v18, 0xffff0000, v21
	v_fmac_f32_e32 v13, v17, v18
	v_and_b32_e32 v17, 0xffff0000, v19
	v_fmac_f32_e32 v26, v17, v18
	v_lshlrev_b32_e32 v17, 16, v20
	v_fmac_f32_e32 v12, v17, v18
	v_and_b32_e32 v17, 0xffff0000, v20
	v_fmac_f32_e32 v3, v17, v18
	global_load_dwordx4 v[17:20], v[10:11], off offset:784
	v_add_co_u32_e32 v10, vcc, s7, v10
	v_lshlrev_b32_e32 v23, 16, v22
	v_addc_co_u32_e32 v11, vcc, 0, v11, vcc
	v_add_co_u32_e32 v6, vcc, 32, v6
	v_addc_co_u32_e32 v7, vcc, 0, v7, vcc
	v_add_co_u32_e32 v14, vcc, 0x100, v14
	v_addc_co_u32_e32 v15, vcc, 0, v15, vcc
	v_cmp_ge_i64_e32 vcc, v[6:7], v[8:9]
	s_or_b64 s[8:9], vcc, s[8:9]
	s_waitcnt vmcnt(0)
	v_lshlrev_b32_e32 v21, 16, v17
	v_and_b32_e32 v17, 0xffff0000, v17
	v_fmac_f32_e32 v26, v17, v23
	v_lshlrev_b32_e32 v17, 16, v18
	v_fmac_f32_e32 v12, v17, v23
	v_and_b32_e32 v17, 0xffff0000, v18
	v_fmac_f32_e32 v13, v21, v23
	v_fmac_f32_e32 v3, v17, v23
	v_lshlrev_b32_e32 v17, 16, v19
	v_and_b32_e32 v18, 0xffff0000, v22
	v_fmac_f32_e32 v13, v17, v18
	v_and_b32_e32 v17, 0xffff0000, v19
	v_fmac_f32_e32 v26, v17, v18
	v_lshlrev_b32_e32 v17, 16, v20
	v_fmac_f32_e32 v12, v17, v18
	v_and_b32_e32 v17, 0xffff0000, v20
	v_fmac_f32_e32 v3, v17, v18
	s_andn2_b64 exec, exec, s[8:9]
	s_cbranch_execnz .LBB116_35
; %bb.36:
	s_or_b64 exec, exec, s[8:9]
.LBB116_37:
	s_or_b64 exec, exec, s[0:1]
.LBB116_38:
	s_or_b64 exec, exec, s[2:3]
.LBB116_39:
	v_mov_b32_dpp v1, v13 row_shr:1 row_mask:0xf bank_mask:0xf
	v_mov_b32_dpp v6, v26 row_shr:1 row_mask:0xf bank_mask:0xf
	;; [unrolled: 1-line block ×4, first 2 shown]
	v_add_f32_e32 v1, v13, v1
	v_add_f32_e32 v6, v26, v6
	;; [unrolled: 1-line block ×4, first 2 shown]
	v_mov_b32_dpp v2, v1 row_shr:2 row_mask:0xf bank_mask:0xf
	v_mov_b32_dpp v7, v6 row_shr:2 row_mask:0xf bank_mask:0xf
	;; [unrolled: 1-line block ×4, first 2 shown]
	v_add_f32_e32 v1, v1, v2
	v_add_f32_e32 v6, v6, v7
	;; [unrolled: 1-line block ×4, first 2 shown]
	v_mov_b32_dpp v2, v1 row_shr:4 row_mask:0xf bank_mask:0xe
	v_mov_b32_dpp v7, v6 row_shr:4 row_mask:0xf bank_mask:0xe
	v_mov_b32_dpp v9, v8 row_shr:4 row_mask:0xf bank_mask:0xe
	v_mov_b32_dpp v10, v3 row_shr:4 row_mask:0xf bank_mask:0xe
	v_cmp_eq_u32_e32 vcc, 7, v0
	s_and_b64 exec, exec, vcc
	s_cbranch_execz .LBB116_10
; %bb.40:
	s_load_dwordx2 s[0:1], s[4:5], 0x58
	v_add_f32_e32 v0, v1, v2
	v_add_f32_e32 v1, v6, v7
	;; [unrolled: 1-line block ×4, first 2 shown]
	v_cmp_eq_f32_e64 s[2:3], s20, 0
	v_lshlrev_b64 v[4:5], 4, v[4:5]
	s_and_b64 vcc, exec, s[2:3]
	v_mul_f32_e32 v0, s16, v0
	v_mul_f32_e32 v1, s16, v1
	;; [unrolled: 1-line block ×4, first 2 shown]
	s_cbranch_vccz .LBB116_42
; %bb.41:
	s_waitcnt lgkmcnt(0)
	v_mov_b32_e32 v7, s1
	v_add_co_u32_e32 v6, vcc, s0, v4
	v_addc_co_u32_e32 v7, vcc, v7, v5, vcc
	global_store_dwordx4 v[6:7], v[0:3], off
	s_cbranch_execnz .LBB116_10
	s_branch .LBB116_43
.LBB116_42:
.LBB116_43:
	s_waitcnt lgkmcnt(0)
	v_mov_b32_e32 v6, s1
	v_add_co_u32_e32 v8, vcc, s0, v4
	v_addc_co_u32_e32 v9, vcc, v6, v5, vcc
	global_load_dwordx4 v[4:7], v[8:9], off
	s_waitcnt vmcnt(0)
	v_fmac_f32_e32 v0, s20, v4
	v_fmac_f32_e32 v1, s20, v5
	;; [unrolled: 1-line block ×4, first 2 shown]
	global_store_dwordx4 v[8:9], v[0:3], off
	s_endpgm
	.section	.rodata,"a",@progbits
	.p2align	6, 0x0
	.amdhsa_kernel _ZN9rocsparseL18bsrxmvn_4x4_kernelILj128ELj8Efll18rocsparse_bfloat16S1_fEEvT3_20rocsparse_direction_NS_24const_host_device_scalarIT1_EES2_PKS2_PKT2_SB_S8_PKT4_PKT5_S6_PT6_21rocsparse_index_base_b
		.amdhsa_group_segment_fixed_size 0
		.amdhsa_private_segment_fixed_size 0
		.amdhsa_kernarg_size 104
		.amdhsa_user_sgpr_count 6
		.amdhsa_user_sgpr_private_segment_buffer 1
		.amdhsa_user_sgpr_dispatch_ptr 0
		.amdhsa_user_sgpr_queue_ptr 0
		.amdhsa_user_sgpr_kernarg_segment_ptr 1
		.amdhsa_user_sgpr_dispatch_id 0
		.amdhsa_user_sgpr_flat_scratch_init 0
		.amdhsa_user_sgpr_private_segment_size 0
		.amdhsa_uses_dynamic_stack 0
		.amdhsa_system_sgpr_private_segment_wavefront_offset 0
		.amdhsa_system_sgpr_workgroup_id_x 1
		.amdhsa_system_sgpr_workgroup_id_y 0
		.amdhsa_system_sgpr_workgroup_id_z 0
		.amdhsa_system_sgpr_workgroup_info 0
		.amdhsa_system_vgpr_workitem_id 0
		.amdhsa_next_free_vgpr 48
		.amdhsa_next_free_sgpr 22
		.amdhsa_reserve_vcc 1
		.amdhsa_reserve_flat_scratch 0
		.amdhsa_float_round_mode_32 0
		.amdhsa_float_round_mode_16_64 0
		.amdhsa_float_denorm_mode_32 3
		.amdhsa_float_denorm_mode_16_64 3
		.amdhsa_dx10_clamp 1
		.amdhsa_ieee_mode 1
		.amdhsa_fp16_overflow 0
		.amdhsa_exception_fp_ieee_invalid_op 0
		.amdhsa_exception_fp_denorm_src 0
		.amdhsa_exception_fp_ieee_div_zero 0
		.amdhsa_exception_fp_ieee_overflow 0
		.amdhsa_exception_fp_ieee_underflow 0
		.amdhsa_exception_fp_ieee_inexact 0
		.amdhsa_exception_int_div_zero 0
	.end_amdhsa_kernel
	.section	.text._ZN9rocsparseL18bsrxmvn_4x4_kernelILj128ELj8Efll18rocsparse_bfloat16S1_fEEvT3_20rocsparse_direction_NS_24const_host_device_scalarIT1_EES2_PKS2_PKT2_SB_S8_PKT4_PKT5_S6_PT6_21rocsparse_index_base_b,"axG",@progbits,_ZN9rocsparseL18bsrxmvn_4x4_kernelILj128ELj8Efll18rocsparse_bfloat16S1_fEEvT3_20rocsparse_direction_NS_24const_host_device_scalarIT1_EES2_PKS2_PKT2_SB_S8_PKT4_PKT5_S6_PT6_21rocsparse_index_base_b,comdat
.Lfunc_end116:
	.size	_ZN9rocsparseL18bsrxmvn_4x4_kernelILj128ELj8Efll18rocsparse_bfloat16S1_fEEvT3_20rocsparse_direction_NS_24const_host_device_scalarIT1_EES2_PKS2_PKT2_SB_S8_PKT4_PKT5_S6_PT6_21rocsparse_index_base_b, .Lfunc_end116-_ZN9rocsparseL18bsrxmvn_4x4_kernelILj128ELj8Efll18rocsparse_bfloat16S1_fEEvT3_20rocsparse_direction_NS_24const_host_device_scalarIT1_EES2_PKS2_PKT2_SB_S8_PKT4_PKT5_S6_PT6_21rocsparse_index_base_b
                                        ; -- End function
	.set _ZN9rocsparseL18bsrxmvn_4x4_kernelILj128ELj8Efll18rocsparse_bfloat16S1_fEEvT3_20rocsparse_direction_NS_24const_host_device_scalarIT1_EES2_PKS2_PKT2_SB_S8_PKT4_PKT5_S6_PT6_21rocsparse_index_base_b.num_vgpr, 48
	.set _ZN9rocsparseL18bsrxmvn_4x4_kernelILj128ELj8Efll18rocsparse_bfloat16S1_fEEvT3_20rocsparse_direction_NS_24const_host_device_scalarIT1_EES2_PKS2_PKT2_SB_S8_PKT4_PKT5_S6_PT6_21rocsparse_index_base_b.num_agpr, 0
	.set _ZN9rocsparseL18bsrxmvn_4x4_kernelILj128ELj8Efll18rocsparse_bfloat16S1_fEEvT3_20rocsparse_direction_NS_24const_host_device_scalarIT1_EES2_PKS2_PKT2_SB_S8_PKT4_PKT5_S6_PT6_21rocsparse_index_base_b.numbered_sgpr, 22
	.set _ZN9rocsparseL18bsrxmvn_4x4_kernelILj128ELj8Efll18rocsparse_bfloat16S1_fEEvT3_20rocsparse_direction_NS_24const_host_device_scalarIT1_EES2_PKS2_PKT2_SB_S8_PKT4_PKT5_S6_PT6_21rocsparse_index_base_b.num_named_barrier, 0
	.set _ZN9rocsparseL18bsrxmvn_4x4_kernelILj128ELj8Efll18rocsparse_bfloat16S1_fEEvT3_20rocsparse_direction_NS_24const_host_device_scalarIT1_EES2_PKS2_PKT2_SB_S8_PKT4_PKT5_S6_PT6_21rocsparse_index_base_b.private_seg_size, 0
	.set _ZN9rocsparseL18bsrxmvn_4x4_kernelILj128ELj8Efll18rocsparse_bfloat16S1_fEEvT3_20rocsparse_direction_NS_24const_host_device_scalarIT1_EES2_PKS2_PKT2_SB_S8_PKT4_PKT5_S6_PT6_21rocsparse_index_base_b.uses_vcc, 1
	.set _ZN9rocsparseL18bsrxmvn_4x4_kernelILj128ELj8Efll18rocsparse_bfloat16S1_fEEvT3_20rocsparse_direction_NS_24const_host_device_scalarIT1_EES2_PKS2_PKT2_SB_S8_PKT4_PKT5_S6_PT6_21rocsparse_index_base_b.uses_flat_scratch, 0
	.set _ZN9rocsparseL18bsrxmvn_4x4_kernelILj128ELj8Efll18rocsparse_bfloat16S1_fEEvT3_20rocsparse_direction_NS_24const_host_device_scalarIT1_EES2_PKS2_PKT2_SB_S8_PKT4_PKT5_S6_PT6_21rocsparse_index_base_b.has_dyn_sized_stack, 0
	.set _ZN9rocsparseL18bsrxmvn_4x4_kernelILj128ELj8Efll18rocsparse_bfloat16S1_fEEvT3_20rocsparse_direction_NS_24const_host_device_scalarIT1_EES2_PKS2_PKT2_SB_S8_PKT4_PKT5_S6_PT6_21rocsparse_index_base_b.has_recursion, 0
	.set _ZN9rocsparseL18bsrxmvn_4x4_kernelILj128ELj8Efll18rocsparse_bfloat16S1_fEEvT3_20rocsparse_direction_NS_24const_host_device_scalarIT1_EES2_PKS2_PKT2_SB_S8_PKT4_PKT5_S6_PT6_21rocsparse_index_base_b.has_indirect_call, 0
	.section	.AMDGPU.csdata,"",@progbits
; Kernel info:
; codeLenInByte = 4136
; TotalNumSgprs: 26
; NumVgprs: 48
; ScratchSize: 0
; MemoryBound: 0
; FloatMode: 240
; IeeeMode: 1
; LDSByteSize: 0 bytes/workgroup (compile time only)
; SGPRBlocks: 3
; VGPRBlocks: 11
; NumSGPRsForWavesPerEU: 26
; NumVGPRsForWavesPerEU: 48
; Occupancy: 5
; WaveLimiterHint : 1
; COMPUTE_PGM_RSRC2:SCRATCH_EN: 0
; COMPUTE_PGM_RSRC2:USER_SGPR: 6
; COMPUTE_PGM_RSRC2:TRAP_HANDLER: 0
; COMPUTE_PGM_RSRC2:TGID_X_EN: 1
; COMPUTE_PGM_RSRC2:TGID_Y_EN: 0
; COMPUTE_PGM_RSRC2:TGID_Z_EN: 0
; COMPUTE_PGM_RSRC2:TIDIG_COMP_CNT: 0
	.section	.text._ZN9rocsparseL18bsrxmvn_4x4_kernelILj128ELj16Efll18rocsparse_bfloat16S1_fEEvT3_20rocsparse_direction_NS_24const_host_device_scalarIT1_EES2_PKS2_PKT2_SB_S8_PKT4_PKT5_S6_PT6_21rocsparse_index_base_b,"axG",@progbits,_ZN9rocsparseL18bsrxmvn_4x4_kernelILj128ELj16Efll18rocsparse_bfloat16S1_fEEvT3_20rocsparse_direction_NS_24const_host_device_scalarIT1_EES2_PKS2_PKT2_SB_S8_PKT4_PKT5_S6_PT6_21rocsparse_index_base_b,comdat
	.globl	_ZN9rocsparseL18bsrxmvn_4x4_kernelILj128ELj16Efll18rocsparse_bfloat16S1_fEEvT3_20rocsparse_direction_NS_24const_host_device_scalarIT1_EES2_PKS2_PKT2_SB_S8_PKT4_PKT5_S6_PT6_21rocsparse_index_base_b ; -- Begin function _ZN9rocsparseL18bsrxmvn_4x4_kernelILj128ELj16Efll18rocsparse_bfloat16S1_fEEvT3_20rocsparse_direction_NS_24const_host_device_scalarIT1_EES2_PKS2_PKT2_SB_S8_PKT4_PKT5_S6_PT6_21rocsparse_index_base_b
	.p2align	8
	.type	_ZN9rocsparseL18bsrxmvn_4x4_kernelILj128ELj16Efll18rocsparse_bfloat16S1_fEEvT3_20rocsparse_direction_NS_24const_host_device_scalarIT1_EES2_PKS2_PKT2_SB_S8_PKT4_PKT5_S6_PT6_21rocsparse_index_base_b,@function
_ZN9rocsparseL18bsrxmvn_4x4_kernelILj128ELj16Efll18rocsparse_bfloat16S1_fEEvT3_20rocsparse_direction_NS_24const_host_device_scalarIT1_EES2_PKS2_PKT2_SB_S8_PKT4_PKT5_S6_PT6_21rocsparse_index_base_b: ; @_ZN9rocsparseL18bsrxmvn_4x4_kernelILj128ELj16Efll18rocsparse_bfloat16S1_fEEvT3_20rocsparse_direction_NS_24const_host_device_scalarIT1_EES2_PKS2_PKT2_SB_S8_PKT4_PKT5_S6_PT6_21rocsparse_index_base_b
; %bb.0:
	s_load_dwordx2 s[0:1], s[4:5], 0x60
	s_load_dwordx4 s[16:19], s[4:5], 0x10
	s_load_dwordx2 s[20:21], s[4:5], 0x50
	s_waitcnt lgkmcnt(0)
	s_bitcmp1_b32 s1, 0
	s_cselect_b64 s[8:9], -1, 0
	s_xor_b64 s[2:3], s[8:9], -1
	s_and_b64 vcc, exec, s[8:9]
	s_cbranch_vccnz .LBB117_2
; %bb.1:
	s_load_dword s16, s[16:17], 0x0
.LBB117_2:
	s_andn2_b64 vcc, exec, s[2:3]
	s_cbranch_vccnz .LBB117_4
; %bb.3:
	s_load_dword s20, s[20:21], 0x0
.LBB117_4:
	s_waitcnt lgkmcnt(0)
	v_cmp_neq_f32_e64 s[2:3], s16, 0
	v_cmp_neq_f32_e64 s[8:9], s20, 1.0
	s_or_b64 s[2:3], s[2:3], s[8:9]
	s_andn2_b64 vcc, exec, s[2:3]
	s_cbranch_vccnz .LBB117_10
; %bb.5:
	s_load_dwordx2 s[8:9], s[4:5], 0x20
	v_lshrrev_b32_e32 v1, 4, v0
	v_lshl_or_b32 v6, s6, 3, v1
	v_mov_b32_e32 v7, 0
	s_mov_b64 s[2:3], 0
	s_waitcnt lgkmcnt(0)
	s_cmp_lg_u64 s[8:9], 0
	s_cbranch_scc0 .LBB117_11
; %bb.6:
	v_cmp_gt_i64_e32 vcc, s[18:19], v[6:7]
                                        ; implicit-def: $vgpr4_vgpr5
                                        ; implicit-def: $vgpr1_vgpr2
	s_and_saveexec_b64 s[6:7], vcc
	s_xor_b64 s[6:7], exec, s[6:7]
	s_cbranch_execz .LBB117_8
; %bb.7:
	v_lshlrev_b64 v[1:2], 3, v[6:7]
	v_mov_b32_e32 v3, s9
	v_add_co_u32_e32 v1, vcc, s8, v1
	v_addc_co_u32_e32 v2, vcc, v3, v2, vcc
	global_load_dwordx2 v[1:2], v[1:2], off
	s_mov_b32 s1, 0
	s_mov_b64 s[2:3], exec
	s_waitcnt vmcnt(0)
	v_subrev_co_u32_e32 v4, vcc, s0, v1
	v_subbrev_co_u32_e32 v5, vcc, 0, v2, vcc
	v_mov_b32_e32 v2, s1
	v_mov_b32_e32 v1, s0
.LBB117_8:
	s_or_b64 exec, exec, s[6:7]
.LBB117_9:
	s_and_saveexec_b64 s[0:1], s[2:3]
	s_cbranch_execnz .LBB117_15
.LBB117_10:
	s_endpgm
.LBB117_11:
                                        ; implicit-def: $vgpr4_vgpr5
                                        ; implicit-def: $vgpr1_vgpr2
	s_cbranch_execz .LBB117_9
; %bb.12:
	s_load_dwordx2 s[6:7], s[4:5], 0x0
	s_waitcnt lgkmcnt(0)
	v_cmp_gt_i64_e32 vcc, s[6:7], v[6:7]
	s_and_saveexec_b64 s[6:7], vcc
; %bb.13:
	s_mov_b32 s1, 0
	s_or_b64 s[2:3], s[2:3], exec
; %bb.14:
	s_or_b64 exec, exec, s[6:7]
	v_mov_b32_e32 v2, s1
	v_mov_b32_e32 v4, v6
	;; [unrolled: 1-line block ×4, first 2 shown]
	s_and_saveexec_b64 s[0:1], s[2:3]
	s_cbranch_execz .LBB117_10
.LBB117_15:
	s_load_dwordx8 s[8:15], s[4:5], 0x28
	v_lshlrev_b64 v[6:7], 3, v[4:5]
	v_and_b32_e32 v0, 15, v0
	s_waitcnt lgkmcnt(0)
	v_mov_b32_e32 v3, s9
	v_add_co_u32_e32 v8, vcc, s8, v6
	v_addc_co_u32_e32 v9, vcc, v3, v7, vcc
	v_add_co_u32_e32 v3, vcc, 8, v8
	global_load_dwordx2 v[14:15], v[8:9], off
	v_addc_co_u32_e32 v8, vcc, 0, v9, vcc
	v_mov_b32_e32 v9, s11
	v_add_co_u32_e32 v6, vcc, s10, v6
	s_cmp_eq_u64 s[10:11], 0
	v_addc_co_u32_e32 v7, vcc, v9, v7, vcc
	s_cselect_b64 vcc, -1, 0
	v_cndmask_b32_e32 v7, v7, v8, vcc
	v_cndmask_b32_e32 v6, v6, v3, vcc
	global_load_dwordx2 v[8:9], v[6:7], off
	s_load_dword s0, s[4:5], 0x8
	s_load_dwordx2 s[6:7], s[4:5], 0x48
	v_mov_b32_e32 v12, s15
	v_mov_b32_e32 v3, 0
	s_waitcnt lgkmcnt(0)
	s_cmp_eq_u32 s0, 1
	s_waitcnt vmcnt(1)
	v_sub_co_u32_e32 v6, vcc, v14, v1
	v_subb_co_u32_e32 v7, vcc, v15, v2, vcc
	v_add_co_u32_e32 v6, vcc, v6, v0
	v_addc_co_u32_e32 v7, vcc, 0, v7, vcc
	v_lshlrev_b64 v[10:11], 5, v[6:7]
	s_waitcnt vmcnt(0)
	v_sub_co_u32_e32 v8, vcc, v8, v1
	v_subb_co_u32_e32 v9, vcc, v9, v2, vcc
	v_cmp_lt_i64_e64 s[0:1], v[6:7], v[8:9]
	v_add_co_u32_e32 v10, vcc, s14, v10
	v_addc_co_u32_e32 v11, vcc, v12, v11, vcc
	s_cbranch_scc1 .LBB117_27
; %bb.16:
	v_mov_b32_e32 v12, 0
	v_mov_b32_e32 v26, 0
	;; [unrolled: 1-line block ×3, first 2 shown]
	s_and_saveexec_b64 s[8:9], s[0:1]
	s_cbranch_execz .LBB117_26
; %bb.17:
	v_or_b32_e32 v3, 16, v0
	v_sub_co_u32_e32 v3, vcc, v3, v1
	v_subb_co_u32_e32 v13, vcc, 0, v2, vcc
	v_add_co_u32_e32 v12, vcc, v3, v14
	v_addc_co_u32_e32 v13, vcc, v13, v15, vcc
	v_cmp_gt_i64_e32 vcc, v[12:13], v[8:9]
	v_not_b32_e32 v16, v14
	v_cndmask_b32_e32 v3, v9, v13, vcc
	v_cndmask_b32_e32 v12, v8, v12, vcc
	v_sub_co_u32_e32 v17, vcc, v1, v0
	v_subbrev_co_u32_e32 v18, vcc, 0, v2, vcc
	v_not_b32_e32 v13, v15
	v_add_co_u32_e32 v16, vcc, v17, v16
	v_addc_co_u32_e32 v13, vcc, v18, v13, vcc
	v_add_co_u32_e32 v20, vcc, v16, v12
	v_addc_co_u32_e32 v21, vcc, v13, v3, vcc
	v_and_b32_e32 v12, 48, v20
	v_mov_b32_e32 v13, 0
	v_cmp_ne_u64_e32 vcc, 48, v[12:13]
	v_mov_b32_e32 v17, v7
	v_mov_b32_e32 v19, v11
	;; [unrolled: 1-line block ×7, first 2 shown]
	s_and_saveexec_b64 s[10:11], vcc
	s_cbranch_execz .LBB117_21
; %bb.18:
	v_lshlrev_b64 v[12:13], 3, v[6:7]
	v_lshrrev_b32_e32 v3, 4, v20
	v_add_u32_e32 v3, 1, v3
	v_mov_b32_e32 v17, s13
	v_add_co_u32_e32 v22, vcc, s12, v12
	v_and_b32_e32 v16, 3, v3
	v_addc_co_u32_e32 v23, vcc, v17, v13, vcc
	v_sub_co_u32_e32 v24, vcc, 0, v16
	v_mov_b32_e32 v19, v11
	v_mov_b32_e32 v17, v7
	;; [unrolled: 1-line block ×3, first 2 shown]
	s_mov_b64 s[14:15], 0
	v_subb_co_u32_e64 v25, s[2:3], 0, 0, vcc
	s_movk_i32 s17, 0x200
	v_mov_b32_e32 v27, s7
	v_mov_b32_e32 v18, v10
	;; [unrolled: 1-line block ×6, first 2 shown]
.LBB117_19:                             ; =>This Inner Loop Header: Depth=1
	global_load_dwordx2 v[36:37], v[22:23], off
	global_load_dwordx4 v[28:31], v[18:19], off
	global_load_dwordx4 v[32:35], v[18:19], off offset:16
	s_waitcnt vmcnt(2)
	v_sub_co_u32_e32 v36, vcc, v36, v1
	v_subb_co_u32_e32 v37, vcc, v37, v2, vcc
	v_lshlrev_b64 v[36:37], 3, v[36:37]
	s_waitcnt vmcnt(1)
	v_lshlrev_b32_e32 v38, 16, v28
	v_add_co_u32_e32 v36, vcc, s6, v36
	v_addc_co_u32_e32 v37, vcc, v27, v37, vcc
	global_load_dwordx2 v[36:37], v[36:37], off
	v_add_co_u32_e32 v18, vcc, s17, v18
	s_mov_b64 s[2:3], vcc
	v_add_co_u32_e32 v16, vcc, 16, v16
	v_addc_co_u32_e32 v17, vcc, 0, v17, vcc
	v_add_co_u32_e32 v24, vcc, 1, v24
	v_lshlrev_b32_e32 v40, 16, v30
	s_waitcnt vmcnt(1)
	v_lshlrev_b32_e32 v42, 16, v32
	v_lshlrev_b32_e32 v44, 16, v34
	v_addc_co_u32_e32 v25, vcc, 0, v25, vcc
	v_addc_co_u32_e64 v19, s[2:3], 0, v19, s[2:3]
	v_and_b32_e32 v28, 0xffff0000, v28
	v_and_b32_e32 v30, 0xffff0000, v30
	;; [unrolled: 1-line block ×4, first 2 shown]
	v_cmp_eq_u64_e64 s[2:3], 0, v[24:25]
	v_lshlrev_b32_e32 v39, 16, v29
	v_lshlrev_b32_e32 v41, 16, v31
	;; [unrolled: 1-line block ×4, first 2 shown]
	v_add_co_u32_e32 v22, vcc, 0x80, v22
	v_and_b32_e32 v29, 0xffff0000, v29
	v_and_b32_e32 v31, 0xffff0000, v31
	;; [unrolled: 1-line block ×4, first 2 shown]
	v_addc_co_u32_e32 v23, vcc, 0, v23, vcc
	s_or_b64 s[14:15], s[2:3], s[14:15]
	s_waitcnt vmcnt(0)
	v_lshlrev_b32_e32 v46, 16, v36
	v_and_b32_e32 v36, 0xffff0000, v36
	v_fmac_f32_e32 v13, v38, v46
	v_fmac_f32_e32 v26, v40, v46
	;; [unrolled: 1-line block ×4, first 2 shown]
	v_lshlrev_b32_e32 v47, 16, v37
	v_fmac_f32_e32 v13, v28, v36
	v_fmac_f32_e32 v26, v30, v36
	;; [unrolled: 1-line block ×4, first 2 shown]
	v_and_b32_e32 v37, 0xffff0000, v37
	v_fmac_f32_e32 v13, v39, v47
	v_fmac_f32_e32 v26, v41, v47
	;; [unrolled: 1-line block ×8, first 2 shown]
	s_andn2_b64 exec, exec, s[14:15]
	s_cbranch_execnz .LBB117_19
; %bb.20:
	s_or_b64 exec, exec, s[14:15]
.LBB117_21:
	s_or_b64 exec, exec, s[10:11]
	v_cmp_lt_u64_e32 vcc, 47, v[20:21]
	s_and_saveexec_b64 s[2:3], vcc
	s_cbranch_execz .LBB117_25
; %bb.22:
	v_lshlrev_b64 v[20:21], 3, v[16:17]
	v_mov_b32_e32 v22, s13
	v_add_co_u32_e32 v20, vcc, s12, v20
	v_addc_co_u32_e32 v21, vcc, v22, v21, vcc
	v_add_co_u32_e32 v20, vcc, 0x100, v20
	v_addc_co_u32_e32 v21, vcc, 0, v21, vcc
	s_mov_b64 s[10:11], 0
	v_mov_b32_e32 v22, s7
	s_movk_i32 s14, 0x800
.LBB117_23:                             ; =>This Inner Loop Header: Depth=1
	global_load_dwordx2 v[23:24], v[20:21], off offset:-256
	global_load_dwordx4 v[27:30], v[18:19], off
	s_waitcnt vmcnt(1)
	v_sub_co_u32_e32 v23, vcc, v23, v1
	v_subb_co_u32_e32 v24, vcc, v24, v2, vcc
	v_lshlrev_b64 v[23:24], 3, v[23:24]
	s_waitcnt vmcnt(0)
	v_lshlrev_b32_e32 v25, 16, v27
	v_add_co_u32_e32 v23, vcc, s6, v23
	v_addc_co_u32_e32 v24, vcc, v22, v24, vcc
	global_load_dwordx2 v[23:24], v[23:24], off
	s_waitcnt vmcnt(0)
	v_lshlrev_b32_e32 v31, 16, v23
	v_fmac_f32_e32 v13, v25, v31
	v_and_b32_e32 v25, 0xffff0000, v27
	v_and_b32_e32 v23, 0xffff0000, v23
	v_fmac_f32_e32 v13, v25, v23
	v_lshlrev_b32_e32 v25, 16, v28
	v_lshlrev_b32_e32 v32, 16, v24
	v_fmac_f32_e32 v13, v25, v32
	v_and_b32_e32 v25, 0xffff0000, v28
	v_and_b32_e32 v24, 0xffff0000, v24
	v_fmac_f32_e32 v13, v25, v24
	v_lshlrev_b32_e32 v25, 16, v29
	v_fmac_f32_e32 v26, v25, v31
	v_and_b32_e32 v25, 0xffff0000, v29
	v_fmac_f32_e32 v26, v25, v23
	v_lshlrev_b32_e32 v25, 16, v30
	v_fmac_f32_e32 v26, v25, v32
	v_and_b32_e32 v25, 0xffff0000, v30
	global_load_dwordx4 v[27:30], v[18:19], off offset:16
	v_fmac_f32_e32 v26, v25, v24
	s_waitcnt vmcnt(0)
	v_lshlrev_b32_e32 v25, 16, v27
	v_fmac_f32_e32 v12, v25, v31
	v_and_b32_e32 v25, 0xffff0000, v27
	v_fmac_f32_e32 v12, v25, v23
	v_lshlrev_b32_e32 v25, 16, v28
	v_fmac_f32_e32 v12, v25, v32
	v_and_b32_e32 v25, 0xffff0000, v28
	v_fmac_f32_e32 v12, v25, v24
	;; [unrolled: 4-line block ×4, first 2 shown]
	global_load_dwordx2 v[23:24], v[20:21], off offset:-128
	global_load_dwordx4 v[27:30], v[18:19], off offset:512
	s_waitcnt vmcnt(1)
	v_sub_co_u32_e32 v23, vcc, v23, v1
	v_subb_co_u32_e32 v24, vcc, v24, v2, vcc
	v_lshlrev_b64 v[23:24], 3, v[23:24]
	s_waitcnt vmcnt(0)
	v_lshlrev_b32_e32 v25, 16, v27
	v_add_co_u32_e32 v23, vcc, s6, v23
	v_addc_co_u32_e32 v24, vcc, v22, v24, vcc
	global_load_dwordx2 v[23:24], v[23:24], off
	s_waitcnt vmcnt(0)
	v_lshlrev_b32_e32 v31, 16, v23
	v_fmac_f32_e32 v13, v25, v31
	v_and_b32_e32 v25, 0xffff0000, v27
	v_and_b32_e32 v23, 0xffff0000, v23
	v_fmac_f32_e32 v13, v25, v23
	v_lshlrev_b32_e32 v25, 16, v28
	v_lshlrev_b32_e32 v32, 16, v24
	v_fmac_f32_e32 v13, v25, v32
	v_and_b32_e32 v25, 0xffff0000, v28
	v_and_b32_e32 v24, 0xffff0000, v24
	v_fmac_f32_e32 v13, v25, v24
	v_lshlrev_b32_e32 v25, 16, v29
	v_fmac_f32_e32 v26, v25, v31
	v_and_b32_e32 v25, 0xffff0000, v29
	v_fmac_f32_e32 v26, v25, v23
	v_lshlrev_b32_e32 v25, 16, v30
	v_fmac_f32_e32 v26, v25, v32
	v_and_b32_e32 v25, 0xffff0000, v30
	global_load_dwordx4 v[27:30], v[18:19], off offset:528
	v_fmac_f32_e32 v26, v25, v24
	s_waitcnt vmcnt(0)
	v_lshlrev_b32_e32 v25, 16, v27
	v_fmac_f32_e32 v12, v25, v31
	v_and_b32_e32 v25, 0xffff0000, v27
	v_fmac_f32_e32 v12, v25, v23
	v_lshlrev_b32_e32 v25, 16, v28
	v_fmac_f32_e32 v12, v25, v32
	v_and_b32_e32 v25, 0xffff0000, v28
	v_fmac_f32_e32 v12, v25, v24
	;; [unrolled: 4-line block ×4, first 2 shown]
	global_load_dwordx2 v[23:24], v[20:21], off
	global_load_dwordx4 v[27:30], v[18:19], off offset:1024
	s_waitcnt vmcnt(1)
	v_sub_co_u32_e32 v23, vcc, v23, v1
	v_subb_co_u32_e32 v24, vcc, v24, v2, vcc
	v_lshlrev_b64 v[23:24], 3, v[23:24]
	s_waitcnt vmcnt(0)
	v_lshlrev_b32_e32 v25, 16, v27
	v_add_co_u32_e32 v23, vcc, s6, v23
	v_addc_co_u32_e32 v24, vcc, v22, v24, vcc
	global_load_dwordx2 v[23:24], v[23:24], off
	s_waitcnt vmcnt(0)
	v_lshlrev_b32_e32 v31, 16, v23
	v_fmac_f32_e32 v13, v25, v31
	v_and_b32_e32 v25, 0xffff0000, v27
	v_and_b32_e32 v23, 0xffff0000, v23
	v_fmac_f32_e32 v13, v25, v23
	v_lshlrev_b32_e32 v25, 16, v28
	v_lshlrev_b32_e32 v32, 16, v24
	v_fmac_f32_e32 v13, v25, v32
	v_and_b32_e32 v25, 0xffff0000, v28
	v_and_b32_e32 v24, 0xffff0000, v24
	v_fmac_f32_e32 v13, v25, v24
	v_lshlrev_b32_e32 v25, 16, v29
	v_fmac_f32_e32 v26, v25, v31
	v_and_b32_e32 v25, 0xffff0000, v29
	v_fmac_f32_e32 v26, v25, v23
	v_lshlrev_b32_e32 v25, 16, v30
	v_fmac_f32_e32 v26, v25, v32
	v_and_b32_e32 v25, 0xffff0000, v30
	global_load_dwordx4 v[27:30], v[18:19], off offset:1040
	v_fmac_f32_e32 v26, v25, v24
	s_waitcnt vmcnt(0)
	v_lshlrev_b32_e32 v25, 16, v27
	v_fmac_f32_e32 v12, v25, v31
	v_and_b32_e32 v25, 0xffff0000, v27
	v_fmac_f32_e32 v12, v25, v23
	v_lshlrev_b32_e32 v25, 16, v28
	v_fmac_f32_e32 v12, v25, v32
	v_and_b32_e32 v25, 0xffff0000, v28
	v_fmac_f32_e32 v12, v25, v24
	;; [unrolled: 4-line block ×4, first 2 shown]
	global_load_dwordx2 v[23:24], v[20:21], off offset:128
	global_load_dwordx4 v[27:30], v[18:19], off offset:1536
	s_waitcnt vmcnt(1)
	v_sub_co_u32_e32 v23, vcc, v23, v1
	v_subb_co_u32_e32 v24, vcc, v24, v2, vcc
	v_lshlrev_b64 v[23:24], 3, v[23:24]
	s_waitcnt vmcnt(0)
	v_lshlrev_b32_e32 v25, 16, v27
	v_add_co_u32_e32 v23, vcc, s6, v23
	v_addc_co_u32_e32 v24, vcc, v22, v24, vcc
	global_load_dwordx2 v[23:24], v[23:24], off
	s_waitcnt vmcnt(0)
	v_lshlrev_b32_e32 v31, 16, v23
	v_fmac_f32_e32 v13, v25, v31
	v_and_b32_e32 v25, 0xffff0000, v27
	v_and_b32_e32 v23, 0xffff0000, v23
	v_fmac_f32_e32 v13, v25, v23
	v_lshlrev_b32_e32 v25, 16, v28
	v_lshlrev_b32_e32 v32, 16, v24
	v_fmac_f32_e32 v13, v25, v32
	v_and_b32_e32 v25, 0xffff0000, v28
	v_and_b32_e32 v24, 0xffff0000, v24
	v_fmac_f32_e32 v13, v25, v24
	v_lshlrev_b32_e32 v25, 16, v29
	v_fmac_f32_e32 v26, v25, v31
	v_and_b32_e32 v25, 0xffff0000, v29
	v_fmac_f32_e32 v26, v25, v23
	v_lshlrev_b32_e32 v25, 16, v30
	v_fmac_f32_e32 v26, v25, v32
	v_and_b32_e32 v25, 0xffff0000, v30
	global_load_dwordx4 v[27:30], v[18:19], off offset:1552
	v_fmac_f32_e32 v26, v25, v24
	v_add_co_u32_e32 v18, vcc, s14, v18
	v_addc_co_u32_e32 v19, vcc, 0, v19, vcc
	v_add_co_u32_e32 v16, vcc, 64, v16
	v_addc_co_u32_e32 v17, vcc, 0, v17, vcc
	;; [unrolled: 2-line block ×3, first 2 shown]
	v_cmp_ge_i64_e32 vcc, v[16:17], v[8:9]
	s_or_b64 s[10:11], vcc, s[10:11]
	s_waitcnt vmcnt(0)
	v_lshlrev_b32_e32 v25, 16, v27
	v_fmac_f32_e32 v12, v25, v31
	v_and_b32_e32 v25, 0xffff0000, v27
	v_fmac_f32_e32 v12, v25, v23
	v_lshlrev_b32_e32 v25, 16, v28
	v_fmac_f32_e32 v12, v25, v32
	v_and_b32_e32 v25, 0xffff0000, v28
	v_fmac_f32_e32 v12, v25, v24
	;; [unrolled: 4-line block ×4, first 2 shown]
	s_andn2_b64 exec, exec, s[10:11]
	s_cbranch_execnz .LBB117_23
; %bb.24:
	s_or_b64 exec, exec, s[10:11]
.LBB117_25:
	s_or_b64 exec, exec, s[2:3]
.LBB117_26:
	s_or_b64 exec, exec, s[8:9]
	s_cbranch_execz .LBB117_28
	s_branch .LBB117_39
.LBB117_27:
                                        ; implicit-def: $vgpr3
                                        ; implicit-def: $vgpr12
                                        ; implicit-def: $vgpr26
                                        ; implicit-def: $vgpr13
.LBB117_28:
	v_mov_b32_e32 v3, 0
	v_mov_b32_e32 v12, 0
	;; [unrolled: 1-line block ×4, first 2 shown]
	s_and_saveexec_b64 s[2:3], s[0:1]
	s_cbranch_execz .LBB117_38
; %bb.29:
	v_or_b32_e32 v3, 16, v0
	v_sub_co_u32_e32 v3, vcc, v3, v1
	v_subb_co_u32_e32 v13, vcc, 0, v2, vcc
	v_add_co_u32_e32 v12, vcc, v3, v14
	v_addc_co_u32_e32 v13, vcc, v13, v15, vcc
	v_cmp_gt_i64_e32 vcc, v[12:13], v[8:9]
	v_not_b32_e32 v14, v14
	v_cndmask_b32_e32 v3, v9, v13, vcc
	v_cndmask_b32_e32 v12, v8, v12, vcc
	v_not_b32_e32 v13, v15
	v_sub_co_u32_e32 v15, vcc, v1, v0
	v_subbrev_co_u32_e32 v16, vcc, 0, v2, vcc
	v_add_co_u32_e32 v14, vcc, v15, v14
	v_addc_co_u32_e32 v13, vcc, v16, v13, vcc
	v_add_co_u32_e32 v14, vcc, v14, v12
	v_addc_co_u32_e32 v15, vcc, v13, v3, vcc
	v_and_b32_e32 v12, 48, v14
	v_mov_b32_e32 v13, 0
	v_cmp_ne_u64_e32 vcc, 48, v[12:13]
	v_mov_b32_e32 v26, v13
	v_mov_b32_e32 v12, v13
	;; [unrolled: 1-line block ×3, first 2 shown]
	s_and_saveexec_b64 s[8:9], vcc
	s_cbranch_execz .LBB117_33
; %bb.30:
	v_lshlrev_b64 v[12:13], 3, v[6:7]
	v_lshrrev_b32_e32 v3, 4, v14
	v_add_u32_e32 v3, 1, v3
	v_mov_b32_e32 v17, s13
	v_add_co_u32_e32 v16, vcc, s12, v12
	v_and_b32_e32 v18, 3, v3
	v_addc_co_u32_e32 v17, vcc, v17, v13, vcc
	v_sub_co_u32_e32 v18, vcc, 0, v18
	v_mov_b32_e32 v3, 0
	s_mov_b64 s[10:11], 0
	v_subb_co_u32_e64 v19, s[0:1], 0, 0, vcc
	s_movk_i32 s14, 0x200
	v_mov_b32_e32 v20, s7
	v_mov_b32_e32 v12, 0
	;; [unrolled: 1-line block ×4, first 2 shown]
.LBB117_31:                             ; =>This Inner Loop Header: Depth=1
	global_load_dwordx2 v[27:28], v[16:17], off
	global_load_dwordx4 v[21:24], v[10:11], off
	v_add_co_u32_e64 v6, s[0:1], 16, v6
	v_addc_co_u32_e64 v7, s[0:1], 0, v7, s[0:1]
	v_add_co_u32_e64 v18, s[0:1], 1, v18
	v_addc_co_u32_e64 v19, s[0:1], 0, v19, s[0:1]
	v_cmp_eq_u64_e64 s[0:1], 0, v[18:19]
	s_or_b64 s[10:11], s[0:1], s[10:11]
	s_waitcnt vmcnt(1)
	v_sub_co_u32_e32 v27, vcc, v27, v1
	v_subb_co_u32_e32 v28, vcc, v28, v2, vcc
	v_lshlrev_b64 v[27:28], 3, v[27:28]
	s_waitcnt vmcnt(0)
	v_lshlrev_b32_e32 v25, 16, v21
	v_add_co_u32_e32 v31, vcc, s6, v27
	v_addc_co_u32_e32 v32, vcc, v20, v28, vcc
	global_load_dwordx2 v[33:34], v[31:32], off
	global_load_dwordx4 v[27:30], v[10:11], off offset:16
	v_and_b32_e32 v21, 0xffff0000, v21
	v_lshlrev_b32_e32 v31, 16, v22
	v_and_b32_e32 v22, 0xffff0000, v22
	v_add_co_u32_e32 v10, vcc, s14, v10
	v_lshlrev_b32_e32 v32, 16, v23
	v_and_b32_e32 v23, 0xffff0000, v23
	v_lshlrev_b32_e32 v35, 16, v24
	v_and_b32_e32 v24, 0xffff0000, v24
	v_addc_co_u32_e32 v11, vcc, 0, v11, vcc
	v_add_co_u32_e32 v16, vcc, 0x80, v16
	v_addc_co_u32_e32 v17, vcc, 0, v17, vcc
	s_waitcnt vmcnt(1)
	v_lshlrev_b32_e32 v40, 16, v33
	v_and_b32_e32 v33, 0xffff0000, v33
	v_fmac_f32_e32 v13, v25, v40
	v_fmac_f32_e32 v26, v21, v40
	;; [unrolled: 1-line block ×4, first 2 shown]
	s_waitcnt vmcnt(0)
	v_lshlrev_b32_e32 v36, 16, v27
	v_and_b32_e32 v27, 0xffff0000, v27
	v_lshlrev_b32_e32 v37, 16, v28
	v_and_b32_e32 v28, 0xffff0000, v28
	v_lshlrev_b32_e32 v41, 16, v34
	v_fmac_f32_e32 v13, v32, v33
	v_fmac_f32_e32 v26, v23, v33
	;; [unrolled: 1-line block ×4, first 2 shown]
	v_lshlrev_b32_e32 v38, 16, v29
	v_and_b32_e32 v29, 0xffff0000, v29
	v_lshlrev_b32_e32 v39, 16, v30
	v_and_b32_e32 v30, 0xffff0000, v30
	v_and_b32_e32 v34, 0xffff0000, v34
	v_fmac_f32_e32 v13, v36, v41
	v_fmac_f32_e32 v26, v27, v41
	;; [unrolled: 1-line block ×8, first 2 shown]
	s_andn2_b64 exec, exec, s[10:11]
	s_cbranch_execnz .LBB117_31
; %bb.32:
	s_or_b64 exec, exec, s[10:11]
.LBB117_33:
	s_or_b64 exec, exec, s[8:9]
	v_cmp_lt_u64_e32 vcc, 47, v[14:15]
	s_and_saveexec_b64 s[0:1], vcc
	s_cbranch_execz .LBB117_37
; %bb.34:
	v_lshlrev_b64 v[14:15], 3, v[6:7]
	v_mov_b32_e32 v16, s13
	v_add_co_u32_e32 v14, vcc, s12, v14
	v_addc_co_u32_e32 v15, vcc, v16, v15, vcc
	v_add_co_u32_e32 v14, vcc, 0x100, v14
	v_addc_co_u32_e32 v15, vcc, 0, v15, vcc
	s_mov_b64 s[8:9], 0
	v_mov_b32_e32 v16, s7
	s_movk_i32 s7, 0x800
.LBB117_35:                             ; =>This Inner Loop Header: Depth=1
	global_load_dwordx2 v[17:18], v[14:15], off offset:-256
	s_waitcnt vmcnt(0)
	v_sub_co_u32_e32 v21, vcc, v17, v1
	v_subb_co_u32_e32 v22, vcc, v18, v2, vcc
	v_lshlrev_b64 v[21:22], 3, v[21:22]
	global_load_dwordx4 v[17:20], v[10:11], off
	v_add_co_u32_e32 v21, vcc, s6, v21
	v_addc_co_u32_e32 v22, vcc, v16, v22, vcc
	global_load_dwordx2 v[21:22], v[21:22], off
	s_waitcnt vmcnt(1)
	v_lshlrev_b32_e32 v23, 16, v17
	v_and_b32_e32 v17, 0xffff0000, v17
	s_waitcnt vmcnt(0)
	v_lshlrev_b32_e32 v24, 16, v21
	v_fmac_f32_e32 v26, v17, v24
	v_lshlrev_b32_e32 v17, 16, v18
	v_fmac_f32_e32 v12, v17, v24
	v_and_b32_e32 v17, 0xffff0000, v18
	v_fmac_f32_e32 v13, v23, v24
	v_fmac_f32_e32 v3, v17, v24
	v_lshlrev_b32_e32 v17, 16, v19
	v_and_b32_e32 v18, 0xffff0000, v21
	v_fmac_f32_e32 v13, v17, v18
	v_and_b32_e32 v17, 0xffff0000, v19
	v_fmac_f32_e32 v26, v17, v18
	v_lshlrev_b32_e32 v17, 16, v20
	v_fmac_f32_e32 v12, v17, v18
	v_and_b32_e32 v17, 0xffff0000, v20
	v_fmac_f32_e32 v3, v17, v18
	global_load_dwordx4 v[17:20], v[10:11], off offset:16
	v_lshlrev_b32_e32 v23, 16, v22
	s_waitcnt vmcnt(0)
	v_lshlrev_b32_e32 v21, 16, v17
	v_and_b32_e32 v17, 0xffff0000, v17
	v_fmac_f32_e32 v26, v17, v23
	v_lshlrev_b32_e32 v17, 16, v18
	v_fmac_f32_e32 v12, v17, v23
	v_and_b32_e32 v17, 0xffff0000, v18
	v_fmac_f32_e32 v13, v21, v23
	v_fmac_f32_e32 v3, v17, v23
	v_lshlrev_b32_e32 v17, 16, v19
	v_and_b32_e32 v18, 0xffff0000, v22
	v_fmac_f32_e32 v13, v17, v18
	v_and_b32_e32 v17, 0xffff0000, v19
	v_fmac_f32_e32 v26, v17, v18
	v_lshlrev_b32_e32 v17, 16, v20
	v_fmac_f32_e32 v12, v17, v18
	v_and_b32_e32 v17, 0xffff0000, v20
	v_fmac_f32_e32 v3, v17, v18
	global_load_dwordx2 v[17:18], v[14:15], off offset:-128
	s_waitcnt vmcnt(0)
	v_sub_co_u32_e32 v21, vcc, v17, v1
	v_subb_co_u32_e32 v22, vcc, v18, v2, vcc
	v_lshlrev_b64 v[21:22], 3, v[21:22]
	global_load_dwordx4 v[17:20], v[10:11], off offset:512
	v_add_co_u32_e32 v21, vcc, s6, v21
	v_addc_co_u32_e32 v22, vcc, v16, v22, vcc
	global_load_dwordx2 v[21:22], v[21:22], off
	s_waitcnt vmcnt(1)
	v_lshlrev_b32_e32 v23, 16, v17
	v_and_b32_e32 v17, 0xffff0000, v17
	s_waitcnt vmcnt(0)
	v_lshlrev_b32_e32 v24, 16, v21
	v_fmac_f32_e32 v26, v17, v24
	v_lshlrev_b32_e32 v17, 16, v18
	v_fmac_f32_e32 v12, v17, v24
	v_and_b32_e32 v17, 0xffff0000, v18
	v_fmac_f32_e32 v13, v23, v24
	v_fmac_f32_e32 v3, v17, v24
	v_lshlrev_b32_e32 v17, 16, v19
	v_and_b32_e32 v18, 0xffff0000, v21
	v_fmac_f32_e32 v13, v17, v18
	v_and_b32_e32 v17, 0xffff0000, v19
	v_fmac_f32_e32 v26, v17, v18
	v_lshlrev_b32_e32 v17, 16, v20
	v_fmac_f32_e32 v12, v17, v18
	v_and_b32_e32 v17, 0xffff0000, v20
	v_fmac_f32_e32 v3, v17, v18
	global_load_dwordx4 v[17:20], v[10:11], off offset:528
	v_lshlrev_b32_e32 v23, 16, v22
	s_waitcnt vmcnt(0)
	v_lshlrev_b32_e32 v21, 16, v17
	v_and_b32_e32 v17, 0xffff0000, v17
	v_fmac_f32_e32 v26, v17, v23
	v_lshlrev_b32_e32 v17, 16, v18
	v_fmac_f32_e32 v12, v17, v23
	v_and_b32_e32 v17, 0xffff0000, v18
	v_fmac_f32_e32 v13, v21, v23
	v_fmac_f32_e32 v3, v17, v23
	v_lshlrev_b32_e32 v17, 16, v19
	v_and_b32_e32 v18, 0xffff0000, v22
	v_fmac_f32_e32 v13, v17, v18
	v_and_b32_e32 v17, 0xffff0000, v19
	v_fmac_f32_e32 v26, v17, v18
	v_lshlrev_b32_e32 v17, 16, v20
	v_fmac_f32_e32 v12, v17, v18
	v_and_b32_e32 v17, 0xffff0000, v20
	v_fmac_f32_e32 v3, v17, v18
	global_load_dwordx2 v[17:18], v[14:15], off
	s_waitcnt vmcnt(0)
	v_sub_co_u32_e32 v21, vcc, v17, v1
	v_subb_co_u32_e32 v22, vcc, v18, v2, vcc
	v_lshlrev_b64 v[21:22], 3, v[21:22]
	global_load_dwordx4 v[17:20], v[10:11], off offset:1024
	v_add_co_u32_e32 v21, vcc, s6, v21
	v_addc_co_u32_e32 v22, vcc, v16, v22, vcc
	global_load_dwordx2 v[21:22], v[21:22], off
	s_waitcnt vmcnt(1)
	v_lshlrev_b32_e32 v23, 16, v17
	v_and_b32_e32 v17, 0xffff0000, v17
	s_waitcnt vmcnt(0)
	v_lshlrev_b32_e32 v24, 16, v21
	v_fmac_f32_e32 v26, v17, v24
	v_lshlrev_b32_e32 v17, 16, v18
	v_fmac_f32_e32 v12, v17, v24
	v_and_b32_e32 v17, 0xffff0000, v18
	v_fmac_f32_e32 v13, v23, v24
	v_fmac_f32_e32 v3, v17, v24
	v_lshlrev_b32_e32 v17, 16, v19
	v_and_b32_e32 v18, 0xffff0000, v21
	v_fmac_f32_e32 v13, v17, v18
	v_and_b32_e32 v17, 0xffff0000, v19
	v_fmac_f32_e32 v26, v17, v18
	v_lshlrev_b32_e32 v17, 16, v20
	v_fmac_f32_e32 v12, v17, v18
	v_and_b32_e32 v17, 0xffff0000, v20
	v_fmac_f32_e32 v3, v17, v18
	global_load_dwordx4 v[17:20], v[10:11], off offset:1040
	v_lshlrev_b32_e32 v23, 16, v22
	s_waitcnt vmcnt(0)
	v_lshlrev_b32_e32 v21, 16, v17
	v_and_b32_e32 v17, 0xffff0000, v17
	v_fmac_f32_e32 v26, v17, v23
	v_lshlrev_b32_e32 v17, 16, v18
	v_fmac_f32_e32 v12, v17, v23
	v_and_b32_e32 v17, 0xffff0000, v18
	v_fmac_f32_e32 v13, v21, v23
	v_fmac_f32_e32 v3, v17, v23
	v_lshlrev_b32_e32 v17, 16, v19
	v_and_b32_e32 v18, 0xffff0000, v22
	v_fmac_f32_e32 v13, v17, v18
	v_and_b32_e32 v17, 0xffff0000, v19
	v_fmac_f32_e32 v26, v17, v18
	v_lshlrev_b32_e32 v17, 16, v20
	v_fmac_f32_e32 v12, v17, v18
	v_and_b32_e32 v17, 0xffff0000, v20
	v_fmac_f32_e32 v3, v17, v18
	global_load_dwordx2 v[17:18], v[14:15], off offset:128
	s_waitcnt vmcnt(0)
	v_sub_co_u32_e32 v21, vcc, v17, v1
	v_subb_co_u32_e32 v22, vcc, v18, v2, vcc
	v_lshlrev_b64 v[21:22], 3, v[21:22]
	global_load_dwordx4 v[17:20], v[10:11], off offset:1536
	v_add_co_u32_e32 v21, vcc, s6, v21
	v_addc_co_u32_e32 v22, vcc, v16, v22, vcc
	global_load_dwordx2 v[21:22], v[21:22], off
	s_waitcnt vmcnt(1)
	v_lshlrev_b32_e32 v23, 16, v17
	v_and_b32_e32 v17, 0xffff0000, v17
	s_waitcnt vmcnt(0)
	v_lshlrev_b32_e32 v24, 16, v21
	v_fmac_f32_e32 v26, v17, v24
	v_lshlrev_b32_e32 v17, 16, v18
	v_fmac_f32_e32 v12, v17, v24
	v_and_b32_e32 v17, 0xffff0000, v18
	v_fmac_f32_e32 v13, v23, v24
	v_fmac_f32_e32 v3, v17, v24
	v_lshlrev_b32_e32 v17, 16, v19
	v_and_b32_e32 v18, 0xffff0000, v21
	v_fmac_f32_e32 v13, v17, v18
	v_and_b32_e32 v17, 0xffff0000, v19
	v_fmac_f32_e32 v26, v17, v18
	v_lshlrev_b32_e32 v17, 16, v20
	v_fmac_f32_e32 v12, v17, v18
	v_and_b32_e32 v17, 0xffff0000, v20
	v_fmac_f32_e32 v3, v17, v18
	global_load_dwordx4 v[17:20], v[10:11], off offset:1552
	v_add_co_u32_e32 v10, vcc, s7, v10
	v_lshlrev_b32_e32 v23, 16, v22
	v_addc_co_u32_e32 v11, vcc, 0, v11, vcc
	v_add_co_u32_e32 v6, vcc, 64, v6
	v_addc_co_u32_e32 v7, vcc, 0, v7, vcc
	v_add_co_u32_e32 v14, vcc, 0x200, v14
	v_addc_co_u32_e32 v15, vcc, 0, v15, vcc
	v_cmp_ge_i64_e32 vcc, v[6:7], v[8:9]
	s_or_b64 s[8:9], vcc, s[8:9]
	s_waitcnt vmcnt(0)
	v_lshlrev_b32_e32 v21, 16, v17
	v_and_b32_e32 v17, 0xffff0000, v17
	v_fmac_f32_e32 v26, v17, v23
	v_lshlrev_b32_e32 v17, 16, v18
	v_fmac_f32_e32 v12, v17, v23
	v_and_b32_e32 v17, 0xffff0000, v18
	v_fmac_f32_e32 v13, v21, v23
	v_fmac_f32_e32 v3, v17, v23
	v_lshlrev_b32_e32 v17, 16, v19
	v_and_b32_e32 v18, 0xffff0000, v22
	v_fmac_f32_e32 v13, v17, v18
	v_and_b32_e32 v17, 0xffff0000, v19
	v_fmac_f32_e32 v26, v17, v18
	v_lshlrev_b32_e32 v17, 16, v20
	v_fmac_f32_e32 v12, v17, v18
	v_and_b32_e32 v17, 0xffff0000, v20
	v_fmac_f32_e32 v3, v17, v18
	s_andn2_b64 exec, exec, s[8:9]
	s_cbranch_execnz .LBB117_35
; %bb.36:
	s_or_b64 exec, exec, s[8:9]
.LBB117_37:
	s_or_b64 exec, exec, s[0:1]
.LBB117_38:
	s_or_b64 exec, exec, s[2:3]
.LBB117_39:
	v_mov_b32_dpp v1, v13 row_shr:1 row_mask:0xf bank_mask:0xf
	v_mov_b32_dpp v6, v26 row_shr:1 row_mask:0xf bank_mask:0xf
	v_mov_b32_dpp v8, v12 row_shr:1 row_mask:0xf bank_mask:0xf
	v_mov_b32_dpp v10, v3 row_shr:1 row_mask:0xf bank_mask:0xf
	v_add_f32_e32 v1, v13, v1
	v_add_f32_e32 v6, v26, v6
	v_add_f32_e32 v8, v12, v8
	v_add_f32_e32 v3, v3, v10
	v_mov_b32_dpp v2, v1 row_shr:2 row_mask:0xf bank_mask:0xf
	v_mov_b32_dpp v7, v6 row_shr:2 row_mask:0xf bank_mask:0xf
	v_mov_b32_dpp v9, v8 row_shr:2 row_mask:0xf bank_mask:0xf
	v_mov_b32_dpp v10, v3 row_shr:2 row_mask:0xf bank_mask:0xf
	v_add_f32_e32 v1, v1, v2
	v_add_f32_e32 v6, v6, v7
	v_add_f32_e32 v8, v8, v9
	v_add_f32_e32 v3, v3, v10
	;; [unrolled: 8-line block ×3, first 2 shown]
	v_mov_b32_dpp v2, v1 row_shr:8 row_mask:0xf bank_mask:0xc
	v_mov_b32_dpp v7, v6 row_shr:8 row_mask:0xf bank_mask:0xc
	;; [unrolled: 1-line block ×4, first 2 shown]
	v_cmp_eq_u32_e32 vcc, 15, v0
	s_and_b64 exec, exec, vcc
	s_cbranch_execz .LBB117_10
; %bb.40:
	s_load_dwordx2 s[0:1], s[4:5], 0x58
	v_add_f32_e32 v0, v1, v2
	v_add_f32_e32 v1, v6, v7
	;; [unrolled: 1-line block ×4, first 2 shown]
	v_cmp_eq_f32_e64 s[2:3], s20, 0
	v_lshlrev_b64 v[4:5], 4, v[4:5]
	s_and_b64 vcc, exec, s[2:3]
	v_mul_f32_e32 v0, s16, v0
	v_mul_f32_e32 v1, s16, v1
	;; [unrolled: 1-line block ×4, first 2 shown]
	s_cbranch_vccz .LBB117_42
; %bb.41:
	s_waitcnt lgkmcnt(0)
	v_mov_b32_e32 v7, s1
	v_add_co_u32_e32 v6, vcc, s0, v4
	v_addc_co_u32_e32 v7, vcc, v7, v5, vcc
	global_store_dwordx4 v[6:7], v[0:3], off
	s_cbranch_execnz .LBB117_10
	s_branch .LBB117_43
.LBB117_42:
.LBB117_43:
	s_waitcnt lgkmcnt(0)
	v_mov_b32_e32 v6, s1
	v_add_co_u32_e32 v8, vcc, s0, v4
	v_addc_co_u32_e32 v9, vcc, v6, v5, vcc
	global_load_dwordx4 v[4:7], v[8:9], off
	s_waitcnt vmcnt(0)
	v_fmac_f32_e32 v0, s20, v4
	v_fmac_f32_e32 v1, s20, v5
	;; [unrolled: 1-line block ×4, first 2 shown]
	global_store_dwordx4 v[8:9], v[0:3], off
	s_endpgm
	.section	.rodata,"a",@progbits
	.p2align	6, 0x0
	.amdhsa_kernel _ZN9rocsparseL18bsrxmvn_4x4_kernelILj128ELj16Efll18rocsparse_bfloat16S1_fEEvT3_20rocsparse_direction_NS_24const_host_device_scalarIT1_EES2_PKS2_PKT2_SB_S8_PKT4_PKT5_S6_PT6_21rocsparse_index_base_b
		.amdhsa_group_segment_fixed_size 0
		.amdhsa_private_segment_fixed_size 0
		.amdhsa_kernarg_size 104
		.amdhsa_user_sgpr_count 6
		.amdhsa_user_sgpr_private_segment_buffer 1
		.amdhsa_user_sgpr_dispatch_ptr 0
		.amdhsa_user_sgpr_queue_ptr 0
		.amdhsa_user_sgpr_kernarg_segment_ptr 1
		.amdhsa_user_sgpr_dispatch_id 0
		.amdhsa_user_sgpr_flat_scratch_init 0
		.amdhsa_user_sgpr_private_segment_size 0
		.amdhsa_uses_dynamic_stack 0
		.amdhsa_system_sgpr_private_segment_wavefront_offset 0
		.amdhsa_system_sgpr_workgroup_id_x 1
		.amdhsa_system_sgpr_workgroup_id_y 0
		.amdhsa_system_sgpr_workgroup_id_z 0
		.amdhsa_system_sgpr_workgroup_info 0
		.amdhsa_system_vgpr_workitem_id 0
		.amdhsa_next_free_vgpr 48
		.amdhsa_next_free_sgpr 22
		.amdhsa_reserve_vcc 1
		.amdhsa_reserve_flat_scratch 0
		.amdhsa_float_round_mode_32 0
		.amdhsa_float_round_mode_16_64 0
		.amdhsa_float_denorm_mode_32 3
		.amdhsa_float_denorm_mode_16_64 3
		.amdhsa_dx10_clamp 1
		.amdhsa_ieee_mode 1
		.amdhsa_fp16_overflow 0
		.amdhsa_exception_fp_ieee_invalid_op 0
		.amdhsa_exception_fp_denorm_src 0
		.amdhsa_exception_fp_ieee_div_zero 0
		.amdhsa_exception_fp_ieee_overflow 0
		.amdhsa_exception_fp_ieee_underflow 0
		.amdhsa_exception_fp_ieee_inexact 0
		.amdhsa_exception_int_div_zero 0
	.end_amdhsa_kernel
	.section	.text._ZN9rocsparseL18bsrxmvn_4x4_kernelILj128ELj16Efll18rocsparse_bfloat16S1_fEEvT3_20rocsparse_direction_NS_24const_host_device_scalarIT1_EES2_PKS2_PKT2_SB_S8_PKT4_PKT5_S6_PT6_21rocsparse_index_base_b,"axG",@progbits,_ZN9rocsparseL18bsrxmvn_4x4_kernelILj128ELj16Efll18rocsparse_bfloat16S1_fEEvT3_20rocsparse_direction_NS_24const_host_device_scalarIT1_EES2_PKS2_PKT2_SB_S8_PKT4_PKT5_S6_PT6_21rocsparse_index_base_b,comdat
.Lfunc_end117:
	.size	_ZN9rocsparseL18bsrxmvn_4x4_kernelILj128ELj16Efll18rocsparse_bfloat16S1_fEEvT3_20rocsparse_direction_NS_24const_host_device_scalarIT1_EES2_PKS2_PKT2_SB_S8_PKT4_PKT5_S6_PT6_21rocsparse_index_base_b, .Lfunc_end117-_ZN9rocsparseL18bsrxmvn_4x4_kernelILj128ELj16Efll18rocsparse_bfloat16S1_fEEvT3_20rocsparse_direction_NS_24const_host_device_scalarIT1_EES2_PKS2_PKT2_SB_S8_PKT4_PKT5_S6_PT6_21rocsparse_index_base_b
                                        ; -- End function
	.set _ZN9rocsparseL18bsrxmvn_4x4_kernelILj128ELj16Efll18rocsparse_bfloat16S1_fEEvT3_20rocsparse_direction_NS_24const_host_device_scalarIT1_EES2_PKS2_PKT2_SB_S8_PKT4_PKT5_S6_PT6_21rocsparse_index_base_b.num_vgpr, 48
	.set _ZN9rocsparseL18bsrxmvn_4x4_kernelILj128ELj16Efll18rocsparse_bfloat16S1_fEEvT3_20rocsparse_direction_NS_24const_host_device_scalarIT1_EES2_PKS2_PKT2_SB_S8_PKT4_PKT5_S6_PT6_21rocsparse_index_base_b.num_agpr, 0
	.set _ZN9rocsparseL18bsrxmvn_4x4_kernelILj128ELj16Efll18rocsparse_bfloat16S1_fEEvT3_20rocsparse_direction_NS_24const_host_device_scalarIT1_EES2_PKS2_PKT2_SB_S8_PKT4_PKT5_S6_PT6_21rocsparse_index_base_b.numbered_sgpr, 22
	.set _ZN9rocsparseL18bsrxmvn_4x4_kernelILj128ELj16Efll18rocsparse_bfloat16S1_fEEvT3_20rocsparse_direction_NS_24const_host_device_scalarIT1_EES2_PKS2_PKT2_SB_S8_PKT4_PKT5_S6_PT6_21rocsparse_index_base_b.num_named_barrier, 0
	.set _ZN9rocsparseL18bsrxmvn_4x4_kernelILj128ELj16Efll18rocsparse_bfloat16S1_fEEvT3_20rocsparse_direction_NS_24const_host_device_scalarIT1_EES2_PKS2_PKT2_SB_S8_PKT4_PKT5_S6_PT6_21rocsparse_index_base_b.private_seg_size, 0
	.set _ZN9rocsparseL18bsrxmvn_4x4_kernelILj128ELj16Efll18rocsparse_bfloat16S1_fEEvT3_20rocsparse_direction_NS_24const_host_device_scalarIT1_EES2_PKS2_PKT2_SB_S8_PKT4_PKT5_S6_PT6_21rocsparse_index_base_b.uses_vcc, 1
	.set _ZN9rocsparseL18bsrxmvn_4x4_kernelILj128ELj16Efll18rocsparse_bfloat16S1_fEEvT3_20rocsparse_direction_NS_24const_host_device_scalarIT1_EES2_PKS2_PKT2_SB_S8_PKT4_PKT5_S6_PT6_21rocsparse_index_base_b.uses_flat_scratch, 0
	.set _ZN9rocsparseL18bsrxmvn_4x4_kernelILj128ELj16Efll18rocsparse_bfloat16S1_fEEvT3_20rocsparse_direction_NS_24const_host_device_scalarIT1_EES2_PKS2_PKT2_SB_S8_PKT4_PKT5_S6_PT6_21rocsparse_index_base_b.has_dyn_sized_stack, 0
	.set _ZN9rocsparseL18bsrxmvn_4x4_kernelILj128ELj16Efll18rocsparse_bfloat16S1_fEEvT3_20rocsparse_direction_NS_24const_host_device_scalarIT1_EES2_PKS2_PKT2_SB_S8_PKT4_PKT5_S6_PT6_21rocsparse_index_base_b.has_recursion, 0
	.set _ZN9rocsparseL18bsrxmvn_4x4_kernelILj128ELj16Efll18rocsparse_bfloat16S1_fEEvT3_20rocsparse_direction_NS_24const_host_device_scalarIT1_EES2_PKS2_PKT2_SB_S8_PKT4_PKT5_S6_PT6_21rocsparse_index_base_b.has_indirect_call, 0
	.section	.AMDGPU.csdata,"",@progbits
; Kernel info:
; codeLenInByte = 4168
; TotalNumSgprs: 26
; NumVgprs: 48
; ScratchSize: 0
; MemoryBound: 0
; FloatMode: 240
; IeeeMode: 1
; LDSByteSize: 0 bytes/workgroup (compile time only)
; SGPRBlocks: 3
; VGPRBlocks: 11
; NumSGPRsForWavesPerEU: 26
; NumVGPRsForWavesPerEU: 48
; Occupancy: 5
; WaveLimiterHint : 1
; COMPUTE_PGM_RSRC2:SCRATCH_EN: 0
; COMPUTE_PGM_RSRC2:USER_SGPR: 6
; COMPUTE_PGM_RSRC2:TRAP_HANDLER: 0
; COMPUTE_PGM_RSRC2:TGID_X_EN: 1
; COMPUTE_PGM_RSRC2:TGID_Y_EN: 0
; COMPUTE_PGM_RSRC2:TGID_Z_EN: 0
; COMPUTE_PGM_RSRC2:TIDIG_COMP_CNT: 0
	.section	.text._ZN9rocsparseL18bsrxmvn_4x4_kernelILj128ELj32Efll18rocsparse_bfloat16S1_fEEvT3_20rocsparse_direction_NS_24const_host_device_scalarIT1_EES2_PKS2_PKT2_SB_S8_PKT4_PKT5_S6_PT6_21rocsparse_index_base_b,"axG",@progbits,_ZN9rocsparseL18bsrxmvn_4x4_kernelILj128ELj32Efll18rocsparse_bfloat16S1_fEEvT3_20rocsparse_direction_NS_24const_host_device_scalarIT1_EES2_PKS2_PKT2_SB_S8_PKT4_PKT5_S6_PT6_21rocsparse_index_base_b,comdat
	.globl	_ZN9rocsparseL18bsrxmvn_4x4_kernelILj128ELj32Efll18rocsparse_bfloat16S1_fEEvT3_20rocsparse_direction_NS_24const_host_device_scalarIT1_EES2_PKS2_PKT2_SB_S8_PKT4_PKT5_S6_PT6_21rocsparse_index_base_b ; -- Begin function _ZN9rocsparseL18bsrxmvn_4x4_kernelILj128ELj32Efll18rocsparse_bfloat16S1_fEEvT3_20rocsparse_direction_NS_24const_host_device_scalarIT1_EES2_PKS2_PKT2_SB_S8_PKT4_PKT5_S6_PT6_21rocsparse_index_base_b
	.p2align	8
	.type	_ZN9rocsparseL18bsrxmvn_4x4_kernelILj128ELj32Efll18rocsparse_bfloat16S1_fEEvT3_20rocsparse_direction_NS_24const_host_device_scalarIT1_EES2_PKS2_PKT2_SB_S8_PKT4_PKT5_S6_PT6_21rocsparse_index_base_b,@function
_ZN9rocsparseL18bsrxmvn_4x4_kernelILj128ELj32Efll18rocsparse_bfloat16S1_fEEvT3_20rocsparse_direction_NS_24const_host_device_scalarIT1_EES2_PKS2_PKT2_SB_S8_PKT4_PKT5_S6_PT6_21rocsparse_index_base_b: ; @_ZN9rocsparseL18bsrxmvn_4x4_kernelILj128ELj32Efll18rocsparse_bfloat16S1_fEEvT3_20rocsparse_direction_NS_24const_host_device_scalarIT1_EES2_PKS2_PKT2_SB_S8_PKT4_PKT5_S6_PT6_21rocsparse_index_base_b
; %bb.0:
	s_load_dwordx2 s[0:1], s[4:5], 0x60
	s_load_dwordx4 s[16:19], s[4:5], 0x10
	s_load_dwordx2 s[20:21], s[4:5], 0x50
	s_waitcnt lgkmcnt(0)
	s_bitcmp1_b32 s1, 0
	s_cselect_b64 s[8:9], -1, 0
	s_xor_b64 s[2:3], s[8:9], -1
	s_and_b64 vcc, exec, s[8:9]
	s_cbranch_vccnz .LBB118_2
; %bb.1:
	s_load_dword s16, s[16:17], 0x0
.LBB118_2:
	s_andn2_b64 vcc, exec, s[2:3]
	s_cbranch_vccnz .LBB118_4
; %bb.3:
	s_load_dword s20, s[20:21], 0x0
.LBB118_4:
	s_waitcnt lgkmcnt(0)
	v_cmp_neq_f32_e64 s[2:3], s16, 0
	v_cmp_neq_f32_e64 s[8:9], s20, 1.0
	s_or_b64 s[2:3], s[2:3], s[8:9]
	s_andn2_b64 vcc, exec, s[2:3]
	s_cbranch_vccnz .LBB118_10
; %bb.5:
	s_load_dwordx2 s[8:9], s[4:5], 0x20
	v_lshrrev_b32_e32 v1, 5, v0
	v_lshl_or_b32 v6, s6, 2, v1
	v_mov_b32_e32 v7, 0
	s_mov_b64 s[2:3], 0
	s_waitcnt lgkmcnt(0)
	s_cmp_lg_u64 s[8:9], 0
	s_cbranch_scc0 .LBB118_11
; %bb.6:
	v_cmp_gt_i64_e32 vcc, s[18:19], v[6:7]
                                        ; implicit-def: $vgpr4_vgpr5
                                        ; implicit-def: $vgpr1_vgpr2
	s_and_saveexec_b64 s[6:7], vcc
	s_xor_b64 s[6:7], exec, s[6:7]
	s_cbranch_execz .LBB118_8
; %bb.7:
	v_lshlrev_b64 v[1:2], 3, v[6:7]
	v_mov_b32_e32 v3, s9
	v_add_co_u32_e32 v1, vcc, s8, v1
	v_addc_co_u32_e32 v2, vcc, v3, v2, vcc
	global_load_dwordx2 v[1:2], v[1:2], off
	s_mov_b32 s1, 0
	s_mov_b64 s[2:3], exec
	s_waitcnt vmcnt(0)
	v_subrev_co_u32_e32 v4, vcc, s0, v1
	v_subbrev_co_u32_e32 v5, vcc, 0, v2, vcc
	v_mov_b32_e32 v2, s1
	v_mov_b32_e32 v1, s0
.LBB118_8:
	s_or_b64 exec, exec, s[6:7]
.LBB118_9:
	s_and_saveexec_b64 s[0:1], s[2:3]
	s_cbranch_execnz .LBB118_15
.LBB118_10:
	s_endpgm
.LBB118_11:
                                        ; implicit-def: $vgpr4_vgpr5
                                        ; implicit-def: $vgpr1_vgpr2
	s_cbranch_execz .LBB118_9
; %bb.12:
	s_load_dwordx2 s[6:7], s[4:5], 0x0
	s_waitcnt lgkmcnt(0)
	v_cmp_gt_i64_e32 vcc, s[6:7], v[6:7]
	s_and_saveexec_b64 s[6:7], vcc
; %bb.13:
	s_mov_b32 s1, 0
	s_or_b64 s[2:3], s[2:3], exec
; %bb.14:
	s_or_b64 exec, exec, s[6:7]
	v_mov_b32_e32 v2, s1
	v_mov_b32_e32 v4, v6
	;; [unrolled: 1-line block ×4, first 2 shown]
	s_and_saveexec_b64 s[0:1], s[2:3]
	s_cbranch_execz .LBB118_10
.LBB118_15:
	s_load_dwordx8 s[8:15], s[4:5], 0x28
	v_lshlrev_b64 v[6:7], 3, v[4:5]
	v_and_b32_e32 v0, 31, v0
	s_waitcnt lgkmcnt(0)
	v_mov_b32_e32 v3, s9
	v_add_co_u32_e32 v8, vcc, s8, v6
	v_addc_co_u32_e32 v9, vcc, v3, v7, vcc
	v_add_co_u32_e32 v3, vcc, 8, v8
	global_load_dwordx2 v[14:15], v[8:9], off
	v_addc_co_u32_e32 v8, vcc, 0, v9, vcc
	v_mov_b32_e32 v9, s11
	v_add_co_u32_e32 v6, vcc, s10, v6
	s_cmp_eq_u64 s[10:11], 0
	v_addc_co_u32_e32 v7, vcc, v9, v7, vcc
	s_cselect_b64 vcc, -1, 0
	v_cndmask_b32_e32 v7, v7, v8, vcc
	v_cndmask_b32_e32 v6, v6, v3, vcc
	global_load_dwordx2 v[8:9], v[6:7], off
	s_load_dword s0, s[4:5], 0x8
	s_load_dwordx2 s[6:7], s[4:5], 0x48
	v_mov_b32_e32 v12, s15
	v_mov_b32_e32 v3, 0
	s_waitcnt lgkmcnt(0)
	s_cmp_eq_u32 s0, 1
	s_waitcnt vmcnt(1)
	v_sub_co_u32_e32 v6, vcc, v14, v1
	v_subb_co_u32_e32 v7, vcc, v15, v2, vcc
	v_add_co_u32_e32 v6, vcc, v6, v0
	v_addc_co_u32_e32 v7, vcc, 0, v7, vcc
	v_lshlrev_b64 v[10:11], 5, v[6:7]
	s_waitcnt vmcnt(0)
	v_sub_co_u32_e32 v8, vcc, v8, v1
	v_subb_co_u32_e32 v9, vcc, v9, v2, vcc
	v_cmp_lt_i64_e64 s[0:1], v[6:7], v[8:9]
	v_add_co_u32_e32 v10, vcc, s14, v10
	v_addc_co_u32_e32 v11, vcc, v12, v11, vcc
	s_cbranch_scc1 .LBB118_27
; %bb.16:
	v_mov_b32_e32 v12, 0
	v_mov_b32_e32 v26, 0
	;; [unrolled: 1-line block ×3, first 2 shown]
	s_and_saveexec_b64 s[8:9], s[0:1]
	s_cbranch_execz .LBB118_26
; %bb.17:
	v_or_b32_e32 v3, 32, v0
	v_sub_co_u32_e32 v3, vcc, v3, v1
	v_subb_co_u32_e32 v13, vcc, 0, v2, vcc
	v_add_co_u32_e32 v12, vcc, v3, v14
	v_addc_co_u32_e32 v13, vcc, v13, v15, vcc
	v_cmp_gt_i64_e32 vcc, v[12:13], v[8:9]
	v_not_b32_e32 v16, v14
	v_cndmask_b32_e32 v3, v9, v13, vcc
	v_cndmask_b32_e32 v12, v8, v12, vcc
	v_sub_co_u32_e32 v17, vcc, v1, v0
	v_subbrev_co_u32_e32 v18, vcc, 0, v2, vcc
	v_not_b32_e32 v13, v15
	v_add_co_u32_e32 v16, vcc, v17, v16
	v_addc_co_u32_e32 v13, vcc, v18, v13, vcc
	v_add_co_u32_e32 v20, vcc, v16, v12
	v_addc_co_u32_e32 v21, vcc, v13, v3, vcc
	v_and_b32_e32 v12, 0x60, v20
	v_mov_b32_e32 v13, 0
	s_mov_b64 s[2:3], 0x60
	v_cmp_ne_u64_e32 vcc, s[2:3], v[12:13]
	v_mov_b32_e32 v17, v7
	v_mov_b32_e32 v19, v11
	;; [unrolled: 1-line block ×7, first 2 shown]
	s_and_saveexec_b64 s[10:11], vcc
	s_cbranch_execz .LBB118_21
; %bb.18:
	v_lshlrev_b64 v[12:13], 3, v[6:7]
	v_lshrrev_b32_e32 v3, 5, v20
	v_add_u32_e32 v3, 1, v3
	v_mov_b32_e32 v17, s13
	v_add_co_u32_e32 v22, vcc, s12, v12
	v_and_b32_e32 v16, 3, v3
	v_addc_co_u32_e32 v23, vcc, v17, v13, vcc
	v_sub_co_u32_e32 v24, vcc, 0, v16
	v_mov_b32_e32 v19, v11
	v_mov_b32_e32 v17, v7
	;; [unrolled: 1-line block ×3, first 2 shown]
	s_mov_b64 s[14:15], 0
	v_subb_co_u32_e64 v25, s[2:3], 0, 0, vcc
	s_movk_i32 s17, 0x400
	v_mov_b32_e32 v27, s7
	v_mov_b32_e32 v18, v10
	;; [unrolled: 1-line block ×6, first 2 shown]
.LBB118_19:                             ; =>This Inner Loop Header: Depth=1
	global_load_dwordx2 v[36:37], v[22:23], off
	global_load_dwordx4 v[28:31], v[18:19], off
	global_load_dwordx4 v[32:35], v[18:19], off offset:16
	s_waitcnt vmcnt(2)
	v_sub_co_u32_e32 v36, vcc, v36, v1
	v_subb_co_u32_e32 v37, vcc, v37, v2, vcc
	v_lshlrev_b64 v[36:37], 3, v[36:37]
	s_waitcnt vmcnt(1)
	v_lshlrev_b32_e32 v38, 16, v28
	v_add_co_u32_e32 v36, vcc, s6, v36
	v_addc_co_u32_e32 v37, vcc, v27, v37, vcc
	global_load_dwordx2 v[36:37], v[36:37], off
	v_add_co_u32_e32 v18, vcc, s17, v18
	s_mov_b64 s[2:3], vcc
	v_add_co_u32_e32 v16, vcc, 32, v16
	v_addc_co_u32_e32 v17, vcc, 0, v17, vcc
	v_add_co_u32_e32 v24, vcc, 1, v24
	v_lshlrev_b32_e32 v40, 16, v30
	s_waitcnt vmcnt(1)
	v_lshlrev_b32_e32 v42, 16, v32
	v_lshlrev_b32_e32 v44, 16, v34
	v_addc_co_u32_e32 v25, vcc, 0, v25, vcc
	v_addc_co_u32_e64 v19, s[2:3], 0, v19, s[2:3]
	v_and_b32_e32 v28, 0xffff0000, v28
	v_and_b32_e32 v30, 0xffff0000, v30
	;; [unrolled: 1-line block ×4, first 2 shown]
	v_cmp_eq_u64_e64 s[2:3], 0, v[24:25]
	v_lshlrev_b32_e32 v39, 16, v29
	v_lshlrev_b32_e32 v41, 16, v31
	;; [unrolled: 1-line block ×4, first 2 shown]
	v_add_co_u32_e32 v22, vcc, 0x100, v22
	v_and_b32_e32 v29, 0xffff0000, v29
	v_and_b32_e32 v31, 0xffff0000, v31
	;; [unrolled: 1-line block ×4, first 2 shown]
	v_addc_co_u32_e32 v23, vcc, 0, v23, vcc
	s_or_b64 s[14:15], s[2:3], s[14:15]
	s_waitcnt vmcnt(0)
	v_lshlrev_b32_e32 v46, 16, v36
	v_and_b32_e32 v36, 0xffff0000, v36
	v_fmac_f32_e32 v13, v38, v46
	v_fmac_f32_e32 v26, v40, v46
	;; [unrolled: 1-line block ×4, first 2 shown]
	v_lshlrev_b32_e32 v47, 16, v37
	v_fmac_f32_e32 v13, v28, v36
	v_fmac_f32_e32 v26, v30, v36
	;; [unrolled: 1-line block ×4, first 2 shown]
	v_and_b32_e32 v37, 0xffff0000, v37
	v_fmac_f32_e32 v13, v39, v47
	v_fmac_f32_e32 v26, v41, v47
	;; [unrolled: 1-line block ×8, first 2 shown]
	s_andn2_b64 exec, exec, s[14:15]
	s_cbranch_execnz .LBB118_19
; %bb.20:
	s_or_b64 exec, exec, s[14:15]
.LBB118_21:
	s_or_b64 exec, exec, s[10:11]
	s_mov_b64 s[2:3], 0x5f
	v_cmp_lt_u64_e32 vcc, s[2:3], v[20:21]
	s_and_saveexec_b64 s[2:3], vcc
	s_cbranch_execz .LBB118_25
; %bb.22:
	v_lshlrev_b64 v[20:21], 3, v[16:17]
	v_mov_b32_e32 v22, s13
	v_add_co_u32_e32 v20, vcc, s12, v20
	v_addc_co_u32_e32 v21, vcc, v22, v21, vcc
	v_add_co_u32_e32 v20, vcc, 0x200, v20
	v_addc_co_u32_e32 v21, vcc, 0, v21, vcc
	s_mov_b64 s[10:11], 0
	v_mov_b32_e32 v22, s7
	s_movk_i32 s14, 0x1000
.LBB118_23:                             ; =>This Inner Loop Header: Depth=1
	global_load_dwordx2 v[23:24], v[20:21], off offset:-512
	global_load_dwordx4 v[27:30], v[18:19], off
	s_waitcnt vmcnt(1)
	v_sub_co_u32_e32 v23, vcc, v23, v1
	v_subb_co_u32_e32 v24, vcc, v24, v2, vcc
	v_lshlrev_b64 v[23:24], 3, v[23:24]
	s_waitcnt vmcnt(0)
	v_lshlrev_b32_e32 v25, 16, v27
	v_add_co_u32_e32 v23, vcc, s6, v23
	v_addc_co_u32_e32 v24, vcc, v22, v24, vcc
	global_load_dwordx2 v[23:24], v[23:24], off
	s_waitcnt vmcnt(0)
	v_lshlrev_b32_e32 v31, 16, v23
	v_fmac_f32_e32 v13, v25, v31
	v_and_b32_e32 v25, 0xffff0000, v27
	v_and_b32_e32 v23, 0xffff0000, v23
	v_fmac_f32_e32 v13, v25, v23
	v_lshlrev_b32_e32 v25, 16, v28
	v_lshlrev_b32_e32 v32, 16, v24
	v_fmac_f32_e32 v13, v25, v32
	v_and_b32_e32 v25, 0xffff0000, v28
	v_and_b32_e32 v24, 0xffff0000, v24
	v_fmac_f32_e32 v13, v25, v24
	v_lshlrev_b32_e32 v25, 16, v29
	v_fmac_f32_e32 v26, v25, v31
	v_and_b32_e32 v25, 0xffff0000, v29
	v_fmac_f32_e32 v26, v25, v23
	v_lshlrev_b32_e32 v25, 16, v30
	v_fmac_f32_e32 v26, v25, v32
	v_and_b32_e32 v25, 0xffff0000, v30
	global_load_dwordx4 v[27:30], v[18:19], off offset:16
	v_fmac_f32_e32 v26, v25, v24
	s_waitcnt vmcnt(0)
	v_lshlrev_b32_e32 v25, 16, v27
	v_fmac_f32_e32 v12, v25, v31
	v_and_b32_e32 v25, 0xffff0000, v27
	v_fmac_f32_e32 v12, v25, v23
	v_lshlrev_b32_e32 v25, 16, v28
	v_fmac_f32_e32 v12, v25, v32
	v_and_b32_e32 v25, 0xffff0000, v28
	v_fmac_f32_e32 v12, v25, v24
	;; [unrolled: 4-line block ×4, first 2 shown]
	global_load_dwordx2 v[23:24], v[20:21], off offset:-256
	global_load_dwordx4 v[27:30], v[18:19], off offset:1024
	s_waitcnt vmcnt(1)
	v_sub_co_u32_e32 v23, vcc, v23, v1
	v_subb_co_u32_e32 v24, vcc, v24, v2, vcc
	v_lshlrev_b64 v[23:24], 3, v[23:24]
	s_waitcnt vmcnt(0)
	v_lshlrev_b32_e32 v25, 16, v27
	v_add_co_u32_e32 v23, vcc, s6, v23
	v_addc_co_u32_e32 v24, vcc, v22, v24, vcc
	global_load_dwordx2 v[23:24], v[23:24], off
	s_waitcnt vmcnt(0)
	v_lshlrev_b32_e32 v31, 16, v23
	v_fmac_f32_e32 v13, v25, v31
	v_and_b32_e32 v25, 0xffff0000, v27
	v_and_b32_e32 v23, 0xffff0000, v23
	v_fmac_f32_e32 v13, v25, v23
	v_lshlrev_b32_e32 v25, 16, v28
	v_lshlrev_b32_e32 v32, 16, v24
	v_fmac_f32_e32 v13, v25, v32
	v_and_b32_e32 v25, 0xffff0000, v28
	v_and_b32_e32 v24, 0xffff0000, v24
	v_fmac_f32_e32 v13, v25, v24
	v_lshlrev_b32_e32 v25, 16, v29
	v_fmac_f32_e32 v26, v25, v31
	v_and_b32_e32 v25, 0xffff0000, v29
	v_fmac_f32_e32 v26, v25, v23
	v_lshlrev_b32_e32 v25, 16, v30
	v_fmac_f32_e32 v26, v25, v32
	v_and_b32_e32 v25, 0xffff0000, v30
	global_load_dwordx4 v[27:30], v[18:19], off offset:1040
	v_fmac_f32_e32 v26, v25, v24
	s_waitcnt vmcnt(0)
	v_lshlrev_b32_e32 v25, 16, v27
	v_fmac_f32_e32 v12, v25, v31
	v_and_b32_e32 v25, 0xffff0000, v27
	v_fmac_f32_e32 v12, v25, v23
	v_lshlrev_b32_e32 v25, 16, v28
	v_fmac_f32_e32 v12, v25, v32
	v_and_b32_e32 v25, 0xffff0000, v28
	v_fmac_f32_e32 v12, v25, v24
	;; [unrolled: 4-line block ×4, first 2 shown]
	global_load_dwordx2 v[23:24], v[20:21], off
	global_load_dwordx4 v[27:30], v[18:19], off offset:2048
	s_waitcnt vmcnt(1)
	v_sub_co_u32_e32 v23, vcc, v23, v1
	v_subb_co_u32_e32 v24, vcc, v24, v2, vcc
	v_lshlrev_b64 v[23:24], 3, v[23:24]
	s_waitcnt vmcnt(0)
	v_lshlrev_b32_e32 v25, 16, v27
	v_add_co_u32_e32 v23, vcc, s6, v23
	v_addc_co_u32_e32 v24, vcc, v22, v24, vcc
	global_load_dwordx2 v[23:24], v[23:24], off
	s_waitcnt vmcnt(0)
	v_lshlrev_b32_e32 v31, 16, v23
	v_fmac_f32_e32 v13, v25, v31
	v_and_b32_e32 v25, 0xffff0000, v27
	v_and_b32_e32 v23, 0xffff0000, v23
	v_fmac_f32_e32 v13, v25, v23
	v_lshlrev_b32_e32 v25, 16, v28
	v_lshlrev_b32_e32 v32, 16, v24
	v_fmac_f32_e32 v13, v25, v32
	v_and_b32_e32 v25, 0xffff0000, v28
	v_and_b32_e32 v24, 0xffff0000, v24
	v_fmac_f32_e32 v13, v25, v24
	v_lshlrev_b32_e32 v25, 16, v29
	v_fmac_f32_e32 v26, v25, v31
	v_and_b32_e32 v25, 0xffff0000, v29
	v_fmac_f32_e32 v26, v25, v23
	v_lshlrev_b32_e32 v25, 16, v30
	v_fmac_f32_e32 v26, v25, v32
	v_and_b32_e32 v25, 0xffff0000, v30
	global_load_dwordx4 v[27:30], v[18:19], off offset:2064
	v_fmac_f32_e32 v26, v25, v24
	s_waitcnt vmcnt(0)
	v_lshlrev_b32_e32 v25, 16, v27
	v_fmac_f32_e32 v12, v25, v31
	v_and_b32_e32 v25, 0xffff0000, v27
	v_fmac_f32_e32 v12, v25, v23
	v_lshlrev_b32_e32 v25, 16, v28
	v_fmac_f32_e32 v12, v25, v32
	v_and_b32_e32 v25, 0xffff0000, v28
	v_fmac_f32_e32 v12, v25, v24
	;; [unrolled: 4-line block ×4, first 2 shown]
	global_load_dwordx2 v[23:24], v[20:21], off offset:256
	global_load_dwordx4 v[27:30], v[18:19], off offset:3072
	s_waitcnt vmcnt(1)
	v_sub_co_u32_e32 v23, vcc, v23, v1
	v_subb_co_u32_e32 v24, vcc, v24, v2, vcc
	v_lshlrev_b64 v[23:24], 3, v[23:24]
	s_waitcnt vmcnt(0)
	v_lshlrev_b32_e32 v25, 16, v27
	v_add_co_u32_e32 v23, vcc, s6, v23
	v_addc_co_u32_e32 v24, vcc, v22, v24, vcc
	global_load_dwordx2 v[23:24], v[23:24], off
	s_waitcnt vmcnt(0)
	v_lshlrev_b32_e32 v31, 16, v23
	v_fmac_f32_e32 v13, v25, v31
	v_and_b32_e32 v25, 0xffff0000, v27
	v_and_b32_e32 v23, 0xffff0000, v23
	v_fmac_f32_e32 v13, v25, v23
	v_lshlrev_b32_e32 v25, 16, v28
	v_lshlrev_b32_e32 v32, 16, v24
	v_fmac_f32_e32 v13, v25, v32
	v_and_b32_e32 v25, 0xffff0000, v28
	v_and_b32_e32 v24, 0xffff0000, v24
	v_fmac_f32_e32 v13, v25, v24
	v_lshlrev_b32_e32 v25, 16, v29
	v_fmac_f32_e32 v26, v25, v31
	v_and_b32_e32 v25, 0xffff0000, v29
	v_fmac_f32_e32 v26, v25, v23
	v_lshlrev_b32_e32 v25, 16, v30
	v_fmac_f32_e32 v26, v25, v32
	v_and_b32_e32 v25, 0xffff0000, v30
	global_load_dwordx4 v[27:30], v[18:19], off offset:3088
	v_fmac_f32_e32 v26, v25, v24
	v_add_co_u32_e32 v18, vcc, s14, v18
	v_addc_co_u32_e32 v19, vcc, 0, v19, vcc
	v_add_co_u32_e32 v16, vcc, 0x80, v16
	v_addc_co_u32_e32 v17, vcc, 0, v17, vcc
	;; [unrolled: 2-line block ×3, first 2 shown]
	v_cmp_ge_i64_e32 vcc, v[16:17], v[8:9]
	s_or_b64 s[10:11], vcc, s[10:11]
	s_waitcnt vmcnt(0)
	v_lshlrev_b32_e32 v25, 16, v27
	v_fmac_f32_e32 v12, v25, v31
	v_and_b32_e32 v25, 0xffff0000, v27
	v_fmac_f32_e32 v12, v25, v23
	v_lshlrev_b32_e32 v25, 16, v28
	v_fmac_f32_e32 v12, v25, v32
	v_and_b32_e32 v25, 0xffff0000, v28
	v_fmac_f32_e32 v12, v25, v24
	;; [unrolled: 4-line block ×4, first 2 shown]
	s_andn2_b64 exec, exec, s[10:11]
	s_cbranch_execnz .LBB118_23
; %bb.24:
	s_or_b64 exec, exec, s[10:11]
.LBB118_25:
	s_or_b64 exec, exec, s[2:3]
.LBB118_26:
	s_or_b64 exec, exec, s[8:9]
	s_cbranch_execz .LBB118_28
	s_branch .LBB118_39
.LBB118_27:
                                        ; implicit-def: $vgpr3
                                        ; implicit-def: $vgpr12
                                        ; implicit-def: $vgpr26
                                        ; implicit-def: $vgpr13
.LBB118_28:
	v_mov_b32_e32 v3, 0
	v_mov_b32_e32 v12, 0
	;; [unrolled: 1-line block ×4, first 2 shown]
	s_and_saveexec_b64 s[2:3], s[0:1]
	s_cbranch_execz .LBB118_38
; %bb.29:
	v_or_b32_e32 v3, 32, v0
	v_sub_co_u32_e32 v3, vcc, v3, v1
	v_subb_co_u32_e32 v13, vcc, 0, v2, vcc
	v_add_co_u32_e32 v12, vcc, v3, v14
	v_addc_co_u32_e32 v13, vcc, v13, v15, vcc
	v_cmp_gt_i64_e32 vcc, v[12:13], v[8:9]
	v_not_b32_e32 v14, v14
	v_cndmask_b32_e32 v3, v9, v13, vcc
	v_cndmask_b32_e32 v12, v8, v12, vcc
	v_not_b32_e32 v13, v15
	v_sub_co_u32_e32 v15, vcc, v1, v0
	v_subbrev_co_u32_e32 v16, vcc, 0, v2, vcc
	v_add_co_u32_e32 v14, vcc, v15, v14
	v_addc_co_u32_e32 v13, vcc, v16, v13, vcc
	v_add_co_u32_e32 v14, vcc, v14, v12
	v_addc_co_u32_e32 v15, vcc, v13, v3, vcc
	v_and_b32_e32 v12, 0x60, v14
	v_mov_b32_e32 v13, 0
	s_mov_b64 s[0:1], 0x60
	v_cmp_ne_u64_e32 vcc, s[0:1], v[12:13]
	v_mov_b32_e32 v26, v13
	v_mov_b32_e32 v12, v13
	;; [unrolled: 1-line block ×3, first 2 shown]
	s_and_saveexec_b64 s[8:9], vcc
	s_cbranch_execz .LBB118_33
; %bb.30:
	v_lshlrev_b64 v[12:13], 3, v[6:7]
	v_lshrrev_b32_e32 v3, 5, v14
	v_add_u32_e32 v3, 1, v3
	v_mov_b32_e32 v17, s13
	v_add_co_u32_e32 v16, vcc, s12, v12
	v_and_b32_e32 v18, 3, v3
	v_addc_co_u32_e32 v17, vcc, v17, v13, vcc
	v_sub_co_u32_e32 v18, vcc, 0, v18
	v_mov_b32_e32 v3, 0
	s_mov_b64 s[10:11], 0
	v_subb_co_u32_e64 v19, s[0:1], 0, 0, vcc
	s_movk_i32 s14, 0x400
	v_mov_b32_e32 v20, s7
	v_mov_b32_e32 v12, 0
	;; [unrolled: 1-line block ×4, first 2 shown]
.LBB118_31:                             ; =>This Inner Loop Header: Depth=1
	global_load_dwordx2 v[27:28], v[16:17], off
	global_load_dwordx4 v[21:24], v[10:11], off
	v_add_co_u32_e64 v6, s[0:1], 32, v6
	v_addc_co_u32_e64 v7, s[0:1], 0, v7, s[0:1]
	v_add_co_u32_e64 v18, s[0:1], 1, v18
	v_addc_co_u32_e64 v19, s[0:1], 0, v19, s[0:1]
	v_cmp_eq_u64_e64 s[0:1], 0, v[18:19]
	s_or_b64 s[10:11], s[0:1], s[10:11]
	s_waitcnt vmcnt(1)
	v_sub_co_u32_e32 v27, vcc, v27, v1
	v_subb_co_u32_e32 v28, vcc, v28, v2, vcc
	v_lshlrev_b64 v[27:28], 3, v[27:28]
	s_waitcnt vmcnt(0)
	v_lshlrev_b32_e32 v25, 16, v21
	v_add_co_u32_e32 v31, vcc, s6, v27
	v_addc_co_u32_e32 v32, vcc, v20, v28, vcc
	global_load_dwordx2 v[33:34], v[31:32], off
	global_load_dwordx4 v[27:30], v[10:11], off offset:16
	v_and_b32_e32 v21, 0xffff0000, v21
	v_lshlrev_b32_e32 v31, 16, v22
	v_and_b32_e32 v22, 0xffff0000, v22
	v_add_co_u32_e32 v10, vcc, s14, v10
	v_lshlrev_b32_e32 v32, 16, v23
	v_and_b32_e32 v23, 0xffff0000, v23
	v_lshlrev_b32_e32 v35, 16, v24
	v_and_b32_e32 v24, 0xffff0000, v24
	v_addc_co_u32_e32 v11, vcc, 0, v11, vcc
	v_add_co_u32_e32 v16, vcc, 0x100, v16
	v_addc_co_u32_e32 v17, vcc, 0, v17, vcc
	s_waitcnt vmcnt(1)
	v_lshlrev_b32_e32 v40, 16, v33
	v_and_b32_e32 v33, 0xffff0000, v33
	v_fmac_f32_e32 v13, v25, v40
	v_fmac_f32_e32 v26, v21, v40
	;; [unrolled: 1-line block ×4, first 2 shown]
	s_waitcnt vmcnt(0)
	v_lshlrev_b32_e32 v36, 16, v27
	v_and_b32_e32 v27, 0xffff0000, v27
	v_lshlrev_b32_e32 v37, 16, v28
	v_and_b32_e32 v28, 0xffff0000, v28
	v_lshlrev_b32_e32 v41, 16, v34
	v_fmac_f32_e32 v13, v32, v33
	v_fmac_f32_e32 v26, v23, v33
	;; [unrolled: 1-line block ×4, first 2 shown]
	v_lshlrev_b32_e32 v38, 16, v29
	v_and_b32_e32 v29, 0xffff0000, v29
	v_lshlrev_b32_e32 v39, 16, v30
	v_and_b32_e32 v30, 0xffff0000, v30
	v_and_b32_e32 v34, 0xffff0000, v34
	v_fmac_f32_e32 v13, v36, v41
	v_fmac_f32_e32 v26, v27, v41
	v_fmac_f32_e32 v12, v37, v41
	v_fmac_f32_e32 v3, v28, v41
	v_fmac_f32_e32 v13, v38, v34
	v_fmac_f32_e32 v26, v29, v34
	v_fmac_f32_e32 v12, v39, v34
	v_fmac_f32_e32 v3, v30, v34
	s_andn2_b64 exec, exec, s[10:11]
	s_cbranch_execnz .LBB118_31
; %bb.32:
	s_or_b64 exec, exec, s[10:11]
.LBB118_33:
	s_or_b64 exec, exec, s[8:9]
	s_mov_b64 s[0:1], 0x5f
	v_cmp_lt_u64_e32 vcc, s[0:1], v[14:15]
	s_and_saveexec_b64 s[0:1], vcc
	s_cbranch_execz .LBB118_37
; %bb.34:
	v_lshlrev_b64 v[14:15], 3, v[6:7]
	v_mov_b32_e32 v16, s13
	v_add_co_u32_e32 v14, vcc, s12, v14
	v_addc_co_u32_e32 v15, vcc, v16, v15, vcc
	v_add_co_u32_e32 v14, vcc, 0x200, v14
	v_addc_co_u32_e32 v15, vcc, 0, v15, vcc
	s_mov_b64 s[8:9], 0
	v_mov_b32_e32 v16, s7
	s_movk_i32 s7, 0x1000
.LBB118_35:                             ; =>This Inner Loop Header: Depth=1
	global_load_dwordx2 v[17:18], v[14:15], off offset:-512
	s_waitcnt vmcnt(0)
	v_sub_co_u32_e32 v21, vcc, v17, v1
	v_subb_co_u32_e32 v22, vcc, v18, v2, vcc
	v_lshlrev_b64 v[21:22], 3, v[21:22]
	global_load_dwordx4 v[17:20], v[10:11], off
	v_add_co_u32_e32 v21, vcc, s6, v21
	v_addc_co_u32_e32 v22, vcc, v16, v22, vcc
	global_load_dwordx2 v[21:22], v[21:22], off
	s_waitcnt vmcnt(1)
	v_lshlrev_b32_e32 v23, 16, v17
	v_and_b32_e32 v17, 0xffff0000, v17
	s_waitcnt vmcnt(0)
	v_lshlrev_b32_e32 v24, 16, v21
	v_fmac_f32_e32 v26, v17, v24
	v_lshlrev_b32_e32 v17, 16, v18
	v_fmac_f32_e32 v12, v17, v24
	v_and_b32_e32 v17, 0xffff0000, v18
	v_fmac_f32_e32 v13, v23, v24
	v_fmac_f32_e32 v3, v17, v24
	v_lshlrev_b32_e32 v17, 16, v19
	v_and_b32_e32 v18, 0xffff0000, v21
	v_fmac_f32_e32 v13, v17, v18
	v_and_b32_e32 v17, 0xffff0000, v19
	v_fmac_f32_e32 v26, v17, v18
	v_lshlrev_b32_e32 v17, 16, v20
	v_fmac_f32_e32 v12, v17, v18
	v_and_b32_e32 v17, 0xffff0000, v20
	v_fmac_f32_e32 v3, v17, v18
	global_load_dwordx4 v[17:20], v[10:11], off offset:16
	v_lshlrev_b32_e32 v23, 16, v22
	s_waitcnt vmcnt(0)
	v_lshlrev_b32_e32 v21, 16, v17
	v_and_b32_e32 v17, 0xffff0000, v17
	v_fmac_f32_e32 v26, v17, v23
	v_lshlrev_b32_e32 v17, 16, v18
	v_fmac_f32_e32 v12, v17, v23
	v_and_b32_e32 v17, 0xffff0000, v18
	v_fmac_f32_e32 v13, v21, v23
	v_fmac_f32_e32 v3, v17, v23
	v_lshlrev_b32_e32 v17, 16, v19
	v_and_b32_e32 v18, 0xffff0000, v22
	v_fmac_f32_e32 v13, v17, v18
	v_and_b32_e32 v17, 0xffff0000, v19
	v_fmac_f32_e32 v26, v17, v18
	v_lshlrev_b32_e32 v17, 16, v20
	v_fmac_f32_e32 v12, v17, v18
	v_and_b32_e32 v17, 0xffff0000, v20
	v_fmac_f32_e32 v3, v17, v18
	global_load_dwordx2 v[17:18], v[14:15], off offset:-256
	s_waitcnt vmcnt(0)
	v_sub_co_u32_e32 v21, vcc, v17, v1
	v_subb_co_u32_e32 v22, vcc, v18, v2, vcc
	v_lshlrev_b64 v[21:22], 3, v[21:22]
	global_load_dwordx4 v[17:20], v[10:11], off offset:1024
	v_add_co_u32_e32 v21, vcc, s6, v21
	v_addc_co_u32_e32 v22, vcc, v16, v22, vcc
	global_load_dwordx2 v[21:22], v[21:22], off
	s_waitcnt vmcnt(1)
	v_lshlrev_b32_e32 v23, 16, v17
	v_and_b32_e32 v17, 0xffff0000, v17
	s_waitcnt vmcnt(0)
	v_lshlrev_b32_e32 v24, 16, v21
	v_fmac_f32_e32 v26, v17, v24
	v_lshlrev_b32_e32 v17, 16, v18
	v_fmac_f32_e32 v12, v17, v24
	v_and_b32_e32 v17, 0xffff0000, v18
	v_fmac_f32_e32 v13, v23, v24
	v_fmac_f32_e32 v3, v17, v24
	v_lshlrev_b32_e32 v17, 16, v19
	v_and_b32_e32 v18, 0xffff0000, v21
	v_fmac_f32_e32 v13, v17, v18
	v_and_b32_e32 v17, 0xffff0000, v19
	v_fmac_f32_e32 v26, v17, v18
	v_lshlrev_b32_e32 v17, 16, v20
	v_fmac_f32_e32 v12, v17, v18
	v_and_b32_e32 v17, 0xffff0000, v20
	v_fmac_f32_e32 v3, v17, v18
	global_load_dwordx4 v[17:20], v[10:11], off offset:1040
	v_lshlrev_b32_e32 v23, 16, v22
	s_waitcnt vmcnt(0)
	v_lshlrev_b32_e32 v21, 16, v17
	v_and_b32_e32 v17, 0xffff0000, v17
	v_fmac_f32_e32 v26, v17, v23
	v_lshlrev_b32_e32 v17, 16, v18
	v_fmac_f32_e32 v12, v17, v23
	v_and_b32_e32 v17, 0xffff0000, v18
	v_fmac_f32_e32 v13, v21, v23
	v_fmac_f32_e32 v3, v17, v23
	v_lshlrev_b32_e32 v17, 16, v19
	v_and_b32_e32 v18, 0xffff0000, v22
	v_fmac_f32_e32 v13, v17, v18
	v_and_b32_e32 v17, 0xffff0000, v19
	v_fmac_f32_e32 v26, v17, v18
	v_lshlrev_b32_e32 v17, 16, v20
	v_fmac_f32_e32 v12, v17, v18
	v_and_b32_e32 v17, 0xffff0000, v20
	v_fmac_f32_e32 v3, v17, v18
	global_load_dwordx2 v[17:18], v[14:15], off
	s_waitcnt vmcnt(0)
	v_sub_co_u32_e32 v21, vcc, v17, v1
	v_subb_co_u32_e32 v22, vcc, v18, v2, vcc
	v_lshlrev_b64 v[21:22], 3, v[21:22]
	global_load_dwordx4 v[17:20], v[10:11], off offset:2048
	v_add_co_u32_e32 v21, vcc, s6, v21
	v_addc_co_u32_e32 v22, vcc, v16, v22, vcc
	global_load_dwordx2 v[21:22], v[21:22], off
	s_waitcnt vmcnt(1)
	v_lshlrev_b32_e32 v23, 16, v17
	v_and_b32_e32 v17, 0xffff0000, v17
	s_waitcnt vmcnt(0)
	v_lshlrev_b32_e32 v24, 16, v21
	v_fmac_f32_e32 v26, v17, v24
	v_lshlrev_b32_e32 v17, 16, v18
	v_fmac_f32_e32 v12, v17, v24
	v_and_b32_e32 v17, 0xffff0000, v18
	v_fmac_f32_e32 v13, v23, v24
	v_fmac_f32_e32 v3, v17, v24
	v_lshlrev_b32_e32 v17, 16, v19
	v_and_b32_e32 v18, 0xffff0000, v21
	v_fmac_f32_e32 v13, v17, v18
	v_and_b32_e32 v17, 0xffff0000, v19
	v_fmac_f32_e32 v26, v17, v18
	v_lshlrev_b32_e32 v17, 16, v20
	v_fmac_f32_e32 v12, v17, v18
	v_and_b32_e32 v17, 0xffff0000, v20
	v_fmac_f32_e32 v3, v17, v18
	global_load_dwordx4 v[17:20], v[10:11], off offset:2064
	v_lshlrev_b32_e32 v23, 16, v22
	s_waitcnt vmcnt(0)
	v_lshlrev_b32_e32 v21, 16, v17
	v_and_b32_e32 v17, 0xffff0000, v17
	v_fmac_f32_e32 v26, v17, v23
	v_lshlrev_b32_e32 v17, 16, v18
	v_fmac_f32_e32 v12, v17, v23
	v_and_b32_e32 v17, 0xffff0000, v18
	v_fmac_f32_e32 v13, v21, v23
	v_fmac_f32_e32 v3, v17, v23
	v_lshlrev_b32_e32 v17, 16, v19
	v_and_b32_e32 v18, 0xffff0000, v22
	v_fmac_f32_e32 v13, v17, v18
	v_and_b32_e32 v17, 0xffff0000, v19
	v_fmac_f32_e32 v26, v17, v18
	v_lshlrev_b32_e32 v17, 16, v20
	v_fmac_f32_e32 v12, v17, v18
	v_and_b32_e32 v17, 0xffff0000, v20
	v_fmac_f32_e32 v3, v17, v18
	global_load_dwordx2 v[17:18], v[14:15], off offset:256
	s_waitcnt vmcnt(0)
	v_sub_co_u32_e32 v21, vcc, v17, v1
	v_subb_co_u32_e32 v22, vcc, v18, v2, vcc
	v_lshlrev_b64 v[21:22], 3, v[21:22]
	global_load_dwordx4 v[17:20], v[10:11], off offset:3072
	v_add_co_u32_e32 v21, vcc, s6, v21
	v_addc_co_u32_e32 v22, vcc, v16, v22, vcc
	global_load_dwordx2 v[21:22], v[21:22], off
	s_waitcnt vmcnt(1)
	v_lshlrev_b32_e32 v23, 16, v17
	v_and_b32_e32 v17, 0xffff0000, v17
	s_waitcnt vmcnt(0)
	v_lshlrev_b32_e32 v24, 16, v21
	v_fmac_f32_e32 v26, v17, v24
	v_lshlrev_b32_e32 v17, 16, v18
	v_fmac_f32_e32 v12, v17, v24
	v_and_b32_e32 v17, 0xffff0000, v18
	v_fmac_f32_e32 v13, v23, v24
	v_fmac_f32_e32 v3, v17, v24
	v_lshlrev_b32_e32 v17, 16, v19
	v_and_b32_e32 v18, 0xffff0000, v21
	v_fmac_f32_e32 v13, v17, v18
	v_and_b32_e32 v17, 0xffff0000, v19
	v_fmac_f32_e32 v26, v17, v18
	v_lshlrev_b32_e32 v17, 16, v20
	v_fmac_f32_e32 v12, v17, v18
	v_and_b32_e32 v17, 0xffff0000, v20
	v_fmac_f32_e32 v3, v17, v18
	global_load_dwordx4 v[17:20], v[10:11], off offset:3088
	v_add_co_u32_e32 v10, vcc, s7, v10
	v_lshlrev_b32_e32 v23, 16, v22
	v_addc_co_u32_e32 v11, vcc, 0, v11, vcc
	v_add_co_u32_e32 v6, vcc, 0x80, v6
	v_addc_co_u32_e32 v7, vcc, 0, v7, vcc
	v_add_co_u32_e32 v14, vcc, 0x400, v14
	v_addc_co_u32_e32 v15, vcc, 0, v15, vcc
	v_cmp_ge_i64_e32 vcc, v[6:7], v[8:9]
	s_or_b64 s[8:9], vcc, s[8:9]
	s_waitcnt vmcnt(0)
	v_lshlrev_b32_e32 v21, 16, v17
	v_and_b32_e32 v17, 0xffff0000, v17
	v_fmac_f32_e32 v26, v17, v23
	v_lshlrev_b32_e32 v17, 16, v18
	v_fmac_f32_e32 v12, v17, v23
	v_and_b32_e32 v17, 0xffff0000, v18
	v_fmac_f32_e32 v13, v21, v23
	v_fmac_f32_e32 v3, v17, v23
	v_lshlrev_b32_e32 v17, 16, v19
	v_and_b32_e32 v18, 0xffff0000, v22
	v_fmac_f32_e32 v13, v17, v18
	v_and_b32_e32 v17, 0xffff0000, v19
	v_fmac_f32_e32 v26, v17, v18
	v_lshlrev_b32_e32 v17, 16, v20
	v_fmac_f32_e32 v12, v17, v18
	v_and_b32_e32 v17, 0xffff0000, v20
	v_fmac_f32_e32 v3, v17, v18
	s_andn2_b64 exec, exec, s[8:9]
	s_cbranch_execnz .LBB118_35
; %bb.36:
	s_or_b64 exec, exec, s[8:9]
.LBB118_37:
	s_or_b64 exec, exec, s[0:1]
.LBB118_38:
	s_or_b64 exec, exec, s[2:3]
.LBB118_39:
	v_mov_b32_dpp v1, v13 row_shr:1 row_mask:0xf bank_mask:0xf
	v_mov_b32_dpp v6, v26 row_shr:1 row_mask:0xf bank_mask:0xf
	v_mov_b32_dpp v8, v12 row_shr:1 row_mask:0xf bank_mask:0xf
	v_mov_b32_dpp v10, v3 row_shr:1 row_mask:0xf bank_mask:0xf
	v_add_f32_e32 v1, v13, v1
	v_add_f32_e32 v6, v26, v6
	v_add_f32_e32 v8, v12, v8
	v_add_f32_e32 v3, v3, v10
	v_mov_b32_dpp v2, v1 row_shr:2 row_mask:0xf bank_mask:0xf
	v_mov_b32_dpp v7, v6 row_shr:2 row_mask:0xf bank_mask:0xf
	v_mov_b32_dpp v9, v8 row_shr:2 row_mask:0xf bank_mask:0xf
	v_mov_b32_dpp v10, v3 row_shr:2 row_mask:0xf bank_mask:0xf
	v_add_f32_e32 v1, v1, v2
	v_add_f32_e32 v6, v6, v7
	v_add_f32_e32 v8, v8, v9
	v_add_f32_e32 v3, v3, v10
	v_mov_b32_dpp v2, v1 row_shr:4 row_mask:0xf bank_mask:0xe
	v_mov_b32_dpp v7, v6 row_shr:4 row_mask:0xf bank_mask:0xe
	v_mov_b32_dpp v9, v8 row_shr:4 row_mask:0xf bank_mask:0xe
	v_mov_b32_dpp v10, v3 row_shr:4 row_mask:0xf bank_mask:0xe
	v_add_f32_e32 v1, v1, v2
	v_add_f32_e32 v6, v6, v7
	v_add_f32_e32 v8, v8, v9
	v_add_f32_e32 v3, v3, v10
	v_mov_b32_dpp v2, v1 row_shr:8 row_mask:0xf bank_mask:0xc
	v_mov_b32_dpp v7, v6 row_shr:8 row_mask:0xf bank_mask:0xc
	v_mov_b32_dpp v9, v8 row_shr:8 row_mask:0xf bank_mask:0xc
	v_mov_b32_dpp v10, v3 row_shr:8 row_mask:0xf bank_mask:0xc
	v_add_f32_e32 v1, v1, v2
	v_add_f32_e32 v6, v6, v7
	v_add_f32_e32 v8, v8, v9
	v_add_f32_e32 v3, v3, v10
	v_mov_b32_dpp v2, v1 row_bcast:15 row_mask:0xa bank_mask:0xf
	v_mov_b32_dpp v7, v6 row_bcast:15 row_mask:0xa bank_mask:0xf
	;; [unrolled: 1-line block ×4, first 2 shown]
	v_cmp_eq_u32_e32 vcc, 31, v0
	s_and_b64 exec, exec, vcc
	s_cbranch_execz .LBB118_10
; %bb.40:
	s_load_dwordx2 s[0:1], s[4:5], 0x58
	v_add_f32_e32 v0, v1, v2
	v_add_f32_e32 v1, v6, v7
	;; [unrolled: 1-line block ×4, first 2 shown]
	v_cmp_eq_f32_e64 s[2:3], s20, 0
	v_lshlrev_b64 v[4:5], 4, v[4:5]
	s_and_b64 vcc, exec, s[2:3]
	v_mul_f32_e32 v0, s16, v0
	v_mul_f32_e32 v1, s16, v1
	;; [unrolled: 1-line block ×4, first 2 shown]
	s_cbranch_vccz .LBB118_42
; %bb.41:
	s_waitcnt lgkmcnt(0)
	v_mov_b32_e32 v7, s1
	v_add_co_u32_e32 v6, vcc, s0, v4
	v_addc_co_u32_e32 v7, vcc, v7, v5, vcc
	global_store_dwordx4 v[6:7], v[0:3], off
	s_cbranch_execnz .LBB118_10
	s_branch .LBB118_43
.LBB118_42:
.LBB118_43:
	s_waitcnt lgkmcnt(0)
	v_mov_b32_e32 v6, s1
	v_add_co_u32_e32 v8, vcc, s0, v4
	v_addc_co_u32_e32 v9, vcc, v6, v5, vcc
	global_load_dwordx4 v[4:7], v[8:9], off
	s_waitcnt vmcnt(0)
	v_fmac_f32_e32 v0, s20, v4
	v_fmac_f32_e32 v1, s20, v5
	;; [unrolled: 1-line block ×4, first 2 shown]
	global_store_dwordx4 v[8:9], v[0:3], off
	s_endpgm
	.section	.rodata,"a",@progbits
	.p2align	6, 0x0
	.amdhsa_kernel _ZN9rocsparseL18bsrxmvn_4x4_kernelILj128ELj32Efll18rocsparse_bfloat16S1_fEEvT3_20rocsparse_direction_NS_24const_host_device_scalarIT1_EES2_PKS2_PKT2_SB_S8_PKT4_PKT5_S6_PT6_21rocsparse_index_base_b
		.amdhsa_group_segment_fixed_size 0
		.amdhsa_private_segment_fixed_size 0
		.amdhsa_kernarg_size 104
		.amdhsa_user_sgpr_count 6
		.amdhsa_user_sgpr_private_segment_buffer 1
		.amdhsa_user_sgpr_dispatch_ptr 0
		.amdhsa_user_sgpr_queue_ptr 0
		.amdhsa_user_sgpr_kernarg_segment_ptr 1
		.amdhsa_user_sgpr_dispatch_id 0
		.amdhsa_user_sgpr_flat_scratch_init 0
		.amdhsa_user_sgpr_private_segment_size 0
		.amdhsa_uses_dynamic_stack 0
		.amdhsa_system_sgpr_private_segment_wavefront_offset 0
		.amdhsa_system_sgpr_workgroup_id_x 1
		.amdhsa_system_sgpr_workgroup_id_y 0
		.amdhsa_system_sgpr_workgroup_id_z 0
		.amdhsa_system_sgpr_workgroup_info 0
		.amdhsa_system_vgpr_workitem_id 0
		.amdhsa_next_free_vgpr 48
		.amdhsa_next_free_sgpr 22
		.amdhsa_reserve_vcc 1
		.amdhsa_reserve_flat_scratch 0
		.amdhsa_float_round_mode_32 0
		.amdhsa_float_round_mode_16_64 0
		.amdhsa_float_denorm_mode_32 3
		.amdhsa_float_denorm_mode_16_64 3
		.amdhsa_dx10_clamp 1
		.amdhsa_ieee_mode 1
		.amdhsa_fp16_overflow 0
		.amdhsa_exception_fp_ieee_invalid_op 0
		.amdhsa_exception_fp_denorm_src 0
		.amdhsa_exception_fp_ieee_div_zero 0
		.amdhsa_exception_fp_ieee_overflow 0
		.amdhsa_exception_fp_ieee_underflow 0
		.amdhsa_exception_fp_ieee_inexact 0
		.amdhsa_exception_int_div_zero 0
	.end_amdhsa_kernel
	.section	.text._ZN9rocsparseL18bsrxmvn_4x4_kernelILj128ELj32Efll18rocsparse_bfloat16S1_fEEvT3_20rocsparse_direction_NS_24const_host_device_scalarIT1_EES2_PKS2_PKT2_SB_S8_PKT4_PKT5_S6_PT6_21rocsparse_index_base_b,"axG",@progbits,_ZN9rocsparseL18bsrxmvn_4x4_kernelILj128ELj32Efll18rocsparse_bfloat16S1_fEEvT3_20rocsparse_direction_NS_24const_host_device_scalarIT1_EES2_PKS2_PKT2_SB_S8_PKT4_PKT5_S6_PT6_21rocsparse_index_base_b,comdat
.Lfunc_end118:
	.size	_ZN9rocsparseL18bsrxmvn_4x4_kernelILj128ELj32Efll18rocsparse_bfloat16S1_fEEvT3_20rocsparse_direction_NS_24const_host_device_scalarIT1_EES2_PKS2_PKT2_SB_S8_PKT4_PKT5_S6_PT6_21rocsparse_index_base_b, .Lfunc_end118-_ZN9rocsparseL18bsrxmvn_4x4_kernelILj128ELj32Efll18rocsparse_bfloat16S1_fEEvT3_20rocsparse_direction_NS_24const_host_device_scalarIT1_EES2_PKS2_PKT2_SB_S8_PKT4_PKT5_S6_PT6_21rocsparse_index_base_b
                                        ; -- End function
	.set _ZN9rocsparseL18bsrxmvn_4x4_kernelILj128ELj32Efll18rocsparse_bfloat16S1_fEEvT3_20rocsparse_direction_NS_24const_host_device_scalarIT1_EES2_PKS2_PKT2_SB_S8_PKT4_PKT5_S6_PT6_21rocsparse_index_base_b.num_vgpr, 48
	.set _ZN9rocsparseL18bsrxmvn_4x4_kernelILj128ELj32Efll18rocsparse_bfloat16S1_fEEvT3_20rocsparse_direction_NS_24const_host_device_scalarIT1_EES2_PKS2_PKT2_SB_S8_PKT4_PKT5_S6_PT6_21rocsparse_index_base_b.num_agpr, 0
	.set _ZN9rocsparseL18bsrxmvn_4x4_kernelILj128ELj32Efll18rocsparse_bfloat16S1_fEEvT3_20rocsparse_direction_NS_24const_host_device_scalarIT1_EES2_PKS2_PKT2_SB_S8_PKT4_PKT5_S6_PT6_21rocsparse_index_base_b.numbered_sgpr, 22
	.set _ZN9rocsparseL18bsrxmvn_4x4_kernelILj128ELj32Efll18rocsparse_bfloat16S1_fEEvT3_20rocsparse_direction_NS_24const_host_device_scalarIT1_EES2_PKS2_PKT2_SB_S8_PKT4_PKT5_S6_PT6_21rocsparse_index_base_b.num_named_barrier, 0
	.set _ZN9rocsparseL18bsrxmvn_4x4_kernelILj128ELj32Efll18rocsparse_bfloat16S1_fEEvT3_20rocsparse_direction_NS_24const_host_device_scalarIT1_EES2_PKS2_PKT2_SB_S8_PKT4_PKT5_S6_PT6_21rocsparse_index_base_b.private_seg_size, 0
	.set _ZN9rocsparseL18bsrxmvn_4x4_kernelILj128ELj32Efll18rocsparse_bfloat16S1_fEEvT3_20rocsparse_direction_NS_24const_host_device_scalarIT1_EES2_PKS2_PKT2_SB_S8_PKT4_PKT5_S6_PT6_21rocsparse_index_base_b.uses_vcc, 1
	.set _ZN9rocsparseL18bsrxmvn_4x4_kernelILj128ELj32Efll18rocsparse_bfloat16S1_fEEvT3_20rocsparse_direction_NS_24const_host_device_scalarIT1_EES2_PKS2_PKT2_SB_S8_PKT4_PKT5_S6_PT6_21rocsparse_index_base_b.uses_flat_scratch, 0
	.set _ZN9rocsparseL18bsrxmvn_4x4_kernelILj128ELj32Efll18rocsparse_bfloat16S1_fEEvT3_20rocsparse_direction_NS_24const_host_device_scalarIT1_EES2_PKS2_PKT2_SB_S8_PKT4_PKT5_S6_PT6_21rocsparse_index_base_b.has_dyn_sized_stack, 0
	.set _ZN9rocsparseL18bsrxmvn_4x4_kernelILj128ELj32Efll18rocsparse_bfloat16S1_fEEvT3_20rocsparse_direction_NS_24const_host_device_scalarIT1_EES2_PKS2_PKT2_SB_S8_PKT4_PKT5_S6_PT6_21rocsparse_index_base_b.has_recursion, 0
	.set _ZN9rocsparseL18bsrxmvn_4x4_kernelILj128ELj32Efll18rocsparse_bfloat16S1_fEEvT3_20rocsparse_direction_NS_24const_host_device_scalarIT1_EES2_PKS2_PKT2_SB_S8_PKT4_PKT5_S6_PT6_21rocsparse_index_base_b.has_indirect_call, 0
	.section	.AMDGPU.csdata,"",@progbits
; Kernel info:
; codeLenInByte = 4264
; TotalNumSgprs: 26
; NumVgprs: 48
; ScratchSize: 0
; MemoryBound: 0
; FloatMode: 240
; IeeeMode: 1
; LDSByteSize: 0 bytes/workgroup (compile time only)
; SGPRBlocks: 3
; VGPRBlocks: 11
; NumSGPRsForWavesPerEU: 26
; NumVGPRsForWavesPerEU: 48
; Occupancy: 5
; WaveLimiterHint : 1
; COMPUTE_PGM_RSRC2:SCRATCH_EN: 0
; COMPUTE_PGM_RSRC2:USER_SGPR: 6
; COMPUTE_PGM_RSRC2:TRAP_HANDLER: 0
; COMPUTE_PGM_RSRC2:TGID_X_EN: 1
; COMPUTE_PGM_RSRC2:TGID_Y_EN: 0
; COMPUTE_PGM_RSRC2:TGID_Z_EN: 0
; COMPUTE_PGM_RSRC2:TIDIG_COMP_CNT: 0
	.section	.text._ZN9rocsparseL18bsrxmvn_4x4_kernelILj128ELj64Efll18rocsparse_bfloat16S1_fEEvT3_20rocsparse_direction_NS_24const_host_device_scalarIT1_EES2_PKS2_PKT2_SB_S8_PKT4_PKT5_S6_PT6_21rocsparse_index_base_b,"axG",@progbits,_ZN9rocsparseL18bsrxmvn_4x4_kernelILj128ELj64Efll18rocsparse_bfloat16S1_fEEvT3_20rocsparse_direction_NS_24const_host_device_scalarIT1_EES2_PKS2_PKT2_SB_S8_PKT4_PKT5_S6_PT6_21rocsparse_index_base_b,comdat
	.globl	_ZN9rocsparseL18bsrxmvn_4x4_kernelILj128ELj64Efll18rocsparse_bfloat16S1_fEEvT3_20rocsparse_direction_NS_24const_host_device_scalarIT1_EES2_PKS2_PKT2_SB_S8_PKT4_PKT5_S6_PT6_21rocsparse_index_base_b ; -- Begin function _ZN9rocsparseL18bsrxmvn_4x4_kernelILj128ELj64Efll18rocsparse_bfloat16S1_fEEvT3_20rocsparse_direction_NS_24const_host_device_scalarIT1_EES2_PKS2_PKT2_SB_S8_PKT4_PKT5_S6_PT6_21rocsparse_index_base_b
	.p2align	8
	.type	_ZN9rocsparseL18bsrxmvn_4x4_kernelILj128ELj64Efll18rocsparse_bfloat16S1_fEEvT3_20rocsparse_direction_NS_24const_host_device_scalarIT1_EES2_PKS2_PKT2_SB_S8_PKT4_PKT5_S6_PT6_21rocsparse_index_base_b,@function
_ZN9rocsparseL18bsrxmvn_4x4_kernelILj128ELj64Efll18rocsparse_bfloat16S1_fEEvT3_20rocsparse_direction_NS_24const_host_device_scalarIT1_EES2_PKS2_PKT2_SB_S8_PKT4_PKT5_S6_PT6_21rocsparse_index_base_b: ; @_ZN9rocsparseL18bsrxmvn_4x4_kernelILj128ELj64Efll18rocsparse_bfloat16S1_fEEvT3_20rocsparse_direction_NS_24const_host_device_scalarIT1_EES2_PKS2_PKT2_SB_S8_PKT4_PKT5_S6_PT6_21rocsparse_index_base_b
; %bb.0:
	s_load_dwordx2 s[0:1], s[4:5], 0x60
	s_load_dwordx4 s[16:19], s[4:5], 0x10
	s_load_dwordx2 s[20:21], s[4:5], 0x50
	s_waitcnt lgkmcnt(0)
	s_bitcmp1_b32 s1, 0
	s_cselect_b64 s[8:9], -1, 0
	s_xor_b64 s[2:3], s[8:9], -1
	s_and_b64 vcc, exec, s[8:9]
	s_cbranch_vccnz .LBB119_2
; %bb.1:
	s_load_dword s16, s[16:17], 0x0
.LBB119_2:
	s_andn2_b64 vcc, exec, s[2:3]
	s_cbranch_vccnz .LBB119_4
; %bb.3:
	s_load_dword s20, s[20:21], 0x0
.LBB119_4:
	s_waitcnt lgkmcnt(0)
	v_cmp_neq_f32_e64 s[2:3], s16, 0
	v_cmp_neq_f32_e64 s[8:9], s20, 1.0
	s_or_b64 s[2:3], s[2:3], s[8:9]
	s_andn2_b64 vcc, exec, s[2:3]
	s_cbranch_vccnz .LBB119_10
; %bb.5:
	s_load_dwordx2 s[8:9], s[4:5], 0x20
	v_lshrrev_b32_e32 v1, 6, v0
	v_lshl_or_b32 v6, s6, 1, v1
	v_mov_b32_e32 v7, 0
	s_mov_b64 s[2:3], 0
	s_waitcnt lgkmcnt(0)
	s_cmp_lg_u64 s[8:9], 0
	s_cbranch_scc0 .LBB119_11
; %bb.6:
	v_cmp_gt_i64_e32 vcc, s[18:19], v[6:7]
                                        ; implicit-def: $vgpr4_vgpr5
                                        ; implicit-def: $vgpr1_vgpr2
	s_and_saveexec_b64 s[6:7], vcc
	s_xor_b64 s[6:7], exec, s[6:7]
	s_cbranch_execz .LBB119_8
; %bb.7:
	v_lshlrev_b64 v[1:2], 3, v[6:7]
	v_mov_b32_e32 v3, s9
	v_add_co_u32_e32 v1, vcc, s8, v1
	v_addc_co_u32_e32 v2, vcc, v3, v2, vcc
	global_load_dwordx2 v[1:2], v[1:2], off
	s_mov_b32 s1, 0
	s_mov_b64 s[2:3], exec
	s_waitcnt vmcnt(0)
	v_subrev_co_u32_e32 v4, vcc, s0, v1
	v_subbrev_co_u32_e32 v5, vcc, 0, v2, vcc
	v_mov_b32_e32 v2, s1
	v_mov_b32_e32 v1, s0
.LBB119_8:
	s_or_b64 exec, exec, s[6:7]
.LBB119_9:
	s_and_saveexec_b64 s[0:1], s[2:3]
	s_cbranch_execnz .LBB119_15
.LBB119_10:
	s_endpgm
.LBB119_11:
                                        ; implicit-def: $vgpr4_vgpr5
                                        ; implicit-def: $vgpr1_vgpr2
	s_cbranch_execz .LBB119_9
; %bb.12:
	s_load_dwordx2 s[6:7], s[4:5], 0x0
	s_waitcnt lgkmcnt(0)
	v_cmp_gt_i64_e32 vcc, s[6:7], v[6:7]
	s_and_saveexec_b64 s[6:7], vcc
; %bb.13:
	s_mov_b32 s1, 0
	s_or_b64 s[2:3], s[2:3], exec
; %bb.14:
	s_or_b64 exec, exec, s[6:7]
	v_mov_b32_e32 v2, s1
	v_mov_b32_e32 v4, v6
	;; [unrolled: 1-line block ×4, first 2 shown]
	s_and_saveexec_b64 s[0:1], s[2:3]
	s_cbranch_execz .LBB119_10
.LBB119_15:
	s_load_dwordx8 s[8:15], s[4:5], 0x28
	v_lshlrev_b64 v[6:7], 3, v[4:5]
	v_and_b32_e32 v0, 63, v0
	s_waitcnt lgkmcnt(0)
	v_mov_b32_e32 v3, s9
	v_add_co_u32_e32 v8, vcc, s8, v6
	v_addc_co_u32_e32 v9, vcc, v3, v7, vcc
	v_add_co_u32_e32 v3, vcc, 8, v8
	global_load_dwordx2 v[14:15], v[8:9], off
	v_addc_co_u32_e32 v8, vcc, 0, v9, vcc
	v_mov_b32_e32 v9, s11
	v_add_co_u32_e32 v6, vcc, s10, v6
	s_cmp_eq_u64 s[10:11], 0
	v_addc_co_u32_e32 v7, vcc, v9, v7, vcc
	s_cselect_b64 vcc, -1, 0
	v_cndmask_b32_e32 v7, v7, v8, vcc
	v_cndmask_b32_e32 v6, v6, v3, vcc
	global_load_dwordx2 v[8:9], v[6:7], off
	s_load_dword s0, s[4:5], 0x8
	s_load_dwordx2 s[6:7], s[4:5], 0x48
	v_mov_b32_e32 v12, s15
	v_mov_b32_e32 v3, 0
	s_waitcnt lgkmcnt(0)
	s_cmp_eq_u32 s0, 1
	s_waitcnt vmcnt(1)
	v_sub_co_u32_e32 v6, vcc, v14, v1
	v_subb_co_u32_e32 v7, vcc, v15, v2, vcc
	v_add_co_u32_e32 v6, vcc, v6, v0
	v_addc_co_u32_e32 v7, vcc, 0, v7, vcc
	v_lshlrev_b64 v[10:11], 5, v[6:7]
	s_waitcnt vmcnt(0)
	v_sub_co_u32_e32 v8, vcc, v8, v1
	v_subb_co_u32_e32 v9, vcc, v9, v2, vcc
	v_cmp_lt_i64_e64 s[0:1], v[6:7], v[8:9]
	v_add_co_u32_e32 v10, vcc, s14, v10
	v_addc_co_u32_e32 v11, vcc, v12, v11, vcc
	s_cbranch_scc1 .LBB119_27
; %bb.16:
	v_mov_b32_e32 v12, 0
	v_mov_b32_e32 v26, 0
	;; [unrolled: 1-line block ×3, first 2 shown]
	s_and_saveexec_b64 s[8:9], s[0:1]
	s_cbranch_execz .LBB119_26
; %bb.17:
	v_or_b32_e32 v3, 64, v0
	v_sub_co_u32_e32 v3, vcc, v3, v1
	v_subb_co_u32_e32 v13, vcc, 0, v2, vcc
	v_add_co_u32_e32 v12, vcc, v3, v14
	v_addc_co_u32_e32 v13, vcc, v13, v15, vcc
	v_cmp_gt_i64_e32 vcc, v[12:13], v[8:9]
	v_not_b32_e32 v16, v14
	v_cndmask_b32_e32 v3, v9, v13, vcc
	v_cndmask_b32_e32 v12, v8, v12, vcc
	v_sub_co_u32_e32 v17, vcc, v1, v0
	v_subbrev_co_u32_e32 v18, vcc, 0, v2, vcc
	v_not_b32_e32 v13, v15
	v_add_co_u32_e32 v16, vcc, v17, v16
	v_addc_co_u32_e32 v13, vcc, v18, v13, vcc
	v_add_co_u32_e32 v20, vcc, v16, v12
	v_addc_co_u32_e32 v21, vcc, v13, v3, vcc
	v_and_b32_e32 v12, 0xc0, v20
	v_mov_b32_e32 v13, 0
	s_mov_b64 s[2:3], 0xc0
	v_cmp_ne_u64_e32 vcc, s[2:3], v[12:13]
	v_mov_b32_e32 v17, v7
	v_mov_b32_e32 v19, v11
	;; [unrolled: 1-line block ×7, first 2 shown]
	s_and_saveexec_b64 s[10:11], vcc
	s_cbranch_execz .LBB119_21
; %bb.18:
	v_lshlrev_b64 v[12:13], 3, v[6:7]
	v_lshrrev_b32_e32 v3, 6, v20
	v_add_u32_e32 v3, 1, v3
	v_mov_b32_e32 v17, s13
	v_add_co_u32_e32 v22, vcc, s12, v12
	v_and_b32_e32 v16, 3, v3
	v_addc_co_u32_e32 v23, vcc, v17, v13, vcc
	v_sub_co_u32_e32 v24, vcc, 0, v16
	v_mov_b32_e32 v19, v11
	v_mov_b32_e32 v17, v7
	;; [unrolled: 1-line block ×3, first 2 shown]
	s_mov_b64 s[14:15], 0
	v_subb_co_u32_e64 v25, s[2:3], 0, 0, vcc
	s_movk_i32 s17, 0x800
	v_mov_b32_e32 v27, s7
	v_mov_b32_e32 v18, v10
	v_mov_b32_e32 v16, v6
	v_mov_b32_e32 v12, 0
	v_mov_b32_e32 v26, 0
	v_mov_b32_e32 v13, 0
.LBB119_19:                             ; =>This Inner Loop Header: Depth=1
	global_load_dwordx2 v[36:37], v[22:23], off
	global_load_dwordx4 v[28:31], v[18:19], off
	global_load_dwordx4 v[32:35], v[18:19], off offset:16
	s_waitcnt vmcnt(2)
	v_sub_co_u32_e32 v36, vcc, v36, v1
	v_subb_co_u32_e32 v37, vcc, v37, v2, vcc
	v_lshlrev_b64 v[36:37], 3, v[36:37]
	s_waitcnt vmcnt(1)
	v_lshlrev_b32_e32 v38, 16, v28
	v_add_co_u32_e32 v36, vcc, s6, v36
	v_addc_co_u32_e32 v37, vcc, v27, v37, vcc
	global_load_dwordx2 v[36:37], v[36:37], off
	v_add_co_u32_e32 v18, vcc, s17, v18
	s_mov_b64 s[2:3], vcc
	v_add_co_u32_e32 v16, vcc, 64, v16
	v_addc_co_u32_e32 v17, vcc, 0, v17, vcc
	v_add_co_u32_e32 v24, vcc, 1, v24
	v_lshlrev_b32_e32 v40, 16, v30
	s_waitcnt vmcnt(1)
	v_lshlrev_b32_e32 v42, 16, v32
	v_lshlrev_b32_e32 v44, 16, v34
	v_addc_co_u32_e32 v25, vcc, 0, v25, vcc
	v_addc_co_u32_e64 v19, s[2:3], 0, v19, s[2:3]
	v_and_b32_e32 v28, 0xffff0000, v28
	v_and_b32_e32 v30, 0xffff0000, v30
	;; [unrolled: 1-line block ×4, first 2 shown]
	v_cmp_eq_u64_e64 s[2:3], 0, v[24:25]
	v_lshlrev_b32_e32 v39, 16, v29
	v_lshlrev_b32_e32 v41, 16, v31
	;; [unrolled: 1-line block ×4, first 2 shown]
	v_add_co_u32_e32 v22, vcc, 0x200, v22
	v_and_b32_e32 v29, 0xffff0000, v29
	v_and_b32_e32 v31, 0xffff0000, v31
	;; [unrolled: 1-line block ×4, first 2 shown]
	v_addc_co_u32_e32 v23, vcc, 0, v23, vcc
	s_or_b64 s[14:15], s[2:3], s[14:15]
	s_waitcnt vmcnt(0)
	v_lshlrev_b32_e32 v46, 16, v36
	v_and_b32_e32 v36, 0xffff0000, v36
	v_fmac_f32_e32 v13, v38, v46
	v_fmac_f32_e32 v26, v40, v46
	;; [unrolled: 1-line block ×4, first 2 shown]
	v_lshlrev_b32_e32 v47, 16, v37
	v_fmac_f32_e32 v13, v28, v36
	v_fmac_f32_e32 v26, v30, v36
	;; [unrolled: 1-line block ×4, first 2 shown]
	v_and_b32_e32 v37, 0xffff0000, v37
	v_fmac_f32_e32 v13, v39, v47
	v_fmac_f32_e32 v26, v41, v47
	;; [unrolled: 1-line block ×8, first 2 shown]
	s_andn2_b64 exec, exec, s[14:15]
	s_cbranch_execnz .LBB119_19
; %bb.20:
	s_or_b64 exec, exec, s[14:15]
.LBB119_21:
	s_or_b64 exec, exec, s[10:11]
	s_mov_b64 s[2:3], 0xbf
	v_cmp_lt_u64_e32 vcc, s[2:3], v[20:21]
	s_and_saveexec_b64 s[10:11], vcc
	s_cbranch_execz .LBB119_25
; %bb.22:
	v_lshlrev_b64 v[20:21], 3, v[16:17]
	v_mov_b32_e32 v22, s13
	v_add_co_u32_e32 v20, vcc, s12, v20
	v_addc_co_u32_e32 v21, vcc, v22, v21, vcc
	v_add_co_u32_e32 v20, vcc, 0x400, v20
	v_addc_co_u32_e32 v21, vcc, 0, v21, vcc
	s_mov_b64 s[14:15], 0
	v_mov_b32_e32 v22, s7
	s_movk_i32 s17, 0x1000
.LBB119_23:                             ; =>This Inner Loop Header: Depth=1
	global_load_dwordx2 v[23:24], v[20:21], off offset:-1024
	global_load_dwordx4 v[27:30], v[18:19], off
	s_waitcnt vmcnt(1)
	v_sub_co_u32_e32 v23, vcc, v23, v1
	v_subb_co_u32_e32 v24, vcc, v24, v2, vcc
	v_lshlrev_b64 v[23:24], 3, v[23:24]
	s_waitcnt vmcnt(0)
	v_lshlrev_b32_e32 v25, 16, v27
	v_add_co_u32_e32 v23, vcc, s6, v23
	v_addc_co_u32_e32 v24, vcc, v22, v24, vcc
	global_load_dwordx2 v[23:24], v[23:24], off
	s_waitcnt vmcnt(0)
	v_lshlrev_b32_e32 v31, 16, v23
	v_fmac_f32_e32 v13, v25, v31
	v_and_b32_e32 v25, 0xffff0000, v27
	v_and_b32_e32 v23, 0xffff0000, v23
	v_fmac_f32_e32 v13, v25, v23
	v_lshlrev_b32_e32 v25, 16, v28
	v_lshlrev_b32_e32 v32, 16, v24
	v_fmac_f32_e32 v13, v25, v32
	v_and_b32_e32 v25, 0xffff0000, v28
	v_and_b32_e32 v24, 0xffff0000, v24
	v_fmac_f32_e32 v13, v25, v24
	v_lshlrev_b32_e32 v25, 16, v29
	v_fmac_f32_e32 v26, v25, v31
	v_and_b32_e32 v25, 0xffff0000, v29
	v_fmac_f32_e32 v26, v25, v23
	v_lshlrev_b32_e32 v25, 16, v30
	v_fmac_f32_e32 v26, v25, v32
	v_and_b32_e32 v25, 0xffff0000, v30
	global_load_dwordx4 v[27:30], v[18:19], off offset:16
	v_fmac_f32_e32 v26, v25, v24
	s_waitcnt vmcnt(0)
	v_lshlrev_b32_e32 v25, 16, v27
	v_fmac_f32_e32 v12, v25, v31
	v_and_b32_e32 v25, 0xffff0000, v27
	v_fmac_f32_e32 v12, v25, v23
	v_lshlrev_b32_e32 v25, 16, v28
	v_fmac_f32_e32 v12, v25, v32
	v_and_b32_e32 v25, 0xffff0000, v28
	v_fmac_f32_e32 v12, v25, v24
	v_lshlrev_b32_e32 v25, 16, v29
	v_fmac_f32_e32 v3, v25, v31
	v_and_b32_e32 v25, 0xffff0000, v29
	v_fmac_f32_e32 v3, v25, v23
	v_lshlrev_b32_e32 v23, 16, v30
	v_fmac_f32_e32 v3, v23, v32
	v_and_b32_e32 v23, 0xffff0000, v30
	v_fmac_f32_e32 v3, v23, v24
	global_load_dwordx2 v[23:24], v[20:21], off offset:-512
	global_load_dwordx4 v[27:30], v[18:19], off offset:2048
	s_waitcnt vmcnt(1)
	v_sub_co_u32_e32 v23, vcc, v23, v1
	v_subb_co_u32_e32 v24, vcc, v24, v2, vcc
	v_lshlrev_b64 v[23:24], 3, v[23:24]
	s_waitcnt vmcnt(0)
	v_lshlrev_b32_e32 v25, 16, v27
	v_add_co_u32_e32 v23, vcc, s6, v23
	v_addc_co_u32_e32 v24, vcc, v22, v24, vcc
	global_load_dwordx2 v[23:24], v[23:24], off
	s_waitcnt vmcnt(0)
	v_lshlrev_b32_e32 v31, 16, v23
	v_fmac_f32_e32 v13, v25, v31
	v_and_b32_e32 v25, 0xffff0000, v27
	v_and_b32_e32 v23, 0xffff0000, v23
	v_fmac_f32_e32 v13, v25, v23
	v_lshlrev_b32_e32 v25, 16, v28
	v_lshlrev_b32_e32 v32, 16, v24
	v_fmac_f32_e32 v13, v25, v32
	v_and_b32_e32 v25, 0xffff0000, v28
	v_and_b32_e32 v24, 0xffff0000, v24
	v_fmac_f32_e32 v13, v25, v24
	v_lshlrev_b32_e32 v25, 16, v29
	v_fmac_f32_e32 v26, v25, v31
	v_and_b32_e32 v25, 0xffff0000, v29
	v_fmac_f32_e32 v26, v25, v23
	v_lshlrev_b32_e32 v25, 16, v30
	v_fmac_f32_e32 v26, v25, v32
	v_and_b32_e32 v25, 0xffff0000, v30
	global_load_dwordx4 v[27:30], v[18:19], off offset:2064
	v_fmac_f32_e32 v26, v25, v24
	s_waitcnt vmcnt(0)
	v_lshlrev_b32_e32 v25, 16, v27
	v_fmac_f32_e32 v12, v25, v31
	v_and_b32_e32 v25, 0xffff0000, v27
	v_fmac_f32_e32 v12, v25, v23
	v_lshlrev_b32_e32 v25, 16, v28
	v_fmac_f32_e32 v12, v25, v32
	v_and_b32_e32 v25, 0xffff0000, v28
	global_load_dwordx2 v[27:28], v[20:21], off
	v_fmac_f32_e32 v12, v25, v24
	v_lshlrev_b32_e32 v25, 16, v29
	v_fmac_f32_e32 v3, v25, v31
	v_and_b32_e32 v25, 0xffff0000, v29
	v_fmac_f32_e32 v3, v25, v23
	v_lshlrev_b32_e32 v23, 16, v30
	v_fmac_f32_e32 v3, v23, v32
	v_and_b32_e32 v23, 0xffff0000, v30
	v_fmac_f32_e32 v3, v23, v24
	v_add_co_u32_e32 v23, vcc, s17, v18
	v_addc_co_u32_e32 v24, vcc, 0, v19, vcc
	s_waitcnt vmcnt(0)
	v_sub_co_u32_e32 v31, vcc, v27, v1
	v_subb_co_u32_e32 v32, vcc, v28, v2, vcc
	v_lshlrev_b64 v[31:32], 3, v[31:32]
	global_load_dwordx4 v[27:30], v[23:24], off
	v_add_co_u32_e32 v31, vcc, s6, v31
	v_addc_co_u32_e32 v32, vcc, v22, v32, vcc
	global_load_dwordx2 v[31:32], v[31:32], off
	s_waitcnt vmcnt(1)
	v_lshlrev_b32_e32 v25, 16, v27
	s_waitcnt vmcnt(0)
	v_lshlrev_b32_e32 v33, 16, v31
	v_fmac_f32_e32 v13, v25, v33
	v_and_b32_e32 v25, 0xffff0000, v27
	v_and_b32_e32 v31, 0xffff0000, v31
	v_fmac_f32_e32 v13, v25, v31
	v_lshlrev_b32_e32 v25, 16, v28
	v_lshlrev_b32_e32 v34, 16, v32
	v_fmac_f32_e32 v13, v25, v34
	v_and_b32_e32 v25, 0xffff0000, v28
	v_and_b32_e32 v32, 0xffff0000, v32
	v_fmac_f32_e32 v13, v25, v32
	v_lshlrev_b32_e32 v25, 16, v29
	v_fmac_f32_e32 v26, v25, v33
	v_and_b32_e32 v25, 0xffff0000, v29
	v_fmac_f32_e32 v26, v25, v31
	v_lshlrev_b32_e32 v25, 16, v30
	v_fmac_f32_e32 v26, v25, v34
	v_and_b32_e32 v25, 0xffff0000, v30
	global_load_dwordx4 v[27:30], v[23:24], off offset:16
	v_fmac_f32_e32 v26, v25, v32
	s_waitcnt vmcnt(0)
	v_lshlrev_b32_e32 v25, 16, v27
	v_fmac_f32_e32 v12, v25, v33
	v_and_b32_e32 v25, 0xffff0000, v27
	v_fmac_f32_e32 v12, v25, v31
	v_lshlrev_b32_e32 v25, 16, v28
	v_fmac_f32_e32 v12, v25, v34
	v_and_b32_e32 v25, 0xffff0000, v28
	global_load_dwordx2 v[27:28], v[20:21], off offset:512
	v_fmac_f32_e32 v12, v25, v32
	v_lshlrev_b32_e32 v25, 16, v29
	v_fmac_f32_e32 v3, v25, v33
	v_and_b32_e32 v25, 0xffff0000, v29
	v_fmac_f32_e32 v3, v25, v31
	v_lshlrev_b32_e32 v25, 16, v30
	v_fmac_f32_e32 v3, v25, v34
	v_and_b32_e32 v25, 0xffff0000, v30
	v_fmac_f32_e32 v3, v25, v32
	s_waitcnt vmcnt(0)
	v_sub_co_u32_e32 v31, vcc, v27, v1
	v_subb_co_u32_e32 v32, vcc, v28, v2, vcc
	v_lshlrev_b64 v[31:32], 3, v[31:32]
	global_load_dwordx4 v[27:30], v[23:24], off offset:2048
	v_add_co_u32_e32 v31, vcc, s6, v31
	v_addc_co_u32_e32 v32, vcc, v22, v32, vcc
	global_load_dwordx2 v[31:32], v[31:32], off
	v_add_co_u32_e32 v16, vcc, 0x100, v16
	v_addc_co_u32_e32 v17, vcc, 0, v17, vcc
	v_add_co_u32_e32 v20, vcc, 0x800, v20
	v_addc_co_u32_e32 v21, vcc, 0, v21, vcc
	v_cmp_ge_i64_e64 s[2:3], v[16:17], v[8:9]
	v_add_co_u32_e32 v18, vcc, 0x2000, v18
	v_addc_co_u32_e32 v19, vcc, 0, v19, vcc
	s_or_b64 s[14:15], s[2:3], s[14:15]
	s_waitcnt vmcnt(1)
	v_lshlrev_b32_e32 v25, 16, v27
	s_waitcnt vmcnt(0)
	v_lshlrev_b32_e32 v33, 16, v31
	v_fmac_f32_e32 v13, v25, v33
	v_and_b32_e32 v25, 0xffff0000, v27
	v_and_b32_e32 v31, 0xffff0000, v31
	v_fmac_f32_e32 v13, v25, v31
	v_lshlrev_b32_e32 v25, 16, v28
	v_lshlrev_b32_e32 v34, 16, v32
	v_fmac_f32_e32 v13, v25, v34
	v_and_b32_e32 v25, 0xffff0000, v28
	v_and_b32_e32 v32, 0xffff0000, v32
	v_fmac_f32_e32 v13, v25, v32
	v_lshlrev_b32_e32 v25, 16, v29
	v_fmac_f32_e32 v26, v25, v33
	v_and_b32_e32 v25, 0xffff0000, v29
	v_fmac_f32_e32 v26, v25, v31
	v_lshlrev_b32_e32 v25, 16, v30
	v_fmac_f32_e32 v26, v25, v34
	v_and_b32_e32 v25, 0xffff0000, v30
	global_load_dwordx4 v[27:30], v[23:24], off offset:2064
	v_fmac_f32_e32 v26, v25, v32
	s_waitcnt vmcnt(0)
	v_lshlrev_b32_e32 v23, 16, v27
	v_fmac_f32_e32 v12, v23, v33
	v_and_b32_e32 v23, 0xffff0000, v27
	v_fmac_f32_e32 v12, v23, v31
	v_lshlrev_b32_e32 v23, 16, v28
	v_fmac_f32_e32 v12, v23, v34
	v_and_b32_e32 v23, 0xffff0000, v28
	v_fmac_f32_e32 v12, v23, v32
	v_lshlrev_b32_e32 v23, 16, v29
	v_fmac_f32_e32 v3, v23, v33
	v_and_b32_e32 v23, 0xffff0000, v29
	v_fmac_f32_e32 v3, v23, v31
	v_lshlrev_b32_e32 v23, 16, v30
	v_fmac_f32_e32 v3, v23, v34
	v_and_b32_e32 v23, 0xffff0000, v30
	v_fmac_f32_e32 v3, v23, v32
	s_andn2_b64 exec, exec, s[14:15]
	s_cbranch_execnz .LBB119_23
; %bb.24:
	s_or_b64 exec, exec, s[14:15]
.LBB119_25:
	s_or_b64 exec, exec, s[10:11]
.LBB119_26:
	s_or_b64 exec, exec, s[8:9]
	s_cbranch_execz .LBB119_28
	s_branch .LBB119_39
.LBB119_27:
                                        ; implicit-def: $vgpr3
                                        ; implicit-def: $vgpr12
                                        ; implicit-def: $vgpr26
                                        ; implicit-def: $vgpr13
.LBB119_28:
	v_mov_b32_e32 v3, 0
	v_mov_b32_e32 v12, 0
	;; [unrolled: 1-line block ×4, first 2 shown]
	s_and_saveexec_b64 s[2:3], s[0:1]
	s_cbranch_execz .LBB119_38
; %bb.29:
	v_or_b32_e32 v3, 64, v0
	v_sub_co_u32_e32 v3, vcc, v3, v1
	v_subb_co_u32_e32 v13, vcc, 0, v2, vcc
	v_add_co_u32_e32 v12, vcc, v3, v14
	v_addc_co_u32_e32 v13, vcc, v13, v15, vcc
	v_cmp_gt_i64_e32 vcc, v[12:13], v[8:9]
	v_not_b32_e32 v14, v14
	v_cndmask_b32_e32 v3, v9, v13, vcc
	v_cndmask_b32_e32 v12, v8, v12, vcc
	v_not_b32_e32 v13, v15
	v_sub_co_u32_e32 v15, vcc, v1, v0
	v_subbrev_co_u32_e32 v16, vcc, 0, v2, vcc
	v_add_co_u32_e32 v14, vcc, v15, v14
	v_addc_co_u32_e32 v13, vcc, v16, v13, vcc
	v_add_co_u32_e32 v14, vcc, v14, v12
	v_addc_co_u32_e32 v15, vcc, v13, v3, vcc
	v_and_b32_e32 v12, 0xc0, v14
	v_mov_b32_e32 v13, 0
	s_mov_b64 s[0:1], 0xc0
	v_cmp_ne_u64_e32 vcc, s[0:1], v[12:13]
	v_mov_b32_e32 v26, v13
	v_mov_b32_e32 v12, v13
	;; [unrolled: 1-line block ×3, first 2 shown]
	s_and_saveexec_b64 s[8:9], vcc
	s_cbranch_execz .LBB119_33
; %bb.30:
	v_lshlrev_b64 v[12:13], 3, v[6:7]
	v_lshrrev_b32_e32 v3, 6, v14
	v_add_u32_e32 v3, 1, v3
	v_mov_b32_e32 v17, s13
	v_add_co_u32_e32 v16, vcc, s12, v12
	v_and_b32_e32 v18, 3, v3
	v_addc_co_u32_e32 v17, vcc, v17, v13, vcc
	v_sub_co_u32_e32 v18, vcc, 0, v18
	v_mov_b32_e32 v3, 0
	s_mov_b64 s[10:11], 0
	v_subb_co_u32_e64 v19, s[0:1], 0, 0, vcc
	s_movk_i32 s14, 0x800
	v_mov_b32_e32 v20, s7
	v_mov_b32_e32 v12, 0
	;; [unrolled: 1-line block ×4, first 2 shown]
.LBB119_31:                             ; =>This Inner Loop Header: Depth=1
	global_load_dwordx2 v[27:28], v[16:17], off
	global_load_dwordx4 v[21:24], v[10:11], off
	v_add_co_u32_e64 v6, s[0:1], 64, v6
	v_addc_co_u32_e64 v7, s[0:1], 0, v7, s[0:1]
	v_add_co_u32_e64 v18, s[0:1], 1, v18
	v_addc_co_u32_e64 v19, s[0:1], 0, v19, s[0:1]
	v_cmp_eq_u64_e64 s[0:1], 0, v[18:19]
	s_or_b64 s[10:11], s[0:1], s[10:11]
	s_waitcnt vmcnt(1)
	v_sub_co_u32_e32 v27, vcc, v27, v1
	v_subb_co_u32_e32 v28, vcc, v28, v2, vcc
	v_lshlrev_b64 v[27:28], 3, v[27:28]
	s_waitcnt vmcnt(0)
	v_lshlrev_b32_e32 v25, 16, v21
	v_add_co_u32_e32 v31, vcc, s6, v27
	v_addc_co_u32_e32 v32, vcc, v20, v28, vcc
	global_load_dwordx2 v[33:34], v[31:32], off
	global_load_dwordx4 v[27:30], v[10:11], off offset:16
	v_and_b32_e32 v21, 0xffff0000, v21
	v_lshlrev_b32_e32 v31, 16, v22
	v_and_b32_e32 v22, 0xffff0000, v22
	v_add_co_u32_e32 v10, vcc, s14, v10
	v_lshlrev_b32_e32 v32, 16, v23
	v_and_b32_e32 v23, 0xffff0000, v23
	v_lshlrev_b32_e32 v35, 16, v24
	v_and_b32_e32 v24, 0xffff0000, v24
	v_addc_co_u32_e32 v11, vcc, 0, v11, vcc
	v_add_co_u32_e32 v16, vcc, 0x200, v16
	v_addc_co_u32_e32 v17, vcc, 0, v17, vcc
	s_waitcnt vmcnt(1)
	v_lshlrev_b32_e32 v40, 16, v33
	v_and_b32_e32 v33, 0xffff0000, v33
	v_fmac_f32_e32 v13, v25, v40
	v_fmac_f32_e32 v26, v21, v40
	v_fmac_f32_e32 v12, v31, v40
	v_fmac_f32_e32 v3, v22, v40
	s_waitcnt vmcnt(0)
	v_lshlrev_b32_e32 v36, 16, v27
	v_and_b32_e32 v27, 0xffff0000, v27
	v_lshlrev_b32_e32 v37, 16, v28
	v_and_b32_e32 v28, 0xffff0000, v28
	v_lshlrev_b32_e32 v41, 16, v34
	v_fmac_f32_e32 v13, v32, v33
	v_fmac_f32_e32 v26, v23, v33
	;; [unrolled: 1-line block ×4, first 2 shown]
	v_lshlrev_b32_e32 v38, 16, v29
	v_and_b32_e32 v29, 0xffff0000, v29
	v_lshlrev_b32_e32 v39, 16, v30
	v_and_b32_e32 v30, 0xffff0000, v30
	v_and_b32_e32 v34, 0xffff0000, v34
	v_fmac_f32_e32 v13, v36, v41
	v_fmac_f32_e32 v26, v27, v41
	;; [unrolled: 1-line block ×8, first 2 shown]
	s_andn2_b64 exec, exec, s[10:11]
	s_cbranch_execnz .LBB119_31
; %bb.32:
	s_or_b64 exec, exec, s[10:11]
.LBB119_33:
	s_or_b64 exec, exec, s[8:9]
	s_mov_b64 s[0:1], 0xbf
	v_cmp_lt_u64_e32 vcc, s[0:1], v[14:15]
	s_and_saveexec_b64 s[8:9], vcc
	s_cbranch_execz .LBB119_37
; %bb.34:
	v_lshlrev_b64 v[14:15], 3, v[6:7]
	v_mov_b32_e32 v16, s13
	v_add_co_u32_e32 v14, vcc, s12, v14
	v_addc_co_u32_e32 v15, vcc, v16, v15, vcc
	v_add_co_u32_e32 v14, vcc, 0x400, v14
	v_addc_co_u32_e32 v15, vcc, 0, v15, vcc
	s_mov_b64 s[10:11], 0
	v_mov_b32_e32 v16, s7
	s_movk_i32 s7, 0x1000
.LBB119_35:                             ; =>This Inner Loop Header: Depth=1
	global_load_dwordx2 v[17:18], v[14:15], off offset:-1024
	s_waitcnt vmcnt(0)
	v_sub_co_u32_e32 v21, vcc, v17, v1
	v_subb_co_u32_e32 v22, vcc, v18, v2, vcc
	v_lshlrev_b64 v[21:22], 3, v[21:22]
	global_load_dwordx4 v[17:20], v[10:11], off
	v_add_co_u32_e32 v21, vcc, s6, v21
	v_addc_co_u32_e32 v22, vcc, v16, v22, vcc
	global_load_dwordx2 v[21:22], v[21:22], off
	s_waitcnt vmcnt(1)
	v_lshlrev_b32_e32 v23, 16, v17
	v_and_b32_e32 v17, 0xffff0000, v17
	s_waitcnt vmcnt(0)
	v_lshlrev_b32_e32 v24, 16, v21
	v_fmac_f32_e32 v26, v17, v24
	v_lshlrev_b32_e32 v17, 16, v18
	v_fmac_f32_e32 v12, v17, v24
	v_and_b32_e32 v17, 0xffff0000, v18
	v_fmac_f32_e32 v13, v23, v24
	v_fmac_f32_e32 v3, v17, v24
	v_lshlrev_b32_e32 v17, 16, v19
	v_and_b32_e32 v18, 0xffff0000, v21
	v_fmac_f32_e32 v13, v17, v18
	v_and_b32_e32 v17, 0xffff0000, v19
	v_fmac_f32_e32 v26, v17, v18
	v_lshlrev_b32_e32 v17, 16, v20
	v_fmac_f32_e32 v12, v17, v18
	v_and_b32_e32 v17, 0xffff0000, v20
	v_fmac_f32_e32 v3, v17, v18
	global_load_dwordx4 v[17:20], v[10:11], off offset:16
	v_lshlrev_b32_e32 v23, 16, v22
	s_waitcnt vmcnt(0)
	v_lshlrev_b32_e32 v21, 16, v17
	v_and_b32_e32 v17, 0xffff0000, v17
	v_fmac_f32_e32 v26, v17, v23
	v_lshlrev_b32_e32 v17, 16, v18
	v_fmac_f32_e32 v12, v17, v23
	v_and_b32_e32 v17, 0xffff0000, v18
	v_fmac_f32_e32 v13, v21, v23
	v_fmac_f32_e32 v3, v17, v23
	v_lshlrev_b32_e32 v17, 16, v19
	v_and_b32_e32 v18, 0xffff0000, v22
	v_fmac_f32_e32 v13, v17, v18
	v_and_b32_e32 v17, 0xffff0000, v19
	v_fmac_f32_e32 v26, v17, v18
	v_lshlrev_b32_e32 v17, 16, v20
	v_fmac_f32_e32 v12, v17, v18
	v_and_b32_e32 v17, 0xffff0000, v20
	v_fmac_f32_e32 v3, v17, v18
	global_load_dwordx2 v[17:18], v[14:15], off offset:-512
	s_waitcnt vmcnt(0)
	v_sub_co_u32_e32 v21, vcc, v17, v1
	v_subb_co_u32_e32 v22, vcc, v18, v2, vcc
	v_lshlrev_b64 v[21:22], 3, v[21:22]
	global_load_dwordx4 v[17:20], v[10:11], off offset:2048
	v_add_co_u32_e32 v21, vcc, s6, v21
	v_addc_co_u32_e32 v22, vcc, v16, v22, vcc
	global_load_dwordx2 v[21:22], v[21:22], off
	s_waitcnt vmcnt(1)
	v_lshlrev_b32_e32 v23, 16, v17
	v_and_b32_e32 v17, 0xffff0000, v17
	s_waitcnt vmcnt(0)
	v_lshlrev_b32_e32 v24, 16, v21
	v_fmac_f32_e32 v26, v17, v24
	v_lshlrev_b32_e32 v17, 16, v18
	v_fmac_f32_e32 v12, v17, v24
	v_and_b32_e32 v17, 0xffff0000, v18
	v_fmac_f32_e32 v13, v23, v24
	v_fmac_f32_e32 v3, v17, v24
	v_lshlrev_b32_e32 v17, 16, v19
	v_and_b32_e32 v18, 0xffff0000, v21
	v_fmac_f32_e32 v13, v17, v18
	v_and_b32_e32 v17, 0xffff0000, v19
	v_fmac_f32_e32 v26, v17, v18
	v_lshlrev_b32_e32 v17, 16, v20
	v_fmac_f32_e32 v12, v17, v18
	v_and_b32_e32 v17, 0xffff0000, v20
	v_fmac_f32_e32 v3, v17, v18
	global_load_dwordx4 v[17:20], v[10:11], off offset:2064
	v_lshlrev_b32_e32 v23, 16, v22
	s_waitcnt vmcnt(0)
	v_lshlrev_b32_e32 v21, 16, v17
	v_and_b32_e32 v17, 0xffff0000, v17
	v_fmac_f32_e32 v26, v17, v23
	v_lshlrev_b32_e32 v17, 16, v18
	v_fmac_f32_e32 v12, v17, v23
	v_and_b32_e32 v17, 0xffff0000, v18
	v_fmac_f32_e32 v13, v21, v23
	v_fmac_f32_e32 v3, v17, v23
	v_lshlrev_b32_e32 v17, 16, v19
	v_and_b32_e32 v18, 0xffff0000, v22
	v_fmac_f32_e32 v13, v17, v18
	v_and_b32_e32 v17, 0xffff0000, v19
	v_fmac_f32_e32 v26, v17, v18
	v_lshlrev_b32_e32 v17, 16, v20
	v_fmac_f32_e32 v12, v17, v18
	v_and_b32_e32 v17, 0xffff0000, v20
	v_fmac_f32_e32 v3, v17, v18
	global_load_dwordx2 v[17:18], v[14:15], off
	v_add_co_u32_e32 v21, vcc, s7, v10
	v_addc_co_u32_e32 v22, vcc, 0, v11, vcc
	s_waitcnt vmcnt(0)
	v_sub_co_u32_e32 v23, vcc, v17, v1
	v_subb_co_u32_e32 v24, vcc, v18, v2, vcc
	v_lshlrev_b64 v[23:24], 3, v[23:24]
	global_load_dwordx4 v[17:20], v[21:22], off
	v_add_co_u32_e32 v23, vcc, s6, v23
	v_addc_co_u32_e32 v24, vcc, v16, v24, vcc
	global_load_dwordx2 v[23:24], v[23:24], off
	s_waitcnt vmcnt(1)
	v_lshlrev_b32_e32 v25, 16, v17
	v_and_b32_e32 v17, 0xffff0000, v17
	s_waitcnt vmcnt(0)
	v_lshlrev_b32_e32 v27, 16, v23
	v_fmac_f32_e32 v26, v17, v27
	v_lshlrev_b32_e32 v17, 16, v18
	v_fmac_f32_e32 v12, v17, v27
	v_and_b32_e32 v17, 0xffff0000, v18
	v_fmac_f32_e32 v13, v25, v27
	v_fmac_f32_e32 v3, v17, v27
	v_lshlrev_b32_e32 v17, 16, v19
	v_and_b32_e32 v18, 0xffff0000, v23
	v_fmac_f32_e32 v13, v17, v18
	v_and_b32_e32 v17, 0xffff0000, v19
	v_fmac_f32_e32 v26, v17, v18
	v_lshlrev_b32_e32 v17, 16, v20
	v_fmac_f32_e32 v12, v17, v18
	v_and_b32_e32 v17, 0xffff0000, v20
	v_fmac_f32_e32 v3, v17, v18
	global_load_dwordx4 v[17:20], v[21:22], off offset:16
	v_lshlrev_b32_e32 v25, 16, v24
	s_waitcnt vmcnt(0)
	v_lshlrev_b32_e32 v23, 16, v17
	v_and_b32_e32 v17, 0xffff0000, v17
	v_fmac_f32_e32 v26, v17, v25
	v_lshlrev_b32_e32 v17, 16, v18
	v_fmac_f32_e32 v12, v17, v25
	v_and_b32_e32 v17, 0xffff0000, v18
	v_fmac_f32_e32 v13, v23, v25
	v_fmac_f32_e32 v3, v17, v25
	v_lshlrev_b32_e32 v17, 16, v19
	v_and_b32_e32 v18, 0xffff0000, v24
	v_fmac_f32_e32 v13, v17, v18
	v_and_b32_e32 v17, 0xffff0000, v19
	v_fmac_f32_e32 v26, v17, v18
	v_lshlrev_b32_e32 v17, 16, v20
	v_fmac_f32_e32 v12, v17, v18
	v_and_b32_e32 v17, 0xffff0000, v20
	v_fmac_f32_e32 v3, v17, v18
	global_load_dwordx2 v[17:18], v[14:15], off offset:512
	s_waitcnt vmcnt(0)
	v_sub_co_u32_e32 v23, vcc, v17, v1
	v_subb_co_u32_e32 v24, vcc, v18, v2, vcc
	v_lshlrev_b64 v[23:24], 3, v[23:24]
	global_load_dwordx4 v[17:20], v[21:22], off offset:2048
	v_add_co_u32_e32 v23, vcc, s6, v23
	v_addc_co_u32_e32 v24, vcc, v16, v24, vcc
	global_load_dwordx2 v[23:24], v[23:24], off
	v_add_co_u32_e32 v6, vcc, 0x100, v6
	v_addc_co_u32_e32 v7, vcc, 0, v7, vcc
	v_add_co_u32_e32 v14, vcc, 0x800, v14
	v_addc_co_u32_e32 v15, vcc, 0, v15, vcc
	v_cmp_ge_i64_e64 s[0:1], v[6:7], v[8:9]
	v_add_co_u32_e32 v10, vcc, 0x2000, v10
	v_addc_co_u32_e32 v11, vcc, 0, v11, vcc
	s_or_b64 s[10:11], s[0:1], s[10:11]
	s_waitcnt vmcnt(1)
	v_lshlrev_b32_e32 v25, 16, v17
	v_and_b32_e32 v17, 0xffff0000, v17
	s_waitcnt vmcnt(0)
	v_lshlrev_b32_e32 v27, 16, v23
	v_fmac_f32_e32 v26, v17, v27
	v_lshlrev_b32_e32 v17, 16, v18
	v_fmac_f32_e32 v12, v17, v27
	v_and_b32_e32 v17, 0xffff0000, v18
	v_fmac_f32_e32 v13, v25, v27
	v_fmac_f32_e32 v3, v17, v27
	v_lshlrev_b32_e32 v17, 16, v19
	v_and_b32_e32 v18, 0xffff0000, v23
	v_fmac_f32_e32 v13, v17, v18
	v_and_b32_e32 v17, 0xffff0000, v19
	v_fmac_f32_e32 v26, v17, v18
	v_lshlrev_b32_e32 v17, 16, v20
	v_fmac_f32_e32 v12, v17, v18
	v_and_b32_e32 v17, 0xffff0000, v20
	v_fmac_f32_e32 v3, v17, v18
	global_load_dwordx4 v[17:20], v[21:22], off offset:2064
	v_lshlrev_b32_e32 v22, 16, v24
	s_waitcnt vmcnt(0)
	v_lshlrev_b32_e32 v21, 16, v17
	v_and_b32_e32 v17, 0xffff0000, v17
	v_fmac_f32_e32 v26, v17, v22
	v_lshlrev_b32_e32 v17, 16, v18
	v_fmac_f32_e32 v12, v17, v22
	v_and_b32_e32 v17, 0xffff0000, v18
	v_fmac_f32_e32 v13, v21, v22
	v_fmac_f32_e32 v3, v17, v22
	v_lshlrev_b32_e32 v17, 16, v19
	v_and_b32_e32 v18, 0xffff0000, v24
	v_fmac_f32_e32 v13, v17, v18
	v_and_b32_e32 v17, 0xffff0000, v19
	v_fmac_f32_e32 v26, v17, v18
	v_lshlrev_b32_e32 v17, 16, v20
	v_fmac_f32_e32 v12, v17, v18
	v_and_b32_e32 v17, 0xffff0000, v20
	v_fmac_f32_e32 v3, v17, v18
	s_andn2_b64 exec, exec, s[10:11]
	s_cbranch_execnz .LBB119_35
; %bb.36:
	s_or_b64 exec, exec, s[10:11]
.LBB119_37:
	s_or_b64 exec, exec, s[8:9]
.LBB119_38:
	s_or_b64 exec, exec, s[2:3]
.LBB119_39:
	v_mov_b32_dpp v1, v13 row_shr:1 row_mask:0xf bank_mask:0xf
	v_mov_b32_dpp v6, v26 row_shr:1 row_mask:0xf bank_mask:0xf
	v_mov_b32_dpp v8, v12 row_shr:1 row_mask:0xf bank_mask:0xf
	v_mov_b32_dpp v10, v3 row_shr:1 row_mask:0xf bank_mask:0xf
	v_add_f32_e32 v1, v13, v1
	v_add_f32_e32 v6, v26, v6
	v_add_f32_e32 v8, v12, v8
	v_add_f32_e32 v3, v3, v10
	v_mov_b32_dpp v2, v1 row_shr:2 row_mask:0xf bank_mask:0xf
	v_mov_b32_dpp v7, v6 row_shr:2 row_mask:0xf bank_mask:0xf
	v_mov_b32_dpp v9, v8 row_shr:2 row_mask:0xf bank_mask:0xf
	v_mov_b32_dpp v10, v3 row_shr:2 row_mask:0xf bank_mask:0xf
	v_add_f32_e32 v1, v1, v2
	v_add_f32_e32 v6, v6, v7
	v_add_f32_e32 v8, v8, v9
	v_add_f32_e32 v3, v3, v10
	;; [unrolled: 8-line block ×4, first 2 shown]
	v_mov_b32_dpp v2, v1 row_bcast:15 row_mask:0xa bank_mask:0xf
	v_mov_b32_dpp v7, v6 row_bcast:15 row_mask:0xa bank_mask:0xf
	;; [unrolled: 1-line block ×4, first 2 shown]
	v_add_f32_e32 v1, v1, v2
	v_add_f32_e32 v6, v6, v7
	;; [unrolled: 1-line block ×4, first 2 shown]
	v_mov_b32_dpp v2, v1 row_bcast:31 row_mask:0xc bank_mask:0xf
	v_mov_b32_dpp v7, v6 row_bcast:31 row_mask:0xc bank_mask:0xf
	;; [unrolled: 1-line block ×4, first 2 shown]
	v_cmp_eq_u32_e32 vcc, 63, v0
	s_and_b64 exec, exec, vcc
	s_cbranch_execz .LBB119_10
; %bb.40:
	s_load_dwordx2 s[0:1], s[4:5], 0x58
	v_add_f32_e32 v0, v1, v2
	v_add_f32_e32 v1, v6, v7
	;; [unrolled: 1-line block ×4, first 2 shown]
	v_cmp_eq_f32_e64 s[2:3], s20, 0
	v_lshlrev_b64 v[4:5], 4, v[4:5]
	s_and_b64 vcc, exec, s[2:3]
	v_mul_f32_e32 v0, s16, v0
	v_mul_f32_e32 v1, s16, v1
	;; [unrolled: 1-line block ×4, first 2 shown]
	s_cbranch_vccz .LBB119_42
; %bb.41:
	s_waitcnt lgkmcnt(0)
	v_mov_b32_e32 v7, s1
	v_add_co_u32_e32 v6, vcc, s0, v4
	v_addc_co_u32_e32 v7, vcc, v7, v5, vcc
	global_store_dwordx4 v[6:7], v[0:3], off
	s_cbranch_execnz .LBB119_10
	s_branch .LBB119_43
.LBB119_42:
.LBB119_43:
	s_waitcnt lgkmcnt(0)
	v_mov_b32_e32 v6, s1
	v_add_co_u32_e32 v8, vcc, s0, v4
	v_addc_co_u32_e32 v9, vcc, v6, v5, vcc
	global_load_dwordx4 v[4:7], v[8:9], off
	s_waitcnt vmcnt(0)
	v_fmac_f32_e32 v0, s20, v4
	v_fmac_f32_e32 v1, s20, v5
	;; [unrolled: 1-line block ×4, first 2 shown]
	global_store_dwordx4 v[8:9], v[0:3], off
	s_endpgm
	.section	.rodata,"a",@progbits
	.p2align	6, 0x0
	.amdhsa_kernel _ZN9rocsparseL18bsrxmvn_4x4_kernelILj128ELj64Efll18rocsparse_bfloat16S1_fEEvT3_20rocsparse_direction_NS_24const_host_device_scalarIT1_EES2_PKS2_PKT2_SB_S8_PKT4_PKT5_S6_PT6_21rocsparse_index_base_b
		.amdhsa_group_segment_fixed_size 0
		.amdhsa_private_segment_fixed_size 0
		.amdhsa_kernarg_size 104
		.amdhsa_user_sgpr_count 6
		.amdhsa_user_sgpr_private_segment_buffer 1
		.amdhsa_user_sgpr_dispatch_ptr 0
		.amdhsa_user_sgpr_queue_ptr 0
		.amdhsa_user_sgpr_kernarg_segment_ptr 1
		.amdhsa_user_sgpr_dispatch_id 0
		.amdhsa_user_sgpr_flat_scratch_init 0
		.amdhsa_user_sgpr_private_segment_size 0
		.amdhsa_uses_dynamic_stack 0
		.amdhsa_system_sgpr_private_segment_wavefront_offset 0
		.amdhsa_system_sgpr_workgroup_id_x 1
		.amdhsa_system_sgpr_workgroup_id_y 0
		.amdhsa_system_sgpr_workgroup_id_z 0
		.amdhsa_system_sgpr_workgroup_info 0
		.amdhsa_system_vgpr_workitem_id 0
		.amdhsa_next_free_vgpr 48
		.amdhsa_next_free_sgpr 22
		.amdhsa_reserve_vcc 1
		.amdhsa_reserve_flat_scratch 0
		.amdhsa_float_round_mode_32 0
		.amdhsa_float_round_mode_16_64 0
		.amdhsa_float_denorm_mode_32 3
		.amdhsa_float_denorm_mode_16_64 3
		.amdhsa_dx10_clamp 1
		.amdhsa_ieee_mode 1
		.amdhsa_fp16_overflow 0
		.amdhsa_exception_fp_ieee_invalid_op 0
		.amdhsa_exception_fp_denorm_src 0
		.amdhsa_exception_fp_ieee_div_zero 0
		.amdhsa_exception_fp_ieee_overflow 0
		.amdhsa_exception_fp_ieee_underflow 0
		.amdhsa_exception_fp_ieee_inexact 0
		.amdhsa_exception_int_div_zero 0
	.end_amdhsa_kernel
	.section	.text._ZN9rocsparseL18bsrxmvn_4x4_kernelILj128ELj64Efll18rocsparse_bfloat16S1_fEEvT3_20rocsparse_direction_NS_24const_host_device_scalarIT1_EES2_PKS2_PKT2_SB_S8_PKT4_PKT5_S6_PT6_21rocsparse_index_base_b,"axG",@progbits,_ZN9rocsparseL18bsrxmvn_4x4_kernelILj128ELj64Efll18rocsparse_bfloat16S1_fEEvT3_20rocsparse_direction_NS_24const_host_device_scalarIT1_EES2_PKS2_PKT2_SB_S8_PKT4_PKT5_S6_PT6_21rocsparse_index_base_b,comdat
.Lfunc_end119:
	.size	_ZN9rocsparseL18bsrxmvn_4x4_kernelILj128ELj64Efll18rocsparse_bfloat16S1_fEEvT3_20rocsparse_direction_NS_24const_host_device_scalarIT1_EES2_PKS2_PKT2_SB_S8_PKT4_PKT5_S6_PT6_21rocsparse_index_base_b, .Lfunc_end119-_ZN9rocsparseL18bsrxmvn_4x4_kernelILj128ELj64Efll18rocsparse_bfloat16S1_fEEvT3_20rocsparse_direction_NS_24const_host_device_scalarIT1_EES2_PKS2_PKT2_SB_S8_PKT4_PKT5_S6_PT6_21rocsparse_index_base_b
                                        ; -- End function
	.set _ZN9rocsparseL18bsrxmvn_4x4_kernelILj128ELj64Efll18rocsparse_bfloat16S1_fEEvT3_20rocsparse_direction_NS_24const_host_device_scalarIT1_EES2_PKS2_PKT2_SB_S8_PKT4_PKT5_S6_PT6_21rocsparse_index_base_b.num_vgpr, 48
	.set _ZN9rocsparseL18bsrxmvn_4x4_kernelILj128ELj64Efll18rocsparse_bfloat16S1_fEEvT3_20rocsparse_direction_NS_24const_host_device_scalarIT1_EES2_PKS2_PKT2_SB_S8_PKT4_PKT5_S6_PT6_21rocsparse_index_base_b.num_agpr, 0
	.set _ZN9rocsparseL18bsrxmvn_4x4_kernelILj128ELj64Efll18rocsparse_bfloat16S1_fEEvT3_20rocsparse_direction_NS_24const_host_device_scalarIT1_EES2_PKS2_PKT2_SB_S8_PKT4_PKT5_S6_PT6_21rocsparse_index_base_b.numbered_sgpr, 22
	.set _ZN9rocsparseL18bsrxmvn_4x4_kernelILj128ELj64Efll18rocsparse_bfloat16S1_fEEvT3_20rocsparse_direction_NS_24const_host_device_scalarIT1_EES2_PKS2_PKT2_SB_S8_PKT4_PKT5_S6_PT6_21rocsparse_index_base_b.num_named_barrier, 0
	.set _ZN9rocsparseL18bsrxmvn_4x4_kernelILj128ELj64Efll18rocsparse_bfloat16S1_fEEvT3_20rocsparse_direction_NS_24const_host_device_scalarIT1_EES2_PKS2_PKT2_SB_S8_PKT4_PKT5_S6_PT6_21rocsparse_index_base_b.private_seg_size, 0
	.set _ZN9rocsparseL18bsrxmvn_4x4_kernelILj128ELj64Efll18rocsparse_bfloat16S1_fEEvT3_20rocsparse_direction_NS_24const_host_device_scalarIT1_EES2_PKS2_PKT2_SB_S8_PKT4_PKT5_S6_PT6_21rocsparse_index_base_b.uses_vcc, 1
	.set _ZN9rocsparseL18bsrxmvn_4x4_kernelILj128ELj64Efll18rocsparse_bfloat16S1_fEEvT3_20rocsparse_direction_NS_24const_host_device_scalarIT1_EES2_PKS2_PKT2_SB_S8_PKT4_PKT5_S6_PT6_21rocsparse_index_base_b.uses_flat_scratch, 0
	.set _ZN9rocsparseL18bsrxmvn_4x4_kernelILj128ELj64Efll18rocsparse_bfloat16S1_fEEvT3_20rocsparse_direction_NS_24const_host_device_scalarIT1_EES2_PKS2_PKT2_SB_S8_PKT4_PKT5_S6_PT6_21rocsparse_index_base_b.has_dyn_sized_stack, 0
	.set _ZN9rocsparseL18bsrxmvn_4x4_kernelILj128ELj64Efll18rocsparse_bfloat16S1_fEEvT3_20rocsparse_direction_NS_24const_host_device_scalarIT1_EES2_PKS2_PKT2_SB_S8_PKT4_PKT5_S6_PT6_21rocsparse_index_base_b.has_recursion, 0
	.set _ZN9rocsparseL18bsrxmvn_4x4_kernelILj128ELj64Efll18rocsparse_bfloat16S1_fEEvT3_20rocsparse_direction_NS_24const_host_device_scalarIT1_EES2_PKS2_PKT2_SB_S8_PKT4_PKT5_S6_PT6_21rocsparse_index_base_b.has_indirect_call, 0
	.section	.AMDGPU.csdata,"",@progbits
; Kernel info:
; codeLenInByte = 4344
; TotalNumSgprs: 26
; NumVgprs: 48
; ScratchSize: 0
; MemoryBound: 0
; FloatMode: 240
; IeeeMode: 1
; LDSByteSize: 0 bytes/workgroup (compile time only)
; SGPRBlocks: 3
; VGPRBlocks: 11
; NumSGPRsForWavesPerEU: 26
; NumVGPRsForWavesPerEU: 48
; Occupancy: 5
; WaveLimiterHint : 1
; COMPUTE_PGM_RSRC2:SCRATCH_EN: 0
; COMPUTE_PGM_RSRC2:USER_SGPR: 6
; COMPUTE_PGM_RSRC2:TRAP_HANDLER: 0
; COMPUTE_PGM_RSRC2:TGID_X_EN: 1
; COMPUTE_PGM_RSRC2:TGID_Y_EN: 0
; COMPUTE_PGM_RSRC2:TGID_Z_EN: 0
; COMPUTE_PGM_RSRC2:TIDIG_COMP_CNT: 0
	.section	.text._ZN9rocsparseL18bsrxmvn_4x4_kernelILj128ELj4E21rocsparse_complex_numIfEiifS2_S2_EEvT3_20rocsparse_direction_NS_24const_host_device_scalarIT1_EES3_PKS3_PKT2_SC_S9_PKT4_PKT5_S7_PT6_21rocsparse_index_base_b,"axG",@progbits,_ZN9rocsparseL18bsrxmvn_4x4_kernelILj128ELj4E21rocsparse_complex_numIfEiifS2_S2_EEvT3_20rocsparse_direction_NS_24const_host_device_scalarIT1_EES3_PKS3_PKT2_SC_S9_PKT4_PKT5_S7_PT6_21rocsparse_index_base_b,comdat
	.globl	_ZN9rocsparseL18bsrxmvn_4x4_kernelILj128ELj4E21rocsparse_complex_numIfEiifS2_S2_EEvT3_20rocsparse_direction_NS_24const_host_device_scalarIT1_EES3_PKS3_PKT2_SC_S9_PKT4_PKT5_S7_PT6_21rocsparse_index_base_b ; -- Begin function _ZN9rocsparseL18bsrxmvn_4x4_kernelILj128ELj4E21rocsparse_complex_numIfEiifS2_S2_EEvT3_20rocsparse_direction_NS_24const_host_device_scalarIT1_EES3_PKS3_PKT2_SC_S9_PKT4_PKT5_S7_PT6_21rocsparse_index_base_b
	.p2align	8
	.type	_ZN9rocsparseL18bsrxmvn_4x4_kernelILj128ELj4E21rocsparse_complex_numIfEiifS2_S2_EEvT3_20rocsparse_direction_NS_24const_host_device_scalarIT1_EES3_PKS3_PKT2_SC_S9_PKT4_PKT5_S7_PT6_21rocsparse_index_base_b,@function
_ZN9rocsparseL18bsrxmvn_4x4_kernelILj128ELj4E21rocsparse_complex_numIfEiifS2_S2_EEvT3_20rocsparse_direction_NS_24const_host_device_scalarIT1_EES3_PKS3_PKT2_SC_S9_PKT4_PKT5_S7_PT6_21rocsparse_index_base_b: ; @_ZN9rocsparseL18bsrxmvn_4x4_kernelILj128ELj4E21rocsparse_complex_numIfEiifS2_S2_EEvT3_20rocsparse_direction_NS_24const_host_device_scalarIT1_EES3_PKS3_PKT2_SC_S9_PKT4_PKT5_S7_PT6_21rocsparse_index_base_b
; %bb.0:
	s_load_dwordx2 s[0:1], s[4:5], 0x8
	s_load_dwordx2 s[16:17], s[4:5], 0x58
	s_add_u32 s7, s4, 8
	s_addc_u32 s8, s5, 0
	s_add_u32 s9, s4, 0x48
	s_load_dwordx2 s[2:3], s[4:5], 0x48
	s_addc_u32 s10, s5, 0
	s_waitcnt lgkmcnt(0)
	s_bitcmp1_b32 s17, 0
	s_cselect_b32 s1, s8, s1
	s_cselect_b32 s0, s7, s0
	v_mov_b32_e32 v1, s0
	v_mov_b32_e32 v2, s1
	flat_load_dwordx2 v[18:19], v[1:2]
	s_cselect_b32 s0, s10, s3
	s_cselect_b32 s1, s9, s2
	v_mov_b32_e32 v1, s1
	v_mov_b32_e32 v2, s0
	flat_load_dwordx2 v[16:17], v[1:2]
	s_waitcnt vmcnt(0) lgkmcnt(0)
	v_cmp_eq_f32_e32 vcc, 0, v18
	v_cmp_eq_f32_e64 s[0:1], 0, v19
	s_and_b64 s[8:9], vcc, s[0:1]
	s_mov_b64 s[0:1], -1
	s_and_saveexec_b64 s[2:3], s[8:9]
; %bb.1:
	v_cmp_neq_f32_e32 vcc, 1.0, v16
	v_cmp_neq_f32_e64 s[0:1], 0, v17
	s_or_b64 s[0:1], vcc, s[0:1]
	s_orn2_b64 s[0:1], s[0:1], exec
; %bb.2:
	s_or_b64 exec, exec, s[2:3]
	s_and_saveexec_b64 s[2:3], s[0:1]
	s_cbranch_execz .LBB120_8
; %bb.3:
	s_load_dwordx2 s[8:9], s[4:5], 0x18
	s_load_dwordx2 s[0:1], s[4:5], 0x0
	v_lshrrev_b32_e32 v1, 2, v0
	v_lshl_or_b32 v20, s6, 5, v1
	s_mov_b64 s[2:3], 0
	s_waitcnt lgkmcnt(0)
	s_cmp_lg_u64 s[8:9], 0
	s_cbranch_scc0 .LBB120_9
; %bb.4:
	s_load_dword s6, s[4:5], 0x10
                                        ; implicit-def: $vgpr1
	s_waitcnt lgkmcnt(0)
	v_cmp_gt_i32_e32 vcc, s6, v20
	s_and_saveexec_b64 s[6:7], vcc
	s_xor_b64 s[6:7], exec, s[6:7]
	s_cbranch_execz .LBB120_6
; %bb.5:
	v_ashrrev_i32_e32 v21, 31, v20
	v_lshlrev_b64 v[1:2], 2, v[20:21]
	v_mov_b32_e32 v3, s9
	v_add_co_u32_e32 v1, vcc, s8, v1
	v_addc_co_u32_e32 v2, vcc, v3, v2, vcc
	global_load_dword v1, v[1:2], off
	s_mov_b64 s[2:3], exec
	s_waitcnt vmcnt(0)
	v_subrev_u32_e32 v1, s16, v1
.LBB120_6:
	s_or_b64 exec, exec, s[6:7]
	s_branch .LBB120_10
.LBB120_7:
	v_cmp_gt_i32_e32 vcc, s0, v20
	s_andn2_b64 s[2:3], s[2:3], exec
	s_and_b64 s[6:7], vcc, exec
	s_or_b64 s[2:3], s[2:3], s[6:7]
	s_and_b64 exec, exec, s[2:3]
	s_cbranch_execnz .LBB120_11
.LBB120_8:
	s_endpgm
.LBB120_9:
                                        ; implicit-def: $vgpr1
	s_cbranch_execnz .LBB120_7
.LBB120_10:
	v_mov_b32_e32 v20, v1
	s_and_b64 exec, exec, s[2:3]
	s_cbranch_execz .LBB120_8
.LBB120_11:
	s_load_dwordx8 s[8:15], s[4:5], 0x20
	v_ashrrev_i32_e32 v21, 31, v20
	v_lshlrev_b64 v[1:2], 2, v[20:21]
	v_and_b32_e32 v31, 3, v0
	s_load_dwordx2 s[6:7], s[4:5], 0x40
	s_waitcnt lgkmcnt(0)
	v_mov_b32_e32 v4, s9
	v_add_co_u32_e32 v3, vcc, s8, v1
	v_addc_co_u32_e32 v4, vcc, v4, v2, vcc
	global_load_dword v41, v[3:4], off
	v_add_co_u32_e32 v3, vcc, 4, v3
	v_addc_co_u32_e32 v4, vcc, 0, v4, vcc
	v_mov_b32_e32 v5, s11
	v_add_co_u32_e32 v1, vcc, s10, v1
	s_cmp_eq_u64 s[10:11], 0
	v_addc_co_u32_e32 v2, vcc, v5, v2, vcc
	s_cselect_b64 vcc, -1, 0
	v_cndmask_b32_e32 v2, v2, v4, vcc
	v_cndmask_b32_e32 v1, v1, v3, vcc
	global_load_dword v1, v[1:2], off
	v_mov_b32_e32 v2, s15
	s_cmp_eq_u32 s1, 1
	s_waitcnt vmcnt(1)
	v_subrev_u32_e32 v0, s16, v41
	v_add_u32_e32 v21, v0, v31
	v_ashrrev_i32_e32 v22, 31, v21
	s_waitcnt vmcnt(0)
	v_subrev_u32_e32 v32, s16, v1
	v_lshlrev_b64 v[0:1], 6, v[21:22]
	v_cmp_lt_i32_e64 s[0:1], v21, v32
	v_add_co_u32_e32 v23, vcc, s14, v0
	v_addc_co_u32_e32 v24, vcc, v2, v1, vcc
	s_cbranch_scc1 .LBB120_23
; %bb.12:
	v_mov_b32_e32 v33, 0
	v_mov_b32_e32 v40, 0
	;; [unrolled: 1-line block ×8, first 2 shown]
	s_and_saveexec_b64 s[8:9], s[0:1]
	s_cbranch_execz .LBB120_22
; %bb.13:
	v_add_u32_e32 v0, v41, v31
	v_subrev_u32_e32 v0, s16, v0
	v_add_u32_e32 v0, 4, v0
	v_max_i32_e32 v0, v0, v32
	v_not_b32_e32 v1, v41
	v_add3_u32 v0, s16, v0, v1
	v_sub_u32_e32 v0, v0, v31
	v_and_b32_e32 v1, 12, v0
	v_mov_b32_e32 v28, v24
	v_cmp_ne_u32_e32 vcc, 12, v1
	v_mov_b32_e32 v34, 0
	v_mov_b32_e32 v37, 0
	;; [unrolled: 1-line block ×10, first 2 shown]
	s_and_saveexec_b64 s[10:11], vcc
	s_cbranch_execz .LBB120_17
; %bb.14:
	v_lshrrev_b32_e32 v1, 2, v0
	v_add_u32_e32 v1, 1, v1
	v_and_b32_e32 v1, 3, v1
	v_mov_b32_e32 v28, v24
	v_sub_u32_e32 v1, 0, v1
	v_mov_b32_e32 v33, 0
	s_mov_b64 s[14:15], 0
	v_mov_b32_e32 v2, s13
	v_mov_b32_e32 v3, s7
	;; [unrolled: 1-line block ×11, first 2 shown]
.LBB120_15:                             ; =>This Inner Loop Header: Depth=1
	v_ashrrev_i32_e32 v26, 31, v25
	v_lshlrev_b64 v[4:5], 2, v[25:26]
	v_add_co_u32_e64 v1, s[2:3], 1, v1
	v_add_co_u32_e32 v29, vcc, s12, v4
	v_addc_co_u32_e32 v30, vcc, v2, v5, vcc
	global_load_dword v22, v[29:30], off
	global_load_dwordx4 v[4:7], v[27:28], off
	global_load_dwordx4 v[8:11], v[27:28], off offset:16
	global_load_dwordx4 v[12:15], v[27:28], off offset:32
	;; [unrolled: 1-line block ×3, first 2 shown]
	v_add_u32_e32 v25, 4, v25
	s_or_b64 s[14:15], s[2:3], s[14:15]
	s_waitcnt vmcnt(4)
	v_subrev_u32_e32 v22, s16, v22
	v_lshlrev_b32_e32 v29, 2, v22
	v_ashrrev_i32_e32 v30, 31, v29
	v_lshlrev_b64 v[29:30], 3, v[29:30]
	v_add_co_u32_e32 v29, vcc, s6, v29
	v_addc_co_u32_e32 v30, vcc, v3, v30, vcc
	global_load_dwordx4 v[46:49], v[29:30], off
	global_load_dwordx4 v[50:53], v[29:30], off offset:16
	v_add_co_u32_e32 v27, vcc, 0x100, v27
	v_addc_co_u32_e32 v28, vcc, 0, v28, vcc
	s_waitcnt vmcnt(1)
	v_fmac_f32_e32 v40, v4, v46
	v_fmac_f32_e32 v33, 0, v46
	v_fmac_f32_e32 v38, v8, v46
	v_fmac_f32_e32 v35, 0, v46
	v_fmac_f32_e32 v39, v12, v46
	v_fmac_f32_e32 v36, 0, v46
	v_fmac_f32_e32 v34, v42, v46
	v_fmac_f32_e32 v37, 0, v46
	v_fmac_f32_e32 v40, 0x80000000, v47
	v_fmac_f32_e32 v33, v4, v47
	v_fmac_f32_e32 v38, 0x80000000, v47
	v_fmac_f32_e32 v35, v8, v47
	v_fmac_f32_e32 v39, 0x80000000, v47
	v_fmac_f32_e32 v36, v12, v47
	v_fmac_f32_e32 v34, 0x80000000, v47
	v_fmac_f32_e32 v37, v42, v47
	v_fmac_f32_e32 v40, v5, v48
	v_fmac_f32_e32 v33, 0, v48
	v_fmac_f32_e32 v38, v9, v48
	v_fmac_f32_e32 v35, 0, v48
	v_fmac_f32_e32 v39, v13, v48
	v_fmac_f32_e32 v36, 0, v48
	v_fmac_f32_e32 v34, v43, v48
	v_fmac_f32_e32 v37, 0, v48
	v_fmac_f32_e32 v40, 0x80000000, v49
	v_fmac_f32_e32 v33, v5, v49
	v_fmac_f32_e32 v38, 0x80000000, v49
	v_fmac_f32_e32 v35, v9, v49
	v_fmac_f32_e32 v39, 0x80000000, v49
	v_fmac_f32_e32 v36, v13, v49
	v_fmac_f32_e32 v34, 0x80000000, v49
	v_fmac_f32_e32 v37, v43, v49
	s_waitcnt vmcnt(0)
	v_fmac_f32_e32 v40, v6, v50
	v_fmac_f32_e32 v33, 0, v50
	;; [unrolled: 1-line block ×32, first 2 shown]
	s_andn2_b64 exec, exec, s[14:15]
	s_cbranch_execnz .LBB120_15
; %bb.16:
	s_or_b64 exec, exec, s[14:15]
.LBB120_17:
	s_or_b64 exec, exec, s[10:11]
	v_cmp_lt_u32_e32 vcc, 11, v0
	s_and_saveexec_b64 s[2:3], vcc
	s_cbranch_execz .LBB120_21
; %bb.18:
	s_mov_b64 s[10:11], 0
	v_mov_b32_e32 v22, s13
	v_mov_b32_e32 v42, s7
.LBB120_19:                             ; =>This Inner Loop Header: Depth=1
	v_ashrrev_i32_e32 v26, 31, v25
	v_lshlrev_b64 v[12:13], 2, v[25:26]
	global_load_dwordx4 v[0:3], v[27:28], off offset:32
	global_load_dwordx4 v[4:7], v[27:28], off offset:16
	global_load_dwordx4 v[8:11], v[27:28], off
	v_add_co_u32_e32 v29, vcc, s12, v12
	v_addc_co_u32_e32 v30, vcc, v22, v13, vcc
	global_load_dword v12, v[29:30], off
	global_load_dwordx4 v[43:46], v[27:28], off offset:48
	v_add_u32_e32 v25, 16, v25
	s_waitcnt vmcnt(1)
	v_subrev_u32_e32 v12, s16, v12
	v_lshlrev_b32_e32 v12, 2, v12
	v_ashrrev_i32_e32 v13, 31, v12
	v_lshlrev_b64 v[12:13], 3, v[12:13]
	v_add_co_u32_e32 v47, vcc, s6, v12
	v_addc_co_u32_e32 v48, vcc, v42, v13, vcc
	global_load_dwordx4 v[12:15], v[47:48], off
	s_waitcnt vmcnt(0)
	v_fmac_f32_e32 v40, v8, v12
	v_fmac_f32_e32 v33, 0, v12
	;; [unrolled: 1-line block ×32, first 2 shown]
	global_load_dwordx4 v[12:15], v[47:48], off offset:16
	s_waitcnt vmcnt(0)
	v_fmac_f32_e32 v40, v10, v12
	v_fmac_f32_e32 v33, 0, v12
	;; [unrolled: 1-line block ×8, first 2 shown]
	global_load_dword v12, v[29:30], off offset:16
	v_fmac_f32_e32 v40, 0x80000000, v13
	v_fmac_f32_e32 v33, v10, v13
	;; [unrolled: 1-line block ×17, first 2 shown]
	global_load_dwordx4 v[8:11], v[27:28], off offset:288
	v_fmac_f32_e32 v35, v7, v15
	global_load_dwordx4 v[4:7], v[27:28], off offset:272
	v_fmac_f32_e32 v36, v3, v15
	;; [unrolled: 2-line block ×3, first 2 shown]
	v_fmac_f32_e32 v40, 0x80000000, v15
	v_fmac_f32_e32 v38, 0x80000000, v15
	;; [unrolled: 1-line block ×4, first 2 shown]
	global_load_dwordx4 v[43:46], v[27:28], off offset:304
	s_waitcnt vmcnt(4)
	v_subrev_u32_e32 v12, s16, v12
	v_lshlrev_b32_e32 v12, 2, v12
	v_ashrrev_i32_e32 v13, 31, v12
	v_lshlrev_b64 v[12:13], 3, v[12:13]
	v_add_co_u32_e32 v47, vcc, s6, v12
	v_addc_co_u32_e32 v48, vcc, v42, v13, vcc
	global_load_dwordx4 v[12:15], v[47:48], off
	s_waitcnt vmcnt(0)
	v_fmac_f32_e32 v40, v0, v12
	v_fmac_f32_e32 v33, 0, v12
	;; [unrolled: 1-line block ×32, first 2 shown]
	global_load_dwordx4 v[12:15], v[47:48], off offset:16
	s_waitcnt vmcnt(0)
	v_fmac_f32_e32 v40, v2, v12
	v_fmac_f32_e32 v33, 0, v12
	;; [unrolled: 1-line block ×8, first 2 shown]
	global_load_dword v12, v[29:30], off offset:32
	v_fmac_f32_e32 v40, 0x80000000, v13
	v_fmac_f32_e32 v33, v2, v13
	v_fmac_f32_e32 v38, 0x80000000, v13
	v_fmac_f32_e32 v35, v6, v13
	v_fmac_f32_e32 v39, 0x80000000, v13
	v_fmac_f32_e32 v36, v10, v13
	v_fmac_f32_e32 v34, 0x80000000, v13
	v_fmac_f32_e32 v37, v45, v13
	v_fmac_f32_e32 v37, 0, v14
	v_fmac_f32_e32 v33, 0, v14
	v_fmac_f32_e32 v34, v46, v14
	v_fmac_f32_e32 v37, v46, v15
	v_fmac_f32_e32 v40, v3, v14
	v_fmac_f32_e32 v33, v3, v15
	global_load_dwordx4 v[0:3], v[27:28], off offset:544
	v_fmac_f32_e32 v38, v7, v14
	v_fmac_f32_e32 v35, 0, v14
	v_fmac_f32_e32 v39, v11, v14
	v_fmac_f32_e32 v36, 0, v14
	v_fmac_f32_e32 v35, v7, v15
	global_load_dwordx4 v[4:7], v[27:28], off offset:528
	v_fmac_f32_e32 v36, v11, v15
	global_load_dwordx4 v[8:11], v[27:28], off offset:512
	v_fmac_f32_e32 v40, 0x80000000, v15
	v_fmac_f32_e32 v38, 0x80000000, v15
	;; [unrolled: 1-line block ×4, first 2 shown]
	s_waitcnt vmcnt(3)
	v_subrev_u32_e32 v12, s16, v12
	v_lshlrev_b32_e32 v12, 2, v12
	v_ashrrev_i32_e32 v13, 31, v12
	v_lshlrev_b64 v[12:13], 3, v[12:13]
	v_add_co_u32_e32 v47, vcc, s6, v12
	v_addc_co_u32_e32 v48, vcc, v42, v13, vcc
	global_load_dwordx4 v[43:46], v[47:48], off
	global_load_dwordx4 v[12:15], v[27:28], off offset:560
	s_waitcnt vmcnt(1)
	v_fmac_f32_e32 v36, 0, v43
	v_fmac_f32_e32 v39, v0, v43
	;; [unrolled: 1-line block ×3, first 2 shown]
	global_load_dword v0, v[29:30], off offset:48
	v_fmac_f32_e32 v40, v8, v43
	v_fmac_f32_e32 v33, 0, v43
	;; [unrolled: 1-line block ×4, first 2 shown]
	s_waitcnt vmcnt(1)
	v_fmac_f32_e32 v34, v12, v43
	v_fmac_f32_e32 v37, 0, v43
	;; [unrolled: 1-line block ×25, first 2 shown]
	global_load_dwordx4 v[43:46], v[47:48], off offset:16
	s_waitcnt vmcnt(1)
	v_subrev_u32_e32 v0, s16, v0
	v_lshlrev_b32_e32 v0, 2, v0
	v_ashrrev_i32_e32 v1, 31, v0
	v_lshlrev_b64 v[0:1], 3, v[0:1]
	v_add_co_u32_e32 v29, vcc, s6, v0
	v_addc_co_u32_e32 v30, vcc, v42, v1, vcc
	s_waitcnt vmcnt(0)
	v_fmac_f32_e32 v40, v10, v43
	v_fmac_f32_e32 v33, 0, v43
	;; [unrolled: 1-line block ×25, first 2 shown]
	global_load_dwordx4 v[8:11], v[27:28], off offset:816
	v_fmac_f32_e32 v35, v7, v46
	global_load_dwordx4 v[4:7], v[27:28], off offset:800
	v_fmac_f32_e32 v36, v3, v46
	;; [unrolled: 2-line block ×4, first 2 shown]
	v_fmac_f32_e32 v38, 0x80000000, v46
	v_fmac_f32_e32 v39, 0x80000000, v46
	;; [unrolled: 1-line block ×3, first 2 shown]
	global_load_dwordx4 v[43:46], v[29:30], off
	v_add_co_u32_e32 v27, vcc, 0x400, v27
	v_addc_co_u32_e32 v28, vcc, 0, v28, vcc
	v_cmp_ge_i32_e32 vcc, v25, v32
	s_or_b64 s[10:11], vcc, s[10:11]
	s_waitcnt vmcnt(0)
	v_fmac_f32_e32 v40, v12, v43
	v_fmac_f32_e32 v33, 0, v43
	;; [unrolled: 1-line block ×32, first 2 shown]
	global_load_dwordx4 v[43:46], v[29:30], off offset:16
	s_waitcnt vmcnt(0)
	v_fmac_f32_e32 v40, v14, v43
	v_fmac_f32_e32 v33, 0, v43
	;; [unrolled: 1-line block ×32, first 2 shown]
	s_andn2_b64 exec, exec, s[10:11]
	s_cbranch_execnz .LBB120_19
; %bb.20:
	s_or_b64 exec, exec, s[10:11]
.LBB120_21:
	s_or_b64 exec, exec, s[2:3]
.LBB120_22:
	s_or_b64 exec, exec, s[8:9]
	s_cbranch_execz .LBB120_24
	s_branch .LBB120_35
.LBB120_23:
                                        ; implicit-def: $vgpr33
                                        ; implicit-def: $vgpr40
                                        ; implicit-def: $vgpr35
                                        ; implicit-def: $vgpr38
                                        ; implicit-def: $vgpr36
                                        ; implicit-def: $vgpr39
                                        ; implicit-def: $vgpr37
                                        ; implicit-def: $vgpr34
.LBB120_24:
	v_mov_b32_e32 v33, 0
	v_mov_b32_e32 v40, 0
	;; [unrolled: 1-line block ×8, first 2 shown]
	s_and_saveexec_b64 s[2:3], s[0:1]
	s_cbranch_execz .LBB120_34
; %bb.25:
	v_add_u32_e32 v0, v41, v31
	v_subrev_u32_e32 v0, s16, v0
	v_add_u32_e32 v0, 4, v0
	v_max_i32_e32 v0, v0, v32
	v_not_b32_e32 v1, v41
	v_add3_u32 v0, s16, v0, v1
	v_sub_u32_e32 v0, v0, v31
	v_and_b32_e32 v1, 12, v0
	v_cmp_ne_u32_e32 vcc, 12, v1
	v_mov_b32_e32 v34, 0
	v_mov_b32_e32 v37, 0
	;; [unrolled: 1-line block ×8, first 2 shown]
	s_and_saveexec_b64 s[8:9], vcc
	s_cbranch_execz .LBB120_29
; %bb.26:
	v_lshrrev_b32_e32 v1, 2, v0
	v_add_u32_e32 v1, 1, v1
	v_and_b32_e32 v1, 3, v1
	v_sub_u32_e32 v1, 0, v1
	v_mov_b32_e32 v33, 0
	s_mov_b64 s[10:11], 0
	v_mov_b32_e32 v2, s13
	v_mov_b32_e32 v3, s7
	;; [unrolled: 1-line block ×9, first 2 shown]
.LBB120_27:                             ; =>This Inner Loop Header: Depth=1
	v_ashrrev_i32_e32 v22, 31, v21
	v_lshlrev_b64 v[4:5], 2, v[21:22]
	v_add_co_u32_e64 v1, s[0:1], 1, v1
	v_add_co_u32_e32 v25, vcc, s12, v4
	v_addc_co_u32_e32 v26, vcc, v2, v5, vcc
	global_load_dword v22, v[25:26], off
	global_load_dwordx4 v[4:7], v[23:24], off offset:32
	global_load_dwordx4 v[8:11], v[23:24], off offset:16
	global_load_dwordx4 v[12:15], v[23:24], off
	v_add_u32_e32 v21, 4, v21
	s_or_b64 s[10:11], s[0:1], s[10:11]
	s_waitcnt vmcnt(3)
	v_subrev_u32_e32 v22, s16, v22
	v_lshlrev_b32_e32 v25, 2, v22
	v_ashrrev_i32_e32 v26, 31, v25
	v_lshlrev_b64 v[25:26], 3, v[25:26]
	v_add_co_u32_e32 v29, vcc, s6, v25
	v_addc_co_u32_e32 v30, vcc, v3, v26, vcc
	global_load_dwordx4 v[25:28], v[29:30], off
	global_load_dwordx4 v[41:44], v[29:30], off offset:16
	global_load_dwordx4 v[45:48], v[23:24], off offset:48
	v_add_co_u32_e32 v23, vcc, 0x100, v23
	v_addc_co_u32_e32 v24, vcc, 0, v24, vcc
	s_waitcnt vmcnt(2)
	v_fmac_f32_e32 v40, v12, v25
	v_fmac_f32_e32 v33, 0, v25
	;; [unrolled: 1-line block ×32, first 2 shown]
	s_waitcnt vmcnt(1)
	v_fmac_f32_e32 v40, v4, v41
	v_fmac_f32_e32 v33, 0, v41
	;; [unrolled: 1-line block ×16, first 2 shown]
	s_waitcnt vmcnt(0)
	v_fmac_f32_e32 v40, v45, v43
	v_fmac_f32_e32 v33, 0, v43
	;; [unrolled: 1-line block ×16, first 2 shown]
	s_andn2_b64 exec, exec, s[10:11]
	s_cbranch_execnz .LBB120_27
; %bb.28:
	s_or_b64 exec, exec, s[10:11]
.LBB120_29:
	s_or_b64 exec, exec, s[8:9]
	v_cmp_lt_u32_e32 vcc, 11, v0
	s_and_saveexec_b64 s[0:1], vcc
	s_cbranch_execz .LBB120_33
; %bb.30:
	s_mov_b64 s[8:9], 0
	v_mov_b32_e32 v10, s13
	v_mov_b32_e32 v11, s7
.LBB120_31:                             ; =>This Inner Loop Header: Depth=1
	v_ashrrev_i32_e32 v22, 31, v21
	v_lshlrev_b64 v[4:5], 2, v[21:22]
	global_load_dwordx4 v[0:3], v[23:24], off offset:48
	global_load_dwordx4 v[12:15], v[23:24], off offset:16
	global_load_dwordx4 v[25:28], v[23:24], off
	v_add_co_u32_e32 v8, vcc, s12, v4
	v_addc_co_u32_e32 v9, vcc, v10, v5, vcc
	global_load_dword v4, v[8:9], off
	v_add_u32_e32 v21, 16, v21
	s_waitcnt vmcnt(0)
	v_subrev_u32_e32 v4, s16, v4
	v_lshlrev_b32_e32 v4, 2, v4
	v_ashrrev_i32_e32 v5, 31, v4
	v_lshlrev_b64 v[4:5], 3, v[4:5]
	v_add_co_u32_e32 v4, vcc, s6, v4
	v_addc_co_u32_e32 v5, vcc, v11, v5, vcc
	global_load_dwordx4 v[41:44], v[4:5], off
	s_waitcnt vmcnt(0)
	v_fmac_f32_e32 v40, v25, v41
	v_fmac_f32_e32 v33, 0, v41
	;; [unrolled: 1-line block ×24, first 2 shown]
	global_load_dwordx4 v[25:28], v[23:24], off offset:32
	v_fmac_f32_e32 v33, v12, v44
	v_fmac_f32_e32 v35, v13, v44
	;; [unrolled: 1-line block ×4, first 2 shown]
	global_load_dwordx4 v[12:15], v[23:24], off offset:304
	v_fmac_f32_e32 v40, 0x80000000, v44
	v_fmac_f32_e32 v38, 0x80000000, v44
	v_fmac_f32_e32 v39, 0x80000000, v44
	v_fmac_f32_e32 v34, 0x80000000, v44
	global_load_dwordx4 v[41:44], v[23:24], off offset:272
	global_load_dwordx4 v[45:48], v[4:5], off offset:16
	s_waitcnt vmcnt(0)
	v_fmac_f32_e32 v33, 0, v45
	v_fmac_f32_e32 v40, v25, v45
	;; [unrolled: 1-line block ×7, first 2 shown]
	global_load_dword v0, v[8:9], off offset:16
	v_fmac_f32_e32 v35, 0, v45
	v_fmac_f32_e32 v38, v26, v45
	;; [unrolled: 1-line block ×17, first 2 shown]
	global_load_dwordx4 v[4:7], v[23:24], off offset:256
	global_load_dwordx4 v[25:28], v[23:24], off offset:560
	v_fmac_f32_e32 v39, v2, v47
	v_fmac_f32_e32 v34, v3, v47
	;; [unrolled: 1-line block ×8, first 2 shown]
	s_waitcnt vmcnt(2)
	v_subrev_u32_e32 v0, s16, v0
	v_lshlrev_b32_e32 v0, 2, v0
	v_ashrrev_i32_e32 v1, 31, v0
	v_lshlrev_b64 v[0:1], 3, v[0:1]
	v_add_co_u32_e32 v29, vcc, s6, v0
	v_addc_co_u32_e32 v30, vcc, v11, v1, vcc
	global_load_dwordx4 v[0:3], v[29:30], off
	s_waitcnt vmcnt(0)
	v_fmac_f32_e32 v40, v4, v0
	v_fmac_f32_e32 v33, 0, v0
	;; [unrolled: 1-line block ×24, first 2 shown]
	global_load_dwordx4 v[4:7], v[23:24], off offset:288
	v_fmac_f32_e32 v33, v41, v3
	v_fmac_f32_e32 v35, v42, v3
	;; [unrolled: 1-line block ×8, first 2 shown]
	global_load_dwordx4 v[0:3], v[23:24], off offset:528
	global_load_dwordx4 v[41:44], v[29:30], off offset:16
	s_waitcnt vmcnt(0)
	v_fmac_f32_e32 v33, 0, v41
	v_fmac_f32_e32 v40, v4, v41
	;; [unrolled: 1-line block ×7, first 2 shown]
	global_load_dword v12, v[8:9], off offset:32
	v_fmac_f32_e32 v35, 0, v41
	v_fmac_f32_e32 v38, v5, v41
	;; [unrolled: 1-line block ×21, first 2 shown]
	global_load_dwordx4 v[4:7], v[23:24], off offset:512
	v_fmac_f32_e32 v40, 0x80000000, v44
	v_fmac_f32_e32 v38, 0x80000000, v44
	;; [unrolled: 1-line block ×4, first 2 shown]
	global_load_dwordx4 v[41:44], v[23:24], off offset:544
	s_waitcnt vmcnt(2)
	v_subrev_u32_e32 v12, s16, v12
	v_lshlrev_b32_e32 v12, 2, v12
	v_ashrrev_i32_e32 v13, 31, v12
	v_lshlrev_b64 v[12:13], 3, v[12:13]
	v_add_co_u32_e32 v29, vcc, s6, v12
	v_addc_co_u32_e32 v30, vcc, v11, v13, vcc
	global_load_dwordx4 v[12:15], v[29:30], off
	s_waitcnt vmcnt(0)
	v_fmac_f32_e32 v33, 0, v12
	v_fmac_f32_e32 v35, 0, v12
	;; [unrolled: 1-line block ×28, first 2 shown]
	global_load_dwordx4 v[0:3], v[23:24], off offset:800
	global_load_dwordx4 v[4:7], v[23:24], off offset:784
	global_load_dword v12, v[8:9], off offset:48
	v_fmac_f32_e32 v40, 0x80000000, v15
	v_fmac_f32_e32 v38, 0x80000000, v15
	;; [unrolled: 1-line block ×4, first 2 shown]
	s_waitcnt vmcnt(0)
	v_subrev_u32_e32 v8, s16, v12
	global_load_dwordx4 v[12:15], v[29:30], off offset:16
	v_lshlrev_b32_e32 v8, 2, v8
	v_ashrrev_i32_e32 v9, 31, v8
	v_lshlrev_b64 v[8:9], 3, v[8:9]
	v_add_co_u32_e32 v8, vcc, s6, v8
	v_addc_co_u32_e32 v9, vcc, v11, v9, vcc
	s_waitcnt vmcnt(0)
	v_fmac_f32_e32 v33, 0, v12
	v_fmac_f32_e32 v35, 0, v12
	;; [unrolled: 1-line block ×28, first 2 shown]
	global_load_dwordx4 v[25:28], v[8:9], off
	global_load_dwordx4 v[41:44], v[23:24], off offset:768
	v_fmac_f32_e32 v40, 0x80000000, v15
	v_fmac_f32_e32 v38, 0x80000000, v15
	;; [unrolled: 1-line block ×4, first 2 shown]
	global_load_dwordx4 v[12:15], v[8:9], off offset:16
	s_waitcnt vmcnt(2)
	v_fmac_f32_e32 v33, 0, v25
	v_fmac_f32_e32 v35, 0, v25
	;; [unrolled: 1-line block ×4, first 2 shown]
	s_waitcnt vmcnt(1)
	v_fmac_f32_e32 v40, v41, v25
	v_fmac_f32_e32 v38, v42, v25
	;; [unrolled: 1-line block ×8, first 2 shown]
	global_load_dwordx4 v[41:44], v[23:24], off offset:816
	v_fmac_f32_e32 v40, 0x80000000, v26
	v_fmac_f32_e32 v38, 0x80000000, v26
	;; [unrolled: 1-line block ×20, first 2 shown]
	v_add_co_u32_e32 v23, vcc, 0x400, v23
	s_waitcnt vmcnt(1)
	v_fmac_f32_e32 v40, v0, v12
	v_fmac_f32_e32 v33, 0, v12
	;; [unrolled: 1-line block ×8, first 2 shown]
	v_addc_co_u32_e32 v24, vcc, 0, v24, vcc
	v_fmac_f32_e32 v40, 0x80000000, v13
	v_fmac_f32_e32 v33, v0, v13
	;; [unrolled: 1-line block ×8, first 2 shown]
	v_cmp_ge_i32_e32 vcc, v21, v32
	v_fmac_f32_e32 v33, 0, v14
	v_fmac_f32_e32 v35, 0, v14
	;; [unrolled: 1-line block ×4, first 2 shown]
	s_or_b64 s[8:9], vcc, s[8:9]
	s_waitcnt vmcnt(0)
	v_fmac_f32_e32 v40, v41, v14
	v_fmac_f32_e32 v38, v42, v14
	;; [unrolled: 1-line block ×12, first 2 shown]
	s_andn2_b64 exec, exec, s[8:9]
	s_cbranch_execnz .LBB120_31
; %bb.32:
	s_or_b64 exec, exec, s[8:9]
.LBB120_33:
	s_or_b64 exec, exec, s[0:1]
.LBB120_34:
	s_or_b64 exec, exec, s[2:3]
.LBB120_35:
	v_mov_b32_dpp v0, v40 row_shr:1 row_mask:0xf bank_mask:0xf
	v_mov_b32_dpp v2, v33 row_shr:1 row_mask:0xf bank_mask:0xf
	;; [unrolled: 1-line block ×8, first 2 shown]
	v_add_f32_e32 v0, v40, v0
	v_add_f32_e32 v2, v33, v2
	;; [unrolled: 1-line block ×8, first 2 shown]
	v_mov_b32_dpp v1, v0 row_shr:2 row_mask:0xf bank_mask:0xf
	v_mov_b32_dpp v3, v2 row_shr:2 row_mask:0xf bank_mask:0xf
	;; [unrolled: 1-line block ×8, first 2 shown]
	v_cmp_eq_u32_e32 vcc, 3, v31
	s_and_b64 exec, exec, vcc
	s_cbranch_execz .LBB120_8
; %bb.36:
	s_load_dwordx2 s[2:3], s[4:5], 0x50
	v_add_f32_e32 v21, v0, v1
	v_add_f32_e32 v0, v2, v3
	;; [unrolled: 1-line block ×8, first 2 shown]
	v_cmp_eq_f32_e32 vcc, 0, v16
	v_cmp_eq_f32_e64 s[0:1], 0, v17
	v_mul_f32_e64 v4, v0, -v19
	v_mul_f32_e32 v5, v18, v0
	v_mul_f32_e64 v6, v1, -v19
	v_mul_f32_e32 v7, v18, v1
	;; [unrolled: 2-line block ×4, first 2 shown]
	s_and_b64 s[0:1], vcc, s[0:1]
	v_fmac_f32_e32 v4, v18, v21
	v_fmac_f32_e32 v5, v19, v21
	v_lshlrev_b32_e32 v8, 2, v20
	v_fmac_f32_e32 v6, v18, v22
	v_fmac_f32_e32 v7, v19, v22
	;; [unrolled: 1-line block ×6, first 2 shown]
	s_and_saveexec_b64 s[4:5], s[0:1]
	s_xor_b64 s[0:1], exec, s[4:5]
	s_cbranch_execz .LBB120_38
; %bb.37:
	v_ashrrev_i32_e32 v9, 31, v8
	v_lshlrev_b64 v[8:9], 3, v[8:9]
	s_waitcnt lgkmcnt(0)
	v_mov_b32_e32 v10, s3
	v_add_co_u32_e32 v8, vcc, s2, v8
	v_addc_co_u32_e32 v9, vcc, v10, v9, vcc
	global_store_dwordx4 v[8:9], v[4:7], off
	global_store_dwordx4 v[8:9], v[0:3], off offset:16
                                        ; implicit-def: $vgpr16_vgpr17
                                        ; implicit-def: $vgpr4
                                        ; implicit-def: $vgpr8
                                        ; implicit-def: $vgpr0
.LBB120_38:
	s_andn2_saveexec_b64 s[0:1], s[0:1]
	s_cbranch_execz .LBB120_8
; %bb.39:
	v_ashrrev_i32_e32 v9, 31, v8
	v_lshlrev_b64 v[8:9], 3, v[8:9]
	s_waitcnt lgkmcnt(0)
	v_mov_b32_e32 v10, s3
	v_add_co_u32_e32 v18, vcc, s2, v8
	v_addc_co_u32_e32 v19, vcc, v10, v9, vcc
	global_load_dwordx4 v[8:11], v[18:19], off
	global_load_dwordx4 v[12:15], v[18:19], off offset:16
	s_waitcnt vmcnt(1)
	v_fmac_f32_e32 v4, v16, v8
	v_fmac_f32_e32 v5, v17, v8
	;; [unrolled: 1-line block ×4, first 2 shown]
	s_waitcnt vmcnt(0)
	v_fmac_f32_e32 v0, v16, v12
	v_fmac_f32_e32 v1, v17, v12
	;; [unrolled: 1-line block ×4, first 2 shown]
	v_fma_f32 v4, -v17, v9, v4
	v_fmac_f32_e32 v5, v16, v9
	v_fma_f32 v6, -v17, v11, v6
	v_fmac_f32_e32 v7, v16, v11
	;; [unrolled: 2-line block ×4, first 2 shown]
	global_store_dwordx4 v[18:19], v[4:7], off
	global_store_dwordx4 v[18:19], v[0:3], off offset:16
	s_endpgm
	.section	.rodata,"a",@progbits
	.p2align	6, 0x0
	.amdhsa_kernel _ZN9rocsparseL18bsrxmvn_4x4_kernelILj128ELj4E21rocsparse_complex_numIfEiifS2_S2_EEvT3_20rocsparse_direction_NS_24const_host_device_scalarIT1_EES3_PKS3_PKT2_SC_S9_PKT4_PKT5_S7_PT6_21rocsparse_index_base_b
		.amdhsa_group_segment_fixed_size 0
		.amdhsa_private_segment_fixed_size 0
		.amdhsa_kernarg_size 96
		.amdhsa_user_sgpr_count 6
		.amdhsa_user_sgpr_private_segment_buffer 1
		.amdhsa_user_sgpr_dispatch_ptr 0
		.amdhsa_user_sgpr_queue_ptr 0
		.amdhsa_user_sgpr_kernarg_segment_ptr 1
		.amdhsa_user_sgpr_dispatch_id 0
		.amdhsa_user_sgpr_flat_scratch_init 0
		.amdhsa_user_sgpr_private_segment_size 0
		.amdhsa_uses_dynamic_stack 0
		.amdhsa_system_sgpr_private_segment_wavefront_offset 0
		.amdhsa_system_sgpr_workgroup_id_x 1
		.amdhsa_system_sgpr_workgroup_id_y 0
		.amdhsa_system_sgpr_workgroup_id_z 0
		.amdhsa_system_sgpr_workgroup_info 0
		.amdhsa_system_vgpr_workitem_id 0
		.amdhsa_next_free_vgpr 54
		.amdhsa_next_free_sgpr 18
		.amdhsa_reserve_vcc 1
		.amdhsa_reserve_flat_scratch 0
		.amdhsa_float_round_mode_32 0
		.amdhsa_float_round_mode_16_64 0
		.amdhsa_float_denorm_mode_32 3
		.amdhsa_float_denorm_mode_16_64 3
		.amdhsa_dx10_clamp 1
		.amdhsa_ieee_mode 1
		.amdhsa_fp16_overflow 0
		.amdhsa_exception_fp_ieee_invalid_op 0
		.amdhsa_exception_fp_denorm_src 0
		.amdhsa_exception_fp_ieee_div_zero 0
		.amdhsa_exception_fp_ieee_overflow 0
		.amdhsa_exception_fp_ieee_underflow 0
		.amdhsa_exception_fp_ieee_inexact 0
		.amdhsa_exception_int_div_zero 0
	.end_amdhsa_kernel
	.section	.text._ZN9rocsparseL18bsrxmvn_4x4_kernelILj128ELj4E21rocsparse_complex_numIfEiifS2_S2_EEvT3_20rocsparse_direction_NS_24const_host_device_scalarIT1_EES3_PKS3_PKT2_SC_S9_PKT4_PKT5_S7_PT6_21rocsparse_index_base_b,"axG",@progbits,_ZN9rocsparseL18bsrxmvn_4x4_kernelILj128ELj4E21rocsparse_complex_numIfEiifS2_S2_EEvT3_20rocsparse_direction_NS_24const_host_device_scalarIT1_EES3_PKS3_PKT2_SC_S9_PKT4_PKT5_S7_PT6_21rocsparse_index_base_b,comdat
.Lfunc_end120:
	.size	_ZN9rocsparseL18bsrxmvn_4x4_kernelILj128ELj4E21rocsparse_complex_numIfEiifS2_S2_EEvT3_20rocsparse_direction_NS_24const_host_device_scalarIT1_EES3_PKS3_PKT2_SC_S9_PKT4_PKT5_S7_PT6_21rocsparse_index_base_b, .Lfunc_end120-_ZN9rocsparseL18bsrxmvn_4x4_kernelILj128ELj4E21rocsparse_complex_numIfEiifS2_S2_EEvT3_20rocsparse_direction_NS_24const_host_device_scalarIT1_EES3_PKS3_PKT2_SC_S9_PKT4_PKT5_S7_PT6_21rocsparse_index_base_b
                                        ; -- End function
	.set _ZN9rocsparseL18bsrxmvn_4x4_kernelILj128ELj4E21rocsparse_complex_numIfEiifS2_S2_EEvT3_20rocsparse_direction_NS_24const_host_device_scalarIT1_EES3_PKS3_PKT2_SC_S9_PKT4_PKT5_S7_PT6_21rocsparse_index_base_b.num_vgpr, 54
	.set _ZN9rocsparseL18bsrxmvn_4x4_kernelILj128ELj4E21rocsparse_complex_numIfEiifS2_S2_EEvT3_20rocsparse_direction_NS_24const_host_device_scalarIT1_EES3_PKS3_PKT2_SC_S9_PKT4_PKT5_S7_PT6_21rocsparse_index_base_b.num_agpr, 0
	.set _ZN9rocsparseL18bsrxmvn_4x4_kernelILj128ELj4E21rocsparse_complex_numIfEiifS2_S2_EEvT3_20rocsparse_direction_NS_24const_host_device_scalarIT1_EES3_PKS3_PKT2_SC_S9_PKT4_PKT5_S7_PT6_21rocsparse_index_base_b.numbered_sgpr, 18
	.set _ZN9rocsparseL18bsrxmvn_4x4_kernelILj128ELj4E21rocsparse_complex_numIfEiifS2_S2_EEvT3_20rocsparse_direction_NS_24const_host_device_scalarIT1_EES3_PKS3_PKT2_SC_S9_PKT4_PKT5_S7_PT6_21rocsparse_index_base_b.num_named_barrier, 0
	.set _ZN9rocsparseL18bsrxmvn_4x4_kernelILj128ELj4E21rocsparse_complex_numIfEiifS2_S2_EEvT3_20rocsparse_direction_NS_24const_host_device_scalarIT1_EES3_PKS3_PKT2_SC_S9_PKT4_PKT5_S7_PT6_21rocsparse_index_base_b.private_seg_size, 0
	.set _ZN9rocsparseL18bsrxmvn_4x4_kernelILj128ELj4E21rocsparse_complex_numIfEiifS2_S2_EEvT3_20rocsparse_direction_NS_24const_host_device_scalarIT1_EES3_PKS3_PKT2_SC_S9_PKT4_PKT5_S7_PT6_21rocsparse_index_base_b.uses_vcc, 1
	.set _ZN9rocsparseL18bsrxmvn_4x4_kernelILj128ELj4E21rocsparse_complex_numIfEiifS2_S2_EEvT3_20rocsparse_direction_NS_24const_host_device_scalarIT1_EES3_PKS3_PKT2_SC_S9_PKT4_PKT5_S7_PT6_21rocsparse_index_base_b.uses_flat_scratch, 0
	.set _ZN9rocsparseL18bsrxmvn_4x4_kernelILj128ELj4E21rocsparse_complex_numIfEiifS2_S2_EEvT3_20rocsparse_direction_NS_24const_host_device_scalarIT1_EES3_PKS3_PKT2_SC_S9_PKT4_PKT5_S7_PT6_21rocsparse_index_base_b.has_dyn_sized_stack, 0
	.set _ZN9rocsparseL18bsrxmvn_4x4_kernelILj128ELj4E21rocsparse_complex_numIfEiifS2_S2_EEvT3_20rocsparse_direction_NS_24const_host_device_scalarIT1_EES3_PKS3_PKT2_SC_S9_PKT4_PKT5_S7_PT6_21rocsparse_index_base_b.has_recursion, 0
	.set _ZN9rocsparseL18bsrxmvn_4x4_kernelILj128ELj4E21rocsparse_complex_numIfEiifS2_S2_EEvT3_20rocsparse_direction_NS_24const_host_device_scalarIT1_EES3_PKS3_PKT2_SC_S9_PKT4_PKT5_S7_PT6_21rocsparse_index_base_b.has_indirect_call, 0
	.section	.AMDGPU.csdata,"",@progbits
; Kernel info:
; codeLenInByte = 5888
; TotalNumSgprs: 22
; NumVgprs: 54
; ScratchSize: 0
; MemoryBound: 0
; FloatMode: 240
; IeeeMode: 1
; LDSByteSize: 0 bytes/workgroup (compile time only)
; SGPRBlocks: 2
; VGPRBlocks: 13
; NumSGPRsForWavesPerEU: 22
; NumVGPRsForWavesPerEU: 54
; Occupancy: 4
; WaveLimiterHint : 1
; COMPUTE_PGM_RSRC2:SCRATCH_EN: 0
; COMPUTE_PGM_RSRC2:USER_SGPR: 6
; COMPUTE_PGM_RSRC2:TRAP_HANDLER: 0
; COMPUTE_PGM_RSRC2:TGID_X_EN: 1
; COMPUTE_PGM_RSRC2:TGID_Y_EN: 0
; COMPUTE_PGM_RSRC2:TGID_Z_EN: 0
; COMPUTE_PGM_RSRC2:TIDIG_COMP_CNT: 0
	.section	.text._ZN9rocsparseL18bsrxmvn_4x4_kernelILj128ELj8E21rocsparse_complex_numIfEiifS2_S2_EEvT3_20rocsparse_direction_NS_24const_host_device_scalarIT1_EES3_PKS3_PKT2_SC_S9_PKT4_PKT5_S7_PT6_21rocsparse_index_base_b,"axG",@progbits,_ZN9rocsparseL18bsrxmvn_4x4_kernelILj128ELj8E21rocsparse_complex_numIfEiifS2_S2_EEvT3_20rocsparse_direction_NS_24const_host_device_scalarIT1_EES3_PKS3_PKT2_SC_S9_PKT4_PKT5_S7_PT6_21rocsparse_index_base_b,comdat
	.globl	_ZN9rocsparseL18bsrxmvn_4x4_kernelILj128ELj8E21rocsparse_complex_numIfEiifS2_S2_EEvT3_20rocsparse_direction_NS_24const_host_device_scalarIT1_EES3_PKS3_PKT2_SC_S9_PKT4_PKT5_S7_PT6_21rocsparse_index_base_b ; -- Begin function _ZN9rocsparseL18bsrxmvn_4x4_kernelILj128ELj8E21rocsparse_complex_numIfEiifS2_S2_EEvT3_20rocsparse_direction_NS_24const_host_device_scalarIT1_EES3_PKS3_PKT2_SC_S9_PKT4_PKT5_S7_PT6_21rocsparse_index_base_b
	.p2align	8
	.type	_ZN9rocsparseL18bsrxmvn_4x4_kernelILj128ELj8E21rocsparse_complex_numIfEiifS2_S2_EEvT3_20rocsparse_direction_NS_24const_host_device_scalarIT1_EES3_PKS3_PKT2_SC_S9_PKT4_PKT5_S7_PT6_21rocsparse_index_base_b,@function
_ZN9rocsparseL18bsrxmvn_4x4_kernelILj128ELj8E21rocsparse_complex_numIfEiifS2_S2_EEvT3_20rocsparse_direction_NS_24const_host_device_scalarIT1_EES3_PKS3_PKT2_SC_S9_PKT4_PKT5_S7_PT6_21rocsparse_index_base_b: ; @_ZN9rocsparseL18bsrxmvn_4x4_kernelILj128ELj8E21rocsparse_complex_numIfEiifS2_S2_EEvT3_20rocsparse_direction_NS_24const_host_device_scalarIT1_EES3_PKS3_PKT2_SC_S9_PKT4_PKT5_S7_PT6_21rocsparse_index_base_b
; %bb.0:
	s_load_dwordx2 s[0:1], s[4:5], 0x8
	s_load_dwordx2 s[16:17], s[4:5], 0x58
	s_add_u32 s7, s4, 8
	s_addc_u32 s8, s5, 0
	s_add_u32 s9, s4, 0x48
	s_load_dwordx2 s[2:3], s[4:5], 0x48
	s_addc_u32 s10, s5, 0
	s_waitcnt lgkmcnt(0)
	s_bitcmp1_b32 s17, 0
	s_cselect_b32 s1, s8, s1
	s_cselect_b32 s0, s7, s0
	v_mov_b32_e32 v1, s0
	v_mov_b32_e32 v2, s1
	flat_load_dwordx2 v[18:19], v[1:2]
	s_cselect_b32 s0, s10, s3
	s_cselect_b32 s1, s9, s2
	v_mov_b32_e32 v1, s1
	v_mov_b32_e32 v2, s0
	flat_load_dwordx2 v[16:17], v[1:2]
	s_waitcnt vmcnt(0) lgkmcnt(0)
	v_cmp_eq_f32_e32 vcc, 0, v18
	v_cmp_eq_f32_e64 s[0:1], 0, v19
	s_and_b64 s[8:9], vcc, s[0:1]
	s_mov_b64 s[0:1], -1
	s_and_saveexec_b64 s[2:3], s[8:9]
; %bb.1:
	v_cmp_neq_f32_e32 vcc, 1.0, v16
	v_cmp_neq_f32_e64 s[0:1], 0, v17
	s_or_b64 s[0:1], vcc, s[0:1]
	s_orn2_b64 s[0:1], s[0:1], exec
; %bb.2:
	s_or_b64 exec, exec, s[2:3]
	s_and_saveexec_b64 s[2:3], s[0:1]
	s_cbranch_execz .LBB121_8
; %bb.3:
	s_load_dwordx2 s[8:9], s[4:5], 0x18
	s_load_dwordx2 s[0:1], s[4:5], 0x0
	v_lshrrev_b32_e32 v1, 3, v0
	v_lshl_or_b32 v20, s6, 4, v1
	s_mov_b64 s[2:3], 0
	s_waitcnt lgkmcnt(0)
	s_cmp_lg_u64 s[8:9], 0
	s_cbranch_scc0 .LBB121_9
; %bb.4:
	s_load_dword s6, s[4:5], 0x10
                                        ; implicit-def: $vgpr1
	s_waitcnt lgkmcnt(0)
	v_cmp_gt_i32_e32 vcc, s6, v20
	s_and_saveexec_b64 s[6:7], vcc
	s_xor_b64 s[6:7], exec, s[6:7]
	s_cbranch_execz .LBB121_6
; %bb.5:
	v_ashrrev_i32_e32 v21, 31, v20
	v_lshlrev_b64 v[1:2], 2, v[20:21]
	v_mov_b32_e32 v3, s9
	v_add_co_u32_e32 v1, vcc, s8, v1
	v_addc_co_u32_e32 v2, vcc, v3, v2, vcc
	global_load_dword v1, v[1:2], off
	s_mov_b64 s[2:3], exec
	s_waitcnt vmcnt(0)
	v_subrev_u32_e32 v1, s16, v1
.LBB121_6:
	s_or_b64 exec, exec, s[6:7]
	s_branch .LBB121_10
.LBB121_7:
	v_cmp_gt_i32_e32 vcc, s0, v20
	s_andn2_b64 s[2:3], s[2:3], exec
	s_and_b64 s[6:7], vcc, exec
	s_or_b64 s[2:3], s[2:3], s[6:7]
	s_and_b64 exec, exec, s[2:3]
	s_cbranch_execnz .LBB121_11
.LBB121_8:
	s_endpgm
.LBB121_9:
                                        ; implicit-def: $vgpr1
	s_cbranch_execnz .LBB121_7
.LBB121_10:
	v_mov_b32_e32 v20, v1
	s_and_b64 exec, exec, s[2:3]
	s_cbranch_execz .LBB121_8
.LBB121_11:
	s_load_dwordx8 s[8:15], s[4:5], 0x20
	v_ashrrev_i32_e32 v21, 31, v20
	v_lshlrev_b64 v[1:2], 2, v[20:21]
	v_and_b32_e32 v31, 7, v0
	s_load_dwordx2 s[6:7], s[4:5], 0x40
	s_waitcnt lgkmcnt(0)
	v_mov_b32_e32 v4, s9
	v_add_co_u32_e32 v3, vcc, s8, v1
	v_addc_co_u32_e32 v4, vcc, v4, v2, vcc
	global_load_dword v41, v[3:4], off
	v_add_co_u32_e32 v3, vcc, 4, v3
	v_addc_co_u32_e32 v4, vcc, 0, v4, vcc
	v_mov_b32_e32 v5, s11
	v_add_co_u32_e32 v1, vcc, s10, v1
	s_cmp_eq_u64 s[10:11], 0
	v_addc_co_u32_e32 v2, vcc, v5, v2, vcc
	s_cselect_b64 vcc, -1, 0
	v_cndmask_b32_e32 v2, v2, v4, vcc
	v_cndmask_b32_e32 v1, v1, v3, vcc
	global_load_dword v1, v[1:2], off
	v_mov_b32_e32 v2, s15
	s_cmp_eq_u32 s1, 1
	s_waitcnt vmcnt(1)
	v_subrev_u32_e32 v0, s16, v41
	v_add_u32_e32 v21, v0, v31
	v_ashrrev_i32_e32 v22, 31, v21
	s_waitcnt vmcnt(0)
	v_subrev_u32_e32 v32, s16, v1
	v_lshlrev_b64 v[0:1], 6, v[21:22]
	v_cmp_lt_i32_e64 s[0:1], v21, v32
	v_add_co_u32_e32 v23, vcc, s14, v0
	v_addc_co_u32_e32 v24, vcc, v2, v1, vcc
	s_cbranch_scc1 .LBB121_23
; %bb.12:
	v_mov_b32_e32 v34, 0
	v_mov_b32_e32 v40, 0
	;; [unrolled: 1-line block ×8, first 2 shown]
	s_and_saveexec_b64 s[8:9], s[0:1]
	s_cbranch_execz .LBB121_22
; %bb.13:
	v_add_u32_e32 v0, v41, v31
	v_subrev_u32_e32 v0, s16, v0
	v_add_u32_e32 v0, 8, v0
	v_max_i32_e32 v0, v0, v32
	v_not_b32_e32 v1, v41
	v_add3_u32 v0, s16, v0, v1
	v_sub_u32_e32 v0, v0, v31
	v_and_b32_e32 v1, 24, v0
	v_mov_b32_e32 v28, v24
	v_cmp_ne_u32_e32 vcc, 24, v1
	v_mov_b32_e32 v33, 0
	v_mov_b32_e32 v35, 0
	;; [unrolled: 1-line block ×10, first 2 shown]
	s_and_saveexec_b64 s[10:11], vcc
	s_cbranch_execz .LBB121_17
; %bb.14:
	v_lshrrev_b32_e32 v1, 3, v0
	v_add_u32_e32 v1, 1, v1
	v_and_b32_e32 v1, 3, v1
	v_mov_b32_e32 v28, v24
	v_sub_u32_e32 v1, 0, v1
	v_mov_b32_e32 v34, 0
	s_mov_b64 s[14:15], 0
	v_mov_b32_e32 v2, s13
	v_mov_b32_e32 v3, s7
	;; [unrolled: 1-line block ×11, first 2 shown]
.LBB121_15:                             ; =>This Inner Loop Header: Depth=1
	v_ashrrev_i32_e32 v26, 31, v25
	v_lshlrev_b64 v[4:5], 2, v[25:26]
	v_add_co_u32_e64 v1, s[2:3], 1, v1
	v_add_co_u32_e32 v29, vcc, s12, v4
	v_addc_co_u32_e32 v30, vcc, v2, v5, vcc
	global_load_dword v22, v[29:30], off
	global_load_dwordx4 v[4:7], v[27:28], off
	global_load_dwordx4 v[8:11], v[27:28], off offset:16
	global_load_dwordx4 v[12:15], v[27:28], off offset:32
	;; [unrolled: 1-line block ×3, first 2 shown]
	v_add_u32_e32 v25, 8, v25
	s_or_b64 s[14:15], s[2:3], s[14:15]
	s_waitcnt vmcnt(4)
	v_subrev_u32_e32 v22, s16, v22
	v_lshlrev_b32_e32 v29, 2, v22
	v_ashrrev_i32_e32 v30, 31, v29
	v_lshlrev_b64 v[29:30], 3, v[29:30]
	v_add_co_u32_e32 v29, vcc, s6, v29
	v_addc_co_u32_e32 v30, vcc, v3, v30, vcc
	global_load_dwordx4 v[46:49], v[29:30], off
	global_load_dwordx4 v[50:53], v[29:30], off offset:16
	v_add_co_u32_e32 v27, vcc, 0x200, v27
	v_addc_co_u32_e32 v28, vcc, 0, v28, vcc
	s_waitcnt vmcnt(1)
	v_fmac_f32_e32 v40, v4, v46
	v_fmac_f32_e32 v34, 0, v46
	;; [unrolled: 1-line block ×32, first 2 shown]
	s_waitcnt vmcnt(0)
	v_fmac_f32_e32 v40, v6, v50
	v_fmac_f32_e32 v34, 0, v50
	v_fmac_f32_e32 v39, v10, v50
	v_fmac_f32_e32 v37, 0, v50
	v_fmac_f32_e32 v38, v14, v50
	v_fmac_f32_e32 v36, 0, v50
	v_fmac_f32_e32 v33, v44, v50
	v_fmac_f32_e32 v35, 0, v50
	v_fmac_f32_e32 v40, 0x80000000, v51
	v_fmac_f32_e32 v34, v6, v51
	v_fmac_f32_e32 v39, 0x80000000, v51
	v_fmac_f32_e32 v37, v10, v51
	v_fmac_f32_e32 v38, 0x80000000, v51
	v_fmac_f32_e32 v36, v14, v51
	v_fmac_f32_e32 v33, 0x80000000, v51
	v_fmac_f32_e32 v35, v44, v51
	v_fmac_f32_e32 v40, v7, v52
	v_fmac_f32_e32 v34, 0, v52
	v_fmac_f32_e32 v39, v11, v52
	v_fmac_f32_e32 v37, 0, v52
	v_fmac_f32_e32 v38, v15, v52
	v_fmac_f32_e32 v36, 0, v52
	v_fmac_f32_e32 v33, v45, v52
	v_fmac_f32_e32 v35, 0, v52
	v_fmac_f32_e32 v34, v7, v53
	v_fmac_f32_e32 v37, v11, v53
	v_fmac_f32_e32 v36, v15, v53
	v_fmac_f32_e32 v40, 0x80000000, v53
	v_fmac_f32_e32 v39, 0x80000000, v53
	v_fmac_f32_e32 v38, 0x80000000, v53
	v_fmac_f32_e32 v33, 0x80000000, v53
	v_fmac_f32_e32 v35, v45, v53
	s_andn2_b64 exec, exec, s[14:15]
	s_cbranch_execnz .LBB121_15
; %bb.16:
	s_or_b64 exec, exec, s[14:15]
.LBB121_17:
	s_or_b64 exec, exec, s[10:11]
	v_cmp_lt_u32_e32 vcc, 23, v0
	s_and_saveexec_b64 s[2:3], vcc
	s_cbranch_execz .LBB121_21
; %bb.18:
	s_mov_b64 s[10:11], 0
	v_mov_b32_e32 v22, s13
	v_mov_b32_e32 v42, s7
.LBB121_19:                             ; =>This Inner Loop Header: Depth=1
	v_ashrrev_i32_e32 v26, 31, v25
	v_lshlrev_b64 v[12:13], 2, v[25:26]
	global_load_dwordx4 v[0:3], v[27:28], off offset:32
	global_load_dwordx4 v[4:7], v[27:28], off offset:16
	global_load_dwordx4 v[8:11], v[27:28], off
	v_add_co_u32_e32 v29, vcc, s12, v12
	v_addc_co_u32_e32 v30, vcc, v22, v13, vcc
	global_load_dword v12, v[29:30], off
	global_load_dwordx4 v[43:46], v[27:28], off offset:48
	v_add_u32_e32 v25, 32, v25
	s_waitcnt vmcnt(1)
	v_subrev_u32_e32 v12, s16, v12
	v_lshlrev_b32_e32 v12, 2, v12
	v_ashrrev_i32_e32 v13, 31, v12
	v_lshlrev_b64 v[12:13], 3, v[12:13]
	v_add_co_u32_e32 v47, vcc, s6, v12
	v_addc_co_u32_e32 v48, vcc, v42, v13, vcc
	global_load_dwordx4 v[12:15], v[47:48], off
	s_waitcnt vmcnt(0)
	v_fmac_f32_e32 v40, v8, v12
	v_fmac_f32_e32 v34, 0, v12
	v_fmac_f32_e32 v39, v4, v12
	v_fmac_f32_e32 v37, 0, v12
	v_fmac_f32_e32 v38, v0, v12
	v_fmac_f32_e32 v36, 0, v12
	v_fmac_f32_e32 v33, v43, v12
	v_fmac_f32_e32 v35, 0, v12
	v_fmac_f32_e32 v40, 0x80000000, v13
	v_fmac_f32_e32 v34, v8, v13
	v_fmac_f32_e32 v39, 0x80000000, v13
	v_fmac_f32_e32 v37, v4, v13
	v_fmac_f32_e32 v38, 0x80000000, v13
	v_fmac_f32_e32 v36, v0, v13
	v_fmac_f32_e32 v33, 0x80000000, v13
	v_fmac_f32_e32 v35, v43, v13
	v_fmac_f32_e32 v40, v9, v14
	v_fmac_f32_e32 v34, 0, v14
	v_fmac_f32_e32 v39, v5, v14
	v_fmac_f32_e32 v37, 0, v14
	v_fmac_f32_e32 v38, v1, v14
	v_fmac_f32_e32 v36, 0, v14
	v_fmac_f32_e32 v33, v44, v14
	v_fmac_f32_e32 v35, 0, v14
	v_fmac_f32_e32 v40, 0x80000000, v15
	v_fmac_f32_e32 v34, v9, v15
	v_fmac_f32_e32 v39, 0x80000000, v15
	v_fmac_f32_e32 v37, v5, v15
	v_fmac_f32_e32 v38, 0x80000000, v15
	v_fmac_f32_e32 v36, v1, v15
	v_fmac_f32_e32 v33, 0x80000000, v15
	v_fmac_f32_e32 v35, v44, v15
	global_load_dwordx4 v[12:15], v[47:48], off offset:16
	s_waitcnt vmcnt(0)
	v_fmac_f32_e32 v40, v10, v12
	v_fmac_f32_e32 v34, 0, v12
	;; [unrolled: 1-line block ×8, first 2 shown]
	global_load_dword v12, v[29:30], off offset:32
	v_fmac_f32_e32 v40, 0x80000000, v13
	v_fmac_f32_e32 v34, v10, v13
	;; [unrolled: 1-line block ×17, first 2 shown]
	global_load_dwordx4 v[8:11], v[27:28], off offset:544
	v_fmac_f32_e32 v37, v7, v15
	global_load_dwordx4 v[4:7], v[27:28], off offset:528
	v_fmac_f32_e32 v36, v3, v15
	global_load_dwordx4 v[0:3], v[27:28], off offset:512
	v_fmac_f32_e32 v35, v46, v15
	v_fmac_f32_e32 v40, 0x80000000, v15
	v_fmac_f32_e32 v39, 0x80000000, v15
	;; [unrolled: 1-line block ×4, first 2 shown]
	global_load_dwordx4 v[43:46], v[27:28], off offset:560
	s_waitcnt vmcnt(4)
	v_subrev_u32_e32 v12, s16, v12
	v_lshlrev_b32_e32 v12, 2, v12
	v_ashrrev_i32_e32 v13, 31, v12
	v_lshlrev_b64 v[12:13], 3, v[12:13]
	v_add_co_u32_e32 v47, vcc, s6, v12
	v_addc_co_u32_e32 v48, vcc, v42, v13, vcc
	global_load_dwordx4 v[12:15], v[47:48], off
	s_waitcnt vmcnt(0)
	v_fmac_f32_e32 v40, v0, v12
	v_fmac_f32_e32 v34, 0, v12
	;; [unrolled: 1-line block ×32, first 2 shown]
	global_load_dwordx4 v[12:15], v[47:48], off offset:16
	s_waitcnt vmcnt(0)
	v_fmac_f32_e32 v40, v2, v12
	v_fmac_f32_e32 v34, 0, v12
	;; [unrolled: 1-line block ×8, first 2 shown]
	global_load_dword v12, v[29:30], off offset:64
	v_fmac_f32_e32 v40, 0x80000000, v13
	v_fmac_f32_e32 v34, v2, v13
	;; [unrolled: 1-line block ×14, first 2 shown]
	global_load_dwordx4 v[0:3], v[27:28], off offset:1056
	v_fmac_f32_e32 v39, v7, v14
	v_fmac_f32_e32 v37, 0, v14
	;; [unrolled: 1-line block ×5, first 2 shown]
	global_load_dwordx4 v[4:7], v[27:28], off offset:1040
	v_fmac_f32_e32 v36, v11, v15
	global_load_dwordx4 v[8:11], v[27:28], off offset:1024
	v_fmac_f32_e32 v40, 0x80000000, v15
	v_fmac_f32_e32 v39, 0x80000000, v15
	;; [unrolled: 1-line block ×4, first 2 shown]
	s_waitcnt vmcnt(3)
	v_subrev_u32_e32 v12, s16, v12
	v_lshlrev_b32_e32 v12, 2, v12
	v_ashrrev_i32_e32 v13, 31, v12
	v_lshlrev_b64 v[12:13], 3, v[12:13]
	v_add_co_u32_e32 v47, vcc, s6, v12
	v_addc_co_u32_e32 v48, vcc, v42, v13, vcc
	global_load_dwordx4 v[43:46], v[47:48], off
	global_load_dwordx4 v[12:15], v[27:28], off offset:1072
	s_waitcnt vmcnt(1)
	v_fmac_f32_e32 v36, 0, v43
	v_fmac_f32_e32 v38, v0, v43
	;; [unrolled: 1-line block ×3, first 2 shown]
	global_load_dword v0, v[29:30], off offset:96
	v_fmac_f32_e32 v40, v8, v43
	v_fmac_f32_e32 v34, 0, v43
	;; [unrolled: 1-line block ×4, first 2 shown]
	s_waitcnt vmcnt(1)
	v_fmac_f32_e32 v33, v12, v43
	v_fmac_f32_e32 v35, 0, v43
	;; [unrolled: 1-line block ×25, first 2 shown]
	global_load_dwordx4 v[43:46], v[47:48], off offset:16
	s_waitcnt vmcnt(1)
	v_subrev_u32_e32 v0, s16, v0
	v_lshlrev_b32_e32 v0, 2, v0
	v_ashrrev_i32_e32 v1, 31, v0
	v_lshlrev_b64 v[0:1], 3, v[0:1]
	v_add_co_u32_e32 v29, vcc, s6, v0
	v_addc_co_u32_e32 v30, vcc, v42, v1, vcc
	s_waitcnt vmcnt(0)
	v_fmac_f32_e32 v40, v10, v43
	v_fmac_f32_e32 v34, 0, v43
	;; [unrolled: 1-line block ×25, first 2 shown]
	global_load_dwordx4 v[8:11], v[27:28], off offset:1584
	v_fmac_f32_e32 v37, v7, v46
	global_load_dwordx4 v[4:7], v[27:28], off offset:1568
	v_fmac_f32_e32 v36, v3, v46
	;; [unrolled: 2-line block ×4, first 2 shown]
	v_fmac_f32_e32 v39, 0x80000000, v46
	v_fmac_f32_e32 v38, 0x80000000, v46
	;; [unrolled: 1-line block ×3, first 2 shown]
	global_load_dwordx4 v[43:46], v[29:30], off
	v_add_co_u32_e32 v27, vcc, 0x800, v27
	v_addc_co_u32_e32 v28, vcc, 0, v28, vcc
	v_cmp_ge_i32_e32 vcc, v25, v32
	s_or_b64 s[10:11], vcc, s[10:11]
	s_waitcnt vmcnt(0)
	v_fmac_f32_e32 v40, v12, v43
	v_fmac_f32_e32 v34, 0, v43
	;; [unrolled: 1-line block ×32, first 2 shown]
	global_load_dwordx4 v[43:46], v[29:30], off offset:16
	s_waitcnt vmcnt(0)
	v_fmac_f32_e32 v40, v14, v43
	v_fmac_f32_e32 v34, 0, v43
	;; [unrolled: 1-line block ×32, first 2 shown]
	s_andn2_b64 exec, exec, s[10:11]
	s_cbranch_execnz .LBB121_19
; %bb.20:
	s_or_b64 exec, exec, s[10:11]
.LBB121_21:
	s_or_b64 exec, exec, s[2:3]
.LBB121_22:
	s_or_b64 exec, exec, s[8:9]
	s_cbranch_execz .LBB121_24
	s_branch .LBB121_35
.LBB121_23:
                                        ; implicit-def: $vgpr34
                                        ; implicit-def: $vgpr40
                                        ; implicit-def: $vgpr37
                                        ; implicit-def: $vgpr39
                                        ; implicit-def: $vgpr36
                                        ; implicit-def: $vgpr38
                                        ; implicit-def: $vgpr35
                                        ; implicit-def: $vgpr33
.LBB121_24:
	v_mov_b32_e32 v34, 0
	v_mov_b32_e32 v40, 0
	;; [unrolled: 1-line block ×8, first 2 shown]
	s_and_saveexec_b64 s[2:3], s[0:1]
	s_cbranch_execz .LBB121_34
; %bb.25:
	v_add_u32_e32 v0, v41, v31
	v_subrev_u32_e32 v0, s16, v0
	v_add_u32_e32 v0, 8, v0
	v_max_i32_e32 v0, v0, v32
	v_not_b32_e32 v1, v41
	v_add3_u32 v0, s16, v0, v1
	v_sub_u32_e32 v0, v0, v31
	v_and_b32_e32 v1, 24, v0
	v_cmp_ne_u32_e32 vcc, 24, v1
	v_mov_b32_e32 v33, 0
	v_mov_b32_e32 v35, 0
	;; [unrolled: 1-line block ×8, first 2 shown]
	s_and_saveexec_b64 s[8:9], vcc
	s_cbranch_execz .LBB121_29
; %bb.26:
	v_lshrrev_b32_e32 v1, 3, v0
	v_add_u32_e32 v1, 1, v1
	v_and_b32_e32 v1, 3, v1
	v_sub_u32_e32 v1, 0, v1
	v_mov_b32_e32 v34, 0
	s_mov_b64 s[10:11], 0
	v_mov_b32_e32 v2, s13
	v_mov_b32_e32 v3, s7
	;; [unrolled: 1-line block ×9, first 2 shown]
.LBB121_27:                             ; =>This Inner Loop Header: Depth=1
	v_ashrrev_i32_e32 v22, 31, v21
	v_lshlrev_b64 v[4:5], 2, v[21:22]
	v_add_co_u32_e64 v1, s[0:1], 1, v1
	v_add_co_u32_e32 v25, vcc, s12, v4
	v_addc_co_u32_e32 v26, vcc, v2, v5, vcc
	global_load_dword v22, v[25:26], off
	global_load_dwordx4 v[4:7], v[23:24], off offset:32
	global_load_dwordx4 v[8:11], v[23:24], off offset:16
	global_load_dwordx4 v[12:15], v[23:24], off
	v_add_u32_e32 v21, 8, v21
	s_or_b64 s[10:11], s[0:1], s[10:11]
	s_waitcnt vmcnt(3)
	v_subrev_u32_e32 v22, s16, v22
	v_lshlrev_b32_e32 v25, 2, v22
	v_ashrrev_i32_e32 v26, 31, v25
	v_lshlrev_b64 v[25:26], 3, v[25:26]
	v_add_co_u32_e32 v29, vcc, s6, v25
	v_addc_co_u32_e32 v30, vcc, v3, v26, vcc
	global_load_dwordx4 v[25:28], v[29:30], off
	global_load_dwordx4 v[41:44], v[29:30], off offset:16
	global_load_dwordx4 v[45:48], v[23:24], off offset:48
	v_add_co_u32_e32 v23, vcc, 0x200, v23
	v_addc_co_u32_e32 v24, vcc, 0, v24, vcc
	s_waitcnt vmcnt(2)
	v_fmac_f32_e32 v40, v12, v25
	v_fmac_f32_e32 v34, 0, v25
	;; [unrolled: 1-line block ×32, first 2 shown]
	s_waitcnt vmcnt(1)
	v_fmac_f32_e32 v40, v4, v41
	v_fmac_f32_e32 v34, 0, v41
	;; [unrolled: 1-line block ×16, first 2 shown]
	s_waitcnt vmcnt(0)
	v_fmac_f32_e32 v40, v45, v43
	v_fmac_f32_e32 v34, 0, v43
	;; [unrolled: 1-line block ×16, first 2 shown]
	s_andn2_b64 exec, exec, s[10:11]
	s_cbranch_execnz .LBB121_27
; %bb.28:
	s_or_b64 exec, exec, s[10:11]
.LBB121_29:
	s_or_b64 exec, exec, s[8:9]
	v_cmp_lt_u32_e32 vcc, 23, v0
	s_and_saveexec_b64 s[0:1], vcc
	s_cbranch_execz .LBB121_33
; %bb.30:
	s_mov_b64 s[8:9], 0
	v_mov_b32_e32 v10, s13
	v_mov_b32_e32 v11, s7
.LBB121_31:                             ; =>This Inner Loop Header: Depth=1
	v_ashrrev_i32_e32 v22, 31, v21
	v_lshlrev_b64 v[4:5], 2, v[21:22]
	global_load_dwordx4 v[0:3], v[23:24], off offset:48
	global_load_dwordx4 v[12:15], v[23:24], off offset:16
	global_load_dwordx4 v[25:28], v[23:24], off
	v_add_co_u32_e32 v8, vcc, s12, v4
	v_addc_co_u32_e32 v9, vcc, v10, v5, vcc
	global_load_dword v4, v[8:9], off
	v_add_u32_e32 v21, 32, v21
	s_waitcnt vmcnt(0)
	v_subrev_u32_e32 v4, s16, v4
	v_lshlrev_b32_e32 v4, 2, v4
	v_ashrrev_i32_e32 v5, 31, v4
	v_lshlrev_b64 v[4:5], 3, v[4:5]
	v_add_co_u32_e32 v4, vcc, s6, v4
	v_addc_co_u32_e32 v5, vcc, v11, v5, vcc
	global_load_dwordx4 v[41:44], v[4:5], off
	s_waitcnt vmcnt(0)
	v_fmac_f32_e32 v40, v25, v41
	v_fmac_f32_e32 v34, 0, v41
	;; [unrolled: 1-line block ×24, first 2 shown]
	global_load_dwordx4 v[25:28], v[23:24], off offset:32
	v_fmac_f32_e32 v34, v12, v44
	v_fmac_f32_e32 v37, v13, v44
	;; [unrolled: 1-line block ×4, first 2 shown]
	global_load_dwordx4 v[12:15], v[23:24], off offset:560
	v_fmac_f32_e32 v40, 0x80000000, v44
	v_fmac_f32_e32 v39, 0x80000000, v44
	;; [unrolled: 1-line block ×4, first 2 shown]
	global_load_dwordx4 v[41:44], v[23:24], off offset:528
	global_load_dwordx4 v[45:48], v[4:5], off offset:16
	s_waitcnt vmcnt(0)
	v_fmac_f32_e32 v34, 0, v45
	v_fmac_f32_e32 v40, v25, v45
	;; [unrolled: 1-line block ×7, first 2 shown]
	global_load_dword v0, v[8:9], off offset:32
	v_fmac_f32_e32 v37, 0, v45
	v_fmac_f32_e32 v39, v26, v45
	;; [unrolled: 1-line block ×17, first 2 shown]
	global_load_dwordx4 v[4:7], v[23:24], off offset:512
	global_load_dwordx4 v[25:28], v[23:24], off offset:1072
	v_fmac_f32_e32 v38, v2, v47
	v_fmac_f32_e32 v33, v3, v47
	;; [unrolled: 1-line block ×8, first 2 shown]
	s_waitcnt vmcnt(2)
	v_subrev_u32_e32 v0, s16, v0
	v_lshlrev_b32_e32 v0, 2, v0
	v_ashrrev_i32_e32 v1, 31, v0
	v_lshlrev_b64 v[0:1], 3, v[0:1]
	v_add_co_u32_e32 v29, vcc, s6, v0
	v_addc_co_u32_e32 v30, vcc, v11, v1, vcc
	global_load_dwordx4 v[0:3], v[29:30], off
	s_waitcnt vmcnt(0)
	v_fmac_f32_e32 v40, v4, v0
	v_fmac_f32_e32 v34, 0, v0
	;; [unrolled: 1-line block ×24, first 2 shown]
	global_load_dwordx4 v[4:7], v[23:24], off offset:544
	v_fmac_f32_e32 v34, v41, v3
	v_fmac_f32_e32 v37, v42, v3
	v_fmac_f32_e32 v36, v43, v3
	v_fmac_f32_e32 v35, v44, v3
	v_fmac_f32_e32 v40, 0x80000000, v3
	v_fmac_f32_e32 v39, 0x80000000, v3
	v_fmac_f32_e32 v38, 0x80000000, v3
	v_fmac_f32_e32 v33, 0x80000000, v3
	global_load_dwordx4 v[0:3], v[23:24], off offset:1040
	global_load_dwordx4 v[41:44], v[29:30], off offset:16
	s_waitcnt vmcnt(0)
	v_fmac_f32_e32 v34, 0, v41
	v_fmac_f32_e32 v40, v4, v41
	;; [unrolled: 1-line block ×7, first 2 shown]
	global_load_dword v12, v[8:9], off offset:64
	v_fmac_f32_e32 v37, 0, v41
	v_fmac_f32_e32 v39, v5, v41
	;; [unrolled: 1-line block ×21, first 2 shown]
	global_load_dwordx4 v[4:7], v[23:24], off offset:1024
	v_fmac_f32_e32 v40, 0x80000000, v44
	v_fmac_f32_e32 v39, 0x80000000, v44
	;; [unrolled: 1-line block ×4, first 2 shown]
	global_load_dwordx4 v[41:44], v[23:24], off offset:1056
	s_waitcnt vmcnt(2)
	v_subrev_u32_e32 v12, s16, v12
	v_lshlrev_b32_e32 v12, 2, v12
	v_ashrrev_i32_e32 v13, 31, v12
	v_lshlrev_b64 v[12:13], 3, v[12:13]
	v_add_co_u32_e32 v29, vcc, s6, v12
	v_addc_co_u32_e32 v30, vcc, v11, v13, vcc
	global_load_dwordx4 v[12:15], v[29:30], off
	s_waitcnt vmcnt(0)
	v_fmac_f32_e32 v34, 0, v12
	v_fmac_f32_e32 v37, 0, v12
	;; [unrolled: 1-line block ×28, first 2 shown]
	global_load_dwordx4 v[0:3], v[23:24], off offset:1568
	global_load_dwordx4 v[4:7], v[23:24], off offset:1552
	global_load_dword v12, v[8:9], off offset:96
	v_fmac_f32_e32 v40, 0x80000000, v15
	v_fmac_f32_e32 v39, 0x80000000, v15
	v_fmac_f32_e32 v38, 0x80000000, v15
	v_fmac_f32_e32 v33, 0x80000000, v15
	s_waitcnt vmcnt(0)
	v_subrev_u32_e32 v8, s16, v12
	global_load_dwordx4 v[12:15], v[29:30], off offset:16
	v_lshlrev_b32_e32 v8, 2, v8
	v_ashrrev_i32_e32 v9, 31, v8
	v_lshlrev_b64 v[8:9], 3, v[8:9]
	v_add_co_u32_e32 v8, vcc, s6, v8
	v_addc_co_u32_e32 v9, vcc, v11, v9, vcc
	s_waitcnt vmcnt(0)
	v_fmac_f32_e32 v34, 0, v12
	v_fmac_f32_e32 v37, 0, v12
	;; [unrolled: 1-line block ×28, first 2 shown]
	global_load_dwordx4 v[25:28], v[8:9], off
	global_load_dwordx4 v[41:44], v[23:24], off offset:1536
	v_fmac_f32_e32 v40, 0x80000000, v15
	v_fmac_f32_e32 v39, 0x80000000, v15
	;; [unrolled: 1-line block ×4, first 2 shown]
	global_load_dwordx4 v[12:15], v[8:9], off offset:16
	s_waitcnt vmcnt(2)
	v_fmac_f32_e32 v34, 0, v25
	v_fmac_f32_e32 v37, 0, v25
	;; [unrolled: 1-line block ×4, first 2 shown]
	s_waitcnt vmcnt(1)
	v_fmac_f32_e32 v40, v41, v25
	v_fmac_f32_e32 v39, v42, v25
	v_fmac_f32_e32 v38, v43, v25
	v_fmac_f32_e32 v33, v44, v25
	v_fmac_f32_e32 v34, v41, v26
	v_fmac_f32_e32 v37, v42, v26
	v_fmac_f32_e32 v36, v43, v26
	v_fmac_f32_e32 v35, v44, v26
	global_load_dwordx4 v[41:44], v[23:24], off offset:1584
	v_fmac_f32_e32 v40, 0x80000000, v26
	v_fmac_f32_e32 v39, 0x80000000, v26
	;; [unrolled: 1-line block ×20, first 2 shown]
	v_add_co_u32_e32 v23, vcc, 0x800, v23
	s_waitcnt vmcnt(1)
	v_fmac_f32_e32 v40, v0, v12
	v_fmac_f32_e32 v34, 0, v12
	;; [unrolled: 1-line block ×8, first 2 shown]
	v_addc_co_u32_e32 v24, vcc, 0, v24, vcc
	v_fmac_f32_e32 v40, 0x80000000, v13
	v_fmac_f32_e32 v34, v0, v13
	;; [unrolled: 1-line block ×8, first 2 shown]
	v_cmp_ge_i32_e32 vcc, v21, v32
	v_fmac_f32_e32 v34, 0, v14
	v_fmac_f32_e32 v37, 0, v14
	;; [unrolled: 1-line block ×4, first 2 shown]
	s_or_b64 s[8:9], vcc, s[8:9]
	s_waitcnt vmcnt(0)
	v_fmac_f32_e32 v40, v41, v14
	v_fmac_f32_e32 v39, v42, v14
	;; [unrolled: 1-line block ×12, first 2 shown]
	s_andn2_b64 exec, exec, s[8:9]
	s_cbranch_execnz .LBB121_31
; %bb.32:
	s_or_b64 exec, exec, s[8:9]
.LBB121_33:
	s_or_b64 exec, exec, s[0:1]
.LBB121_34:
	s_or_b64 exec, exec, s[2:3]
.LBB121_35:
	v_mov_b32_dpp v0, v40 row_shr:1 row_mask:0xf bank_mask:0xf
	v_mov_b32_dpp v2, v34 row_shr:1 row_mask:0xf bank_mask:0xf
	;; [unrolled: 1-line block ×8, first 2 shown]
	v_add_f32_e32 v0, v40, v0
	v_add_f32_e32 v2, v34, v2
	;; [unrolled: 1-line block ×8, first 2 shown]
	v_mov_b32_dpp v1, v0 row_shr:2 row_mask:0xf bank_mask:0xf
	v_mov_b32_dpp v3, v2 row_shr:2 row_mask:0xf bank_mask:0xf
	;; [unrolled: 1-line block ×8, first 2 shown]
	v_add_f32_e32 v0, v0, v1
	v_add_f32_e32 v2, v2, v3
	;; [unrolled: 1-line block ×8, first 2 shown]
	v_mov_b32_dpp v1, v0 row_shr:4 row_mask:0xf bank_mask:0xe
	v_mov_b32_dpp v3, v2 row_shr:4 row_mask:0xf bank_mask:0xe
	v_mov_b32_dpp v5, v4 row_shr:4 row_mask:0xf bank_mask:0xe
	v_mov_b32_dpp v7, v6 row_shr:4 row_mask:0xf bank_mask:0xe
	v_mov_b32_dpp v9, v8 row_shr:4 row_mask:0xf bank_mask:0xe
	v_mov_b32_dpp v11, v10 row_shr:4 row_mask:0xf bank_mask:0xe
	v_mov_b32_dpp v13, v12 row_shr:4 row_mask:0xf bank_mask:0xe
	v_mov_b32_dpp v15, v14 row_shr:4 row_mask:0xf bank_mask:0xe
	v_cmp_eq_u32_e32 vcc, 7, v31
	s_and_b64 exec, exec, vcc
	s_cbranch_execz .LBB121_8
; %bb.36:
	s_load_dwordx2 s[2:3], s[4:5], 0x50
	v_add_f32_e32 v21, v0, v1
	v_add_f32_e32 v0, v2, v3
	;; [unrolled: 1-line block ×8, first 2 shown]
	v_cmp_eq_f32_e32 vcc, 0, v16
	v_cmp_eq_f32_e64 s[0:1], 0, v17
	v_mul_f32_e64 v4, v0, -v19
	v_mul_f32_e32 v5, v18, v0
	v_mul_f32_e64 v6, v1, -v19
	v_mul_f32_e32 v7, v18, v1
	;; [unrolled: 2-line block ×4, first 2 shown]
	s_and_b64 s[0:1], vcc, s[0:1]
	v_fmac_f32_e32 v4, v18, v21
	v_fmac_f32_e32 v5, v19, v21
	v_lshlrev_b32_e32 v8, 2, v20
	v_fmac_f32_e32 v6, v18, v22
	v_fmac_f32_e32 v7, v19, v22
	;; [unrolled: 1-line block ×6, first 2 shown]
	s_and_saveexec_b64 s[4:5], s[0:1]
	s_xor_b64 s[0:1], exec, s[4:5]
	s_cbranch_execz .LBB121_38
; %bb.37:
	v_ashrrev_i32_e32 v9, 31, v8
	v_lshlrev_b64 v[8:9], 3, v[8:9]
	s_waitcnt lgkmcnt(0)
	v_mov_b32_e32 v10, s3
	v_add_co_u32_e32 v8, vcc, s2, v8
	v_addc_co_u32_e32 v9, vcc, v10, v9, vcc
	global_store_dwordx4 v[8:9], v[4:7], off
	global_store_dwordx4 v[8:9], v[0:3], off offset:16
                                        ; implicit-def: $vgpr16_vgpr17
                                        ; implicit-def: $vgpr4
                                        ; implicit-def: $vgpr8
                                        ; implicit-def: $vgpr0
.LBB121_38:
	s_andn2_saveexec_b64 s[0:1], s[0:1]
	s_cbranch_execz .LBB121_8
; %bb.39:
	v_ashrrev_i32_e32 v9, 31, v8
	v_lshlrev_b64 v[8:9], 3, v[8:9]
	s_waitcnt lgkmcnt(0)
	v_mov_b32_e32 v10, s3
	v_add_co_u32_e32 v18, vcc, s2, v8
	v_addc_co_u32_e32 v19, vcc, v10, v9, vcc
	global_load_dwordx4 v[8:11], v[18:19], off
	global_load_dwordx4 v[12:15], v[18:19], off offset:16
	s_waitcnt vmcnt(1)
	v_fmac_f32_e32 v4, v16, v8
	v_fmac_f32_e32 v5, v17, v8
	;; [unrolled: 1-line block ×4, first 2 shown]
	s_waitcnt vmcnt(0)
	v_fmac_f32_e32 v0, v16, v12
	v_fmac_f32_e32 v1, v17, v12
	;; [unrolled: 1-line block ×4, first 2 shown]
	v_fma_f32 v4, -v17, v9, v4
	v_fmac_f32_e32 v5, v16, v9
	v_fma_f32 v6, -v17, v11, v6
	v_fmac_f32_e32 v7, v16, v11
	;; [unrolled: 2-line block ×4, first 2 shown]
	global_store_dwordx4 v[18:19], v[4:7], off
	global_store_dwordx4 v[18:19], v[0:3], off offset:16
	s_endpgm
	.section	.rodata,"a",@progbits
	.p2align	6, 0x0
	.amdhsa_kernel _ZN9rocsparseL18bsrxmvn_4x4_kernelILj128ELj8E21rocsparse_complex_numIfEiifS2_S2_EEvT3_20rocsparse_direction_NS_24const_host_device_scalarIT1_EES3_PKS3_PKT2_SC_S9_PKT4_PKT5_S7_PT6_21rocsparse_index_base_b
		.amdhsa_group_segment_fixed_size 0
		.amdhsa_private_segment_fixed_size 0
		.amdhsa_kernarg_size 96
		.amdhsa_user_sgpr_count 6
		.amdhsa_user_sgpr_private_segment_buffer 1
		.amdhsa_user_sgpr_dispatch_ptr 0
		.amdhsa_user_sgpr_queue_ptr 0
		.amdhsa_user_sgpr_kernarg_segment_ptr 1
		.amdhsa_user_sgpr_dispatch_id 0
		.amdhsa_user_sgpr_flat_scratch_init 0
		.amdhsa_user_sgpr_private_segment_size 0
		.amdhsa_uses_dynamic_stack 0
		.amdhsa_system_sgpr_private_segment_wavefront_offset 0
		.amdhsa_system_sgpr_workgroup_id_x 1
		.amdhsa_system_sgpr_workgroup_id_y 0
		.amdhsa_system_sgpr_workgroup_id_z 0
		.amdhsa_system_sgpr_workgroup_info 0
		.amdhsa_system_vgpr_workitem_id 0
		.amdhsa_next_free_vgpr 54
		.amdhsa_next_free_sgpr 18
		.amdhsa_reserve_vcc 1
		.amdhsa_reserve_flat_scratch 0
		.amdhsa_float_round_mode_32 0
		.amdhsa_float_round_mode_16_64 0
		.amdhsa_float_denorm_mode_32 3
		.amdhsa_float_denorm_mode_16_64 3
		.amdhsa_dx10_clamp 1
		.amdhsa_ieee_mode 1
		.amdhsa_fp16_overflow 0
		.amdhsa_exception_fp_ieee_invalid_op 0
		.amdhsa_exception_fp_denorm_src 0
		.amdhsa_exception_fp_ieee_div_zero 0
		.amdhsa_exception_fp_ieee_overflow 0
		.amdhsa_exception_fp_ieee_underflow 0
		.amdhsa_exception_fp_ieee_inexact 0
		.amdhsa_exception_int_div_zero 0
	.end_amdhsa_kernel
	.section	.text._ZN9rocsparseL18bsrxmvn_4x4_kernelILj128ELj8E21rocsparse_complex_numIfEiifS2_S2_EEvT3_20rocsparse_direction_NS_24const_host_device_scalarIT1_EES3_PKS3_PKT2_SC_S9_PKT4_PKT5_S7_PT6_21rocsparse_index_base_b,"axG",@progbits,_ZN9rocsparseL18bsrxmvn_4x4_kernelILj128ELj8E21rocsparse_complex_numIfEiifS2_S2_EEvT3_20rocsparse_direction_NS_24const_host_device_scalarIT1_EES3_PKS3_PKT2_SC_S9_PKT4_PKT5_S7_PT6_21rocsparse_index_base_b,comdat
.Lfunc_end121:
	.size	_ZN9rocsparseL18bsrxmvn_4x4_kernelILj128ELj8E21rocsparse_complex_numIfEiifS2_S2_EEvT3_20rocsparse_direction_NS_24const_host_device_scalarIT1_EES3_PKS3_PKT2_SC_S9_PKT4_PKT5_S7_PT6_21rocsparse_index_base_b, .Lfunc_end121-_ZN9rocsparseL18bsrxmvn_4x4_kernelILj128ELj8E21rocsparse_complex_numIfEiifS2_S2_EEvT3_20rocsparse_direction_NS_24const_host_device_scalarIT1_EES3_PKS3_PKT2_SC_S9_PKT4_PKT5_S7_PT6_21rocsparse_index_base_b
                                        ; -- End function
	.set _ZN9rocsparseL18bsrxmvn_4x4_kernelILj128ELj8E21rocsparse_complex_numIfEiifS2_S2_EEvT3_20rocsparse_direction_NS_24const_host_device_scalarIT1_EES3_PKS3_PKT2_SC_S9_PKT4_PKT5_S7_PT6_21rocsparse_index_base_b.num_vgpr, 54
	.set _ZN9rocsparseL18bsrxmvn_4x4_kernelILj128ELj8E21rocsparse_complex_numIfEiifS2_S2_EEvT3_20rocsparse_direction_NS_24const_host_device_scalarIT1_EES3_PKS3_PKT2_SC_S9_PKT4_PKT5_S7_PT6_21rocsparse_index_base_b.num_agpr, 0
	.set _ZN9rocsparseL18bsrxmvn_4x4_kernelILj128ELj8E21rocsparse_complex_numIfEiifS2_S2_EEvT3_20rocsparse_direction_NS_24const_host_device_scalarIT1_EES3_PKS3_PKT2_SC_S9_PKT4_PKT5_S7_PT6_21rocsparse_index_base_b.numbered_sgpr, 18
	.set _ZN9rocsparseL18bsrxmvn_4x4_kernelILj128ELj8E21rocsparse_complex_numIfEiifS2_S2_EEvT3_20rocsparse_direction_NS_24const_host_device_scalarIT1_EES3_PKS3_PKT2_SC_S9_PKT4_PKT5_S7_PT6_21rocsparse_index_base_b.num_named_barrier, 0
	.set _ZN9rocsparseL18bsrxmvn_4x4_kernelILj128ELj8E21rocsparse_complex_numIfEiifS2_S2_EEvT3_20rocsparse_direction_NS_24const_host_device_scalarIT1_EES3_PKS3_PKT2_SC_S9_PKT4_PKT5_S7_PT6_21rocsparse_index_base_b.private_seg_size, 0
	.set _ZN9rocsparseL18bsrxmvn_4x4_kernelILj128ELj8E21rocsparse_complex_numIfEiifS2_S2_EEvT3_20rocsparse_direction_NS_24const_host_device_scalarIT1_EES3_PKS3_PKT2_SC_S9_PKT4_PKT5_S7_PT6_21rocsparse_index_base_b.uses_vcc, 1
	.set _ZN9rocsparseL18bsrxmvn_4x4_kernelILj128ELj8E21rocsparse_complex_numIfEiifS2_S2_EEvT3_20rocsparse_direction_NS_24const_host_device_scalarIT1_EES3_PKS3_PKT2_SC_S9_PKT4_PKT5_S7_PT6_21rocsparse_index_base_b.uses_flat_scratch, 0
	.set _ZN9rocsparseL18bsrxmvn_4x4_kernelILj128ELj8E21rocsparse_complex_numIfEiifS2_S2_EEvT3_20rocsparse_direction_NS_24const_host_device_scalarIT1_EES3_PKS3_PKT2_SC_S9_PKT4_PKT5_S7_PT6_21rocsparse_index_base_b.has_dyn_sized_stack, 0
	.set _ZN9rocsparseL18bsrxmvn_4x4_kernelILj128ELj8E21rocsparse_complex_numIfEiifS2_S2_EEvT3_20rocsparse_direction_NS_24const_host_device_scalarIT1_EES3_PKS3_PKT2_SC_S9_PKT4_PKT5_S7_PT6_21rocsparse_index_base_b.has_recursion, 0
	.set _ZN9rocsparseL18bsrxmvn_4x4_kernelILj128ELj8E21rocsparse_complex_numIfEiifS2_S2_EEvT3_20rocsparse_direction_NS_24const_host_device_scalarIT1_EES3_PKS3_PKT2_SC_S9_PKT4_PKT5_S7_PT6_21rocsparse_index_base_b.has_indirect_call, 0
	.section	.AMDGPU.csdata,"",@progbits
; Kernel info:
; codeLenInByte = 5984
; TotalNumSgprs: 22
; NumVgprs: 54
; ScratchSize: 0
; MemoryBound: 0
; FloatMode: 240
; IeeeMode: 1
; LDSByteSize: 0 bytes/workgroup (compile time only)
; SGPRBlocks: 2
; VGPRBlocks: 13
; NumSGPRsForWavesPerEU: 22
; NumVGPRsForWavesPerEU: 54
; Occupancy: 4
; WaveLimiterHint : 1
; COMPUTE_PGM_RSRC2:SCRATCH_EN: 0
; COMPUTE_PGM_RSRC2:USER_SGPR: 6
; COMPUTE_PGM_RSRC2:TRAP_HANDLER: 0
; COMPUTE_PGM_RSRC2:TGID_X_EN: 1
; COMPUTE_PGM_RSRC2:TGID_Y_EN: 0
; COMPUTE_PGM_RSRC2:TGID_Z_EN: 0
; COMPUTE_PGM_RSRC2:TIDIG_COMP_CNT: 0
	.section	.text._ZN9rocsparseL18bsrxmvn_4x4_kernelILj128ELj16E21rocsparse_complex_numIfEiifS2_S2_EEvT3_20rocsparse_direction_NS_24const_host_device_scalarIT1_EES3_PKS3_PKT2_SC_S9_PKT4_PKT5_S7_PT6_21rocsparse_index_base_b,"axG",@progbits,_ZN9rocsparseL18bsrxmvn_4x4_kernelILj128ELj16E21rocsparse_complex_numIfEiifS2_S2_EEvT3_20rocsparse_direction_NS_24const_host_device_scalarIT1_EES3_PKS3_PKT2_SC_S9_PKT4_PKT5_S7_PT6_21rocsparse_index_base_b,comdat
	.globl	_ZN9rocsparseL18bsrxmvn_4x4_kernelILj128ELj16E21rocsparse_complex_numIfEiifS2_S2_EEvT3_20rocsparse_direction_NS_24const_host_device_scalarIT1_EES3_PKS3_PKT2_SC_S9_PKT4_PKT5_S7_PT6_21rocsparse_index_base_b ; -- Begin function _ZN9rocsparseL18bsrxmvn_4x4_kernelILj128ELj16E21rocsparse_complex_numIfEiifS2_S2_EEvT3_20rocsparse_direction_NS_24const_host_device_scalarIT1_EES3_PKS3_PKT2_SC_S9_PKT4_PKT5_S7_PT6_21rocsparse_index_base_b
	.p2align	8
	.type	_ZN9rocsparseL18bsrxmvn_4x4_kernelILj128ELj16E21rocsparse_complex_numIfEiifS2_S2_EEvT3_20rocsparse_direction_NS_24const_host_device_scalarIT1_EES3_PKS3_PKT2_SC_S9_PKT4_PKT5_S7_PT6_21rocsparse_index_base_b,@function
_ZN9rocsparseL18bsrxmvn_4x4_kernelILj128ELj16E21rocsparse_complex_numIfEiifS2_S2_EEvT3_20rocsparse_direction_NS_24const_host_device_scalarIT1_EES3_PKS3_PKT2_SC_S9_PKT4_PKT5_S7_PT6_21rocsparse_index_base_b: ; @_ZN9rocsparseL18bsrxmvn_4x4_kernelILj128ELj16E21rocsparse_complex_numIfEiifS2_S2_EEvT3_20rocsparse_direction_NS_24const_host_device_scalarIT1_EES3_PKS3_PKT2_SC_S9_PKT4_PKT5_S7_PT6_21rocsparse_index_base_b
; %bb.0:
	s_load_dwordx2 s[0:1], s[4:5], 0x8
	s_load_dwordx2 s[16:17], s[4:5], 0x58
	s_add_u32 s7, s4, 8
	s_addc_u32 s8, s5, 0
	s_add_u32 s9, s4, 0x48
	s_load_dwordx2 s[2:3], s[4:5], 0x48
	s_addc_u32 s10, s5, 0
	s_waitcnt lgkmcnt(0)
	s_bitcmp1_b32 s17, 0
	s_cselect_b32 s1, s8, s1
	s_cselect_b32 s0, s7, s0
	v_mov_b32_e32 v1, s0
	v_mov_b32_e32 v2, s1
	flat_load_dwordx2 v[18:19], v[1:2]
	s_cselect_b32 s0, s10, s3
	s_cselect_b32 s1, s9, s2
	v_mov_b32_e32 v1, s1
	v_mov_b32_e32 v2, s0
	flat_load_dwordx2 v[16:17], v[1:2]
	s_waitcnt vmcnt(0) lgkmcnt(0)
	v_cmp_eq_f32_e32 vcc, 0, v18
	v_cmp_eq_f32_e64 s[0:1], 0, v19
	s_and_b64 s[8:9], vcc, s[0:1]
	s_mov_b64 s[0:1], -1
	s_and_saveexec_b64 s[2:3], s[8:9]
; %bb.1:
	v_cmp_neq_f32_e32 vcc, 1.0, v16
	v_cmp_neq_f32_e64 s[0:1], 0, v17
	s_or_b64 s[0:1], vcc, s[0:1]
	s_orn2_b64 s[0:1], s[0:1], exec
; %bb.2:
	s_or_b64 exec, exec, s[2:3]
	s_and_saveexec_b64 s[2:3], s[0:1]
	s_cbranch_execz .LBB122_8
; %bb.3:
	s_load_dwordx2 s[8:9], s[4:5], 0x18
	s_load_dwordx2 s[0:1], s[4:5], 0x0
	v_lshrrev_b32_e32 v1, 4, v0
	v_lshl_or_b32 v20, s6, 3, v1
	s_mov_b64 s[2:3], 0
	s_waitcnt lgkmcnt(0)
	s_cmp_lg_u64 s[8:9], 0
	s_cbranch_scc0 .LBB122_9
; %bb.4:
	s_load_dword s6, s[4:5], 0x10
                                        ; implicit-def: $vgpr1
	s_waitcnt lgkmcnt(0)
	v_cmp_gt_i32_e32 vcc, s6, v20
	s_and_saveexec_b64 s[6:7], vcc
	s_xor_b64 s[6:7], exec, s[6:7]
	s_cbranch_execz .LBB122_6
; %bb.5:
	v_ashrrev_i32_e32 v21, 31, v20
	v_lshlrev_b64 v[1:2], 2, v[20:21]
	v_mov_b32_e32 v3, s9
	v_add_co_u32_e32 v1, vcc, s8, v1
	v_addc_co_u32_e32 v2, vcc, v3, v2, vcc
	global_load_dword v1, v[1:2], off
	s_mov_b64 s[2:3], exec
	s_waitcnt vmcnt(0)
	v_subrev_u32_e32 v1, s16, v1
.LBB122_6:
	s_or_b64 exec, exec, s[6:7]
	s_branch .LBB122_10
.LBB122_7:
	v_cmp_gt_i32_e32 vcc, s0, v20
	s_andn2_b64 s[2:3], s[2:3], exec
	s_and_b64 s[6:7], vcc, exec
	s_or_b64 s[2:3], s[2:3], s[6:7]
	s_and_b64 exec, exec, s[2:3]
	s_cbranch_execnz .LBB122_11
.LBB122_8:
	s_endpgm
.LBB122_9:
                                        ; implicit-def: $vgpr1
	s_cbranch_execnz .LBB122_7
.LBB122_10:
	v_mov_b32_e32 v20, v1
	s_and_b64 exec, exec, s[2:3]
	s_cbranch_execz .LBB122_8
.LBB122_11:
	s_load_dwordx8 s[8:15], s[4:5], 0x20
	v_ashrrev_i32_e32 v21, 31, v20
	v_lshlrev_b64 v[1:2], 2, v[20:21]
	v_and_b32_e32 v31, 15, v0
	s_load_dwordx2 s[6:7], s[4:5], 0x40
	s_waitcnt lgkmcnt(0)
	v_mov_b32_e32 v4, s9
	v_add_co_u32_e32 v3, vcc, s8, v1
	v_addc_co_u32_e32 v4, vcc, v4, v2, vcc
	global_load_dword v41, v[3:4], off
	v_add_co_u32_e32 v3, vcc, 4, v3
	v_addc_co_u32_e32 v4, vcc, 0, v4, vcc
	v_mov_b32_e32 v5, s11
	v_add_co_u32_e32 v1, vcc, s10, v1
	s_cmp_eq_u64 s[10:11], 0
	v_addc_co_u32_e32 v2, vcc, v5, v2, vcc
	s_cselect_b64 vcc, -1, 0
	v_cndmask_b32_e32 v2, v2, v4, vcc
	v_cndmask_b32_e32 v1, v1, v3, vcc
	global_load_dword v1, v[1:2], off
	v_mov_b32_e32 v2, s15
	s_cmp_eq_u32 s1, 1
	s_waitcnt vmcnt(1)
	v_subrev_u32_e32 v0, s16, v41
	v_add_u32_e32 v21, v0, v31
	v_ashrrev_i32_e32 v22, 31, v21
	s_waitcnt vmcnt(0)
	v_subrev_u32_e32 v33, s16, v1
	v_lshlrev_b64 v[0:1], 6, v[21:22]
	v_cmp_lt_i32_e64 s[0:1], v21, v33
	v_add_co_u32_e32 v23, vcc, s14, v0
	v_addc_co_u32_e32 v24, vcc, v2, v1, vcc
	s_cbranch_scc1 .LBB122_23
; %bb.12:
	v_mov_b32_e32 v35, 0
	v_mov_b32_e32 v40, 0
	;; [unrolled: 1-line block ×8, first 2 shown]
	s_and_saveexec_b64 s[8:9], s[0:1]
	s_cbranch_execz .LBB122_22
; %bb.13:
	v_add_u32_e32 v0, v41, v31
	v_subrev_u32_e32 v0, s16, v0
	v_add_u32_e32 v0, 16, v0
	v_max_i32_e32 v0, v0, v33
	v_not_b32_e32 v1, v41
	v_add3_u32 v0, s16, v0, v1
	v_sub_u32_e32 v0, v0, v31
	v_and_b32_e32 v1, 48, v0
	v_mov_b32_e32 v28, v24
	v_cmp_ne_u32_e32 vcc, 48, v1
	v_mov_b32_e32 v32, 0
	v_mov_b32_e32 v34, 0
	;; [unrolled: 1-line block ×10, first 2 shown]
	s_and_saveexec_b64 s[10:11], vcc
	s_cbranch_execz .LBB122_17
; %bb.14:
	v_lshrrev_b32_e32 v1, 4, v0
	v_add_u32_e32 v1, 1, v1
	v_and_b32_e32 v1, 3, v1
	v_mov_b32_e32 v28, v24
	v_sub_u32_e32 v1, 0, v1
	v_mov_b32_e32 v35, 0
	s_mov_b64 s[14:15], 0
	v_mov_b32_e32 v2, s13
	v_mov_b32_e32 v3, s7
	;; [unrolled: 1-line block ×11, first 2 shown]
.LBB122_15:                             ; =>This Inner Loop Header: Depth=1
	v_ashrrev_i32_e32 v26, 31, v25
	v_lshlrev_b64 v[4:5], 2, v[25:26]
	v_add_co_u32_e64 v1, s[2:3], 1, v1
	v_add_co_u32_e32 v29, vcc, s12, v4
	v_addc_co_u32_e32 v30, vcc, v2, v5, vcc
	global_load_dword v22, v[29:30], off
	global_load_dwordx4 v[4:7], v[27:28], off
	global_load_dwordx4 v[8:11], v[27:28], off offset:16
	global_load_dwordx4 v[12:15], v[27:28], off offset:32
	;; [unrolled: 1-line block ×3, first 2 shown]
	v_add_u32_e32 v25, 16, v25
	s_or_b64 s[14:15], s[2:3], s[14:15]
	s_waitcnt vmcnt(4)
	v_subrev_u32_e32 v22, s16, v22
	v_lshlrev_b32_e32 v29, 2, v22
	v_ashrrev_i32_e32 v30, 31, v29
	v_lshlrev_b64 v[29:30], 3, v[29:30]
	v_add_co_u32_e32 v29, vcc, s6, v29
	v_addc_co_u32_e32 v30, vcc, v3, v30, vcc
	global_load_dwordx4 v[46:49], v[29:30], off
	global_load_dwordx4 v[50:53], v[29:30], off offset:16
	v_add_co_u32_e32 v27, vcc, 0x400, v27
	v_addc_co_u32_e32 v28, vcc, 0, v28, vcc
	s_waitcnt vmcnt(1)
	v_fmac_f32_e32 v40, v4, v46
	v_fmac_f32_e32 v35, 0, v46
	;; [unrolled: 1-line block ×32, first 2 shown]
	s_waitcnt vmcnt(0)
	v_fmac_f32_e32 v40, v6, v50
	v_fmac_f32_e32 v35, 0, v50
	v_fmac_f32_e32 v39, v10, v50
	v_fmac_f32_e32 v37, 0, v50
	v_fmac_f32_e32 v38, v14, v50
	v_fmac_f32_e32 v36, 0, v50
	v_fmac_f32_e32 v32, v44, v50
	v_fmac_f32_e32 v34, 0, v50
	v_fmac_f32_e32 v40, 0x80000000, v51
	v_fmac_f32_e32 v35, v6, v51
	v_fmac_f32_e32 v39, 0x80000000, v51
	v_fmac_f32_e32 v37, v10, v51
	v_fmac_f32_e32 v38, 0x80000000, v51
	v_fmac_f32_e32 v36, v14, v51
	v_fmac_f32_e32 v32, 0x80000000, v51
	v_fmac_f32_e32 v34, v44, v51
	v_fmac_f32_e32 v40, v7, v52
	v_fmac_f32_e32 v35, 0, v52
	v_fmac_f32_e32 v39, v11, v52
	v_fmac_f32_e32 v37, 0, v52
	v_fmac_f32_e32 v38, v15, v52
	v_fmac_f32_e32 v36, 0, v52
	v_fmac_f32_e32 v32, v45, v52
	v_fmac_f32_e32 v34, 0, v52
	v_fmac_f32_e32 v35, v7, v53
	v_fmac_f32_e32 v37, v11, v53
	v_fmac_f32_e32 v36, v15, v53
	v_fmac_f32_e32 v40, 0x80000000, v53
	v_fmac_f32_e32 v39, 0x80000000, v53
	v_fmac_f32_e32 v38, 0x80000000, v53
	v_fmac_f32_e32 v32, 0x80000000, v53
	v_fmac_f32_e32 v34, v45, v53
	s_andn2_b64 exec, exec, s[14:15]
	s_cbranch_execnz .LBB122_15
; %bb.16:
	s_or_b64 exec, exec, s[14:15]
.LBB122_17:
	s_or_b64 exec, exec, s[10:11]
	v_cmp_lt_u32_e32 vcc, 47, v0
	s_and_saveexec_b64 s[2:3], vcc
	s_cbranch_execz .LBB122_21
; %bb.18:
	s_mov_b64 s[10:11], 0
	v_mov_b32_e32 v22, s13
	v_mov_b32_e32 v42, s7
.LBB122_19:                             ; =>This Inner Loop Header: Depth=1
	v_ashrrev_i32_e32 v26, 31, v25
	v_lshlrev_b64 v[12:13], 2, v[25:26]
	global_load_dwordx4 v[0:3], v[27:28], off offset:32
	global_load_dwordx4 v[4:7], v[27:28], off offset:16
	global_load_dwordx4 v[8:11], v[27:28], off
	v_add_co_u32_e32 v29, vcc, s12, v12
	v_addc_co_u32_e32 v30, vcc, v22, v13, vcc
	global_load_dword v12, v[29:30], off
	global_load_dwordx4 v[43:46], v[27:28], off offset:48
	v_add_u32_e32 v25, 64, v25
	s_waitcnt vmcnt(1)
	v_subrev_u32_e32 v12, s16, v12
	v_lshlrev_b32_e32 v12, 2, v12
	v_ashrrev_i32_e32 v13, 31, v12
	v_lshlrev_b64 v[12:13], 3, v[12:13]
	v_add_co_u32_e32 v47, vcc, s6, v12
	v_addc_co_u32_e32 v48, vcc, v42, v13, vcc
	global_load_dwordx4 v[12:15], v[47:48], off
	s_waitcnt vmcnt(0)
	v_fmac_f32_e32 v40, v8, v12
	v_fmac_f32_e32 v35, 0, v12
	;; [unrolled: 1-line block ×32, first 2 shown]
	global_load_dwordx4 v[12:15], v[47:48], off offset:16
	s_waitcnt vmcnt(0)
	v_fmac_f32_e32 v40, v10, v12
	v_fmac_f32_e32 v35, 0, v12
	;; [unrolled: 1-line block ×8, first 2 shown]
	global_load_dword v12, v[29:30], off offset:64
	v_fmac_f32_e32 v40, 0x80000000, v13
	v_fmac_f32_e32 v35, v10, v13
	;; [unrolled: 1-line block ×17, first 2 shown]
	global_load_dwordx4 v[8:11], v[27:28], off offset:1056
	v_fmac_f32_e32 v37, v7, v15
	global_load_dwordx4 v[4:7], v[27:28], off offset:1040
	v_fmac_f32_e32 v36, v3, v15
	;; [unrolled: 2-line block ×3, first 2 shown]
	v_fmac_f32_e32 v40, 0x80000000, v15
	v_fmac_f32_e32 v39, 0x80000000, v15
	;; [unrolled: 1-line block ×4, first 2 shown]
	global_load_dwordx4 v[43:46], v[27:28], off offset:1072
	s_waitcnt vmcnt(4)
	v_subrev_u32_e32 v12, s16, v12
	v_lshlrev_b32_e32 v12, 2, v12
	v_ashrrev_i32_e32 v13, 31, v12
	v_lshlrev_b64 v[12:13], 3, v[12:13]
	v_add_co_u32_e32 v47, vcc, s6, v12
	v_addc_co_u32_e32 v48, vcc, v42, v13, vcc
	global_load_dwordx4 v[12:15], v[47:48], off
	s_waitcnt vmcnt(0)
	v_fmac_f32_e32 v40, v0, v12
	v_fmac_f32_e32 v35, 0, v12
	v_fmac_f32_e32 v39, v4, v12
	v_fmac_f32_e32 v37, 0, v12
	v_fmac_f32_e32 v38, v8, v12
	v_fmac_f32_e32 v36, 0, v12
	v_fmac_f32_e32 v32, v43, v12
	v_fmac_f32_e32 v34, 0, v12
	v_fmac_f32_e32 v40, 0x80000000, v13
	v_fmac_f32_e32 v35, v0, v13
	v_fmac_f32_e32 v39, 0x80000000, v13
	v_fmac_f32_e32 v37, v4, v13
	v_fmac_f32_e32 v38, 0x80000000, v13
	v_fmac_f32_e32 v36, v8, v13
	v_fmac_f32_e32 v32, 0x80000000, v13
	v_fmac_f32_e32 v34, v43, v13
	v_fmac_f32_e32 v40, v1, v14
	v_fmac_f32_e32 v35, 0, v14
	v_fmac_f32_e32 v39, v5, v14
	v_fmac_f32_e32 v37, 0, v14
	v_fmac_f32_e32 v38, v9, v14
	v_fmac_f32_e32 v36, 0, v14
	v_fmac_f32_e32 v32, v44, v14
	v_fmac_f32_e32 v34, 0, v14
	v_fmac_f32_e32 v40, 0x80000000, v15
	v_fmac_f32_e32 v35, v1, v15
	v_fmac_f32_e32 v39, 0x80000000, v15
	v_fmac_f32_e32 v37, v5, v15
	v_fmac_f32_e32 v38, 0x80000000, v15
	v_fmac_f32_e32 v36, v9, v15
	v_fmac_f32_e32 v32, 0x80000000, v15
	v_fmac_f32_e32 v34, v44, v15
	global_load_dwordx4 v[12:15], v[47:48], off offset:16
	s_waitcnt vmcnt(0)
	v_fmac_f32_e32 v40, v2, v12
	v_fmac_f32_e32 v35, 0, v12
	;; [unrolled: 1-line block ×8, first 2 shown]
	global_load_dword v12, v[29:30], off offset:128
	v_fmac_f32_e32 v40, 0x80000000, v13
	v_fmac_f32_e32 v35, v2, v13
	v_fmac_f32_e32 v39, 0x80000000, v13
	v_fmac_f32_e32 v37, v6, v13
	v_fmac_f32_e32 v38, 0x80000000, v13
	v_fmac_f32_e32 v36, v10, v13
	v_fmac_f32_e32 v32, 0x80000000, v13
	v_fmac_f32_e32 v34, v45, v13
	v_fmac_f32_e32 v34, 0, v14
	v_fmac_f32_e32 v35, 0, v14
	v_fmac_f32_e32 v32, v46, v14
	v_fmac_f32_e32 v34, v46, v15
	v_fmac_f32_e32 v40, v3, v14
	v_fmac_f32_e32 v35, v3, v15
	global_load_dwordx4 v[0:3], v[27:28], off offset:2080
	v_fmac_f32_e32 v39, v7, v14
	v_fmac_f32_e32 v37, 0, v14
	;; [unrolled: 1-line block ×5, first 2 shown]
	global_load_dwordx4 v[4:7], v[27:28], off offset:2064
	v_fmac_f32_e32 v36, v11, v15
	global_load_dwordx4 v[8:11], v[27:28], off offset:2048
	v_fmac_f32_e32 v40, 0x80000000, v15
	v_fmac_f32_e32 v39, 0x80000000, v15
	;; [unrolled: 1-line block ×4, first 2 shown]
	s_waitcnt vmcnt(3)
	v_subrev_u32_e32 v12, s16, v12
	v_lshlrev_b32_e32 v12, 2, v12
	v_ashrrev_i32_e32 v13, 31, v12
	v_lshlrev_b64 v[12:13], 3, v[12:13]
	v_add_co_u32_e32 v47, vcc, s6, v12
	v_addc_co_u32_e32 v48, vcc, v42, v13, vcc
	global_load_dwordx4 v[43:46], v[47:48], off
	global_load_dwordx4 v[12:15], v[27:28], off offset:2096
	s_waitcnt vmcnt(1)
	v_fmac_f32_e32 v36, 0, v43
	v_fmac_f32_e32 v38, v0, v43
	;; [unrolled: 1-line block ×3, first 2 shown]
	global_load_dword v0, v[29:30], off offset:192
	v_fmac_f32_e32 v40, v8, v43
	v_fmac_f32_e32 v35, 0, v43
	;; [unrolled: 1-line block ×4, first 2 shown]
	s_waitcnt vmcnt(1)
	v_fmac_f32_e32 v32, v12, v43
	v_fmac_f32_e32 v34, 0, v43
	;; [unrolled: 1-line block ×25, first 2 shown]
	global_load_dwordx4 v[43:46], v[47:48], off offset:16
	s_waitcnt vmcnt(1)
	v_subrev_u32_e32 v0, s16, v0
	v_lshlrev_b32_e32 v0, 2, v0
	v_ashrrev_i32_e32 v1, 31, v0
	v_lshlrev_b64 v[0:1], 3, v[0:1]
	v_add_co_u32_e32 v29, vcc, s6, v0
	v_addc_co_u32_e32 v30, vcc, v42, v1, vcc
	s_waitcnt vmcnt(0)
	v_fmac_f32_e32 v40, v10, v43
	v_fmac_f32_e32 v35, 0, v43
	;; [unrolled: 1-line block ×25, first 2 shown]
	global_load_dwordx4 v[8:11], v[27:28], off offset:3120
	v_fmac_f32_e32 v37, v7, v46
	global_load_dwordx4 v[4:7], v[27:28], off offset:3104
	v_fmac_f32_e32 v36, v3, v46
	;; [unrolled: 2-line block ×4, first 2 shown]
	v_fmac_f32_e32 v39, 0x80000000, v46
	v_fmac_f32_e32 v38, 0x80000000, v46
	;; [unrolled: 1-line block ×3, first 2 shown]
	global_load_dwordx4 v[43:46], v[29:30], off
	v_add_co_u32_e32 v27, vcc, 0x1000, v27
	v_addc_co_u32_e32 v28, vcc, 0, v28, vcc
	v_cmp_ge_i32_e32 vcc, v25, v33
	s_or_b64 s[10:11], vcc, s[10:11]
	s_waitcnt vmcnt(0)
	v_fmac_f32_e32 v40, v12, v43
	v_fmac_f32_e32 v35, 0, v43
	;; [unrolled: 1-line block ×32, first 2 shown]
	global_load_dwordx4 v[43:46], v[29:30], off offset:16
	s_waitcnt vmcnt(0)
	v_fmac_f32_e32 v40, v14, v43
	v_fmac_f32_e32 v35, 0, v43
	;; [unrolled: 1-line block ×32, first 2 shown]
	s_andn2_b64 exec, exec, s[10:11]
	s_cbranch_execnz .LBB122_19
; %bb.20:
	s_or_b64 exec, exec, s[10:11]
.LBB122_21:
	s_or_b64 exec, exec, s[2:3]
.LBB122_22:
	s_or_b64 exec, exec, s[8:9]
	s_cbranch_execz .LBB122_24
	s_branch .LBB122_35
.LBB122_23:
                                        ; implicit-def: $vgpr35
                                        ; implicit-def: $vgpr40
                                        ; implicit-def: $vgpr37
                                        ; implicit-def: $vgpr39
                                        ; implicit-def: $vgpr36
                                        ; implicit-def: $vgpr38
                                        ; implicit-def: $vgpr34
                                        ; implicit-def: $vgpr32
.LBB122_24:
	v_mov_b32_e32 v35, 0
	v_mov_b32_e32 v40, 0
	;; [unrolled: 1-line block ×8, first 2 shown]
	s_and_saveexec_b64 s[2:3], s[0:1]
	s_cbranch_execz .LBB122_34
; %bb.25:
	v_add_u32_e32 v0, v41, v31
	v_subrev_u32_e32 v0, s16, v0
	v_add_u32_e32 v0, 16, v0
	v_max_i32_e32 v0, v0, v33
	v_not_b32_e32 v1, v41
	v_add3_u32 v0, s16, v0, v1
	v_sub_u32_e32 v0, v0, v31
	v_and_b32_e32 v1, 48, v0
	v_cmp_ne_u32_e32 vcc, 48, v1
	v_mov_b32_e32 v32, 0
	v_mov_b32_e32 v34, 0
	;; [unrolled: 1-line block ×8, first 2 shown]
	s_and_saveexec_b64 s[8:9], vcc
	s_cbranch_execz .LBB122_29
; %bb.26:
	v_lshrrev_b32_e32 v1, 4, v0
	v_add_u32_e32 v1, 1, v1
	v_and_b32_e32 v1, 3, v1
	v_sub_u32_e32 v1, 0, v1
	v_mov_b32_e32 v35, 0
	s_mov_b64 s[10:11], 0
	v_mov_b32_e32 v2, s13
	v_mov_b32_e32 v3, s7
	;; [unrolled: 1-line block ×9, first 2 shown]
.LBB122_27:                             ; =>This Inner Loop Header: Depth=1
	v_ashrrev_i32_e32 v22, 31, v21
	v_lshlrev_b64 v[4:5], 2, v[21:22]
	v_add_co_u32_e64 v1, s[0:1], 1, v1
	v_add_co_u32_e32 v25, vcc, s12, v4
	v_addc_co_u32_e32 v26, vcc, v2, v5, vcc
	global_load_dword v22, v[25:26], off
	global_load_dwordx4 v[4:7], v[23:24], off offset:32
	global_load_dwordx4 v[8:11], v[23:24], off offset:16
	global_load_dwordx4 v[12:15], v[23:24], off
	v_add_u32_e32 v21, 16, v21
	s_or_b64 s[10:11], s[0:1], s[10:11]
	s_waitcnt vmcnt(3)
	v_subrev_u32_e32 v22, s16, v22
	v_lshlrev_b32_e32 v25, 2, v22
	v_ashrrev_i32_e32 v26, 31, v25
	v_lshlrev_b64 v[25:26], 3, v[25:26]
	v_add_co_u32_e32 v29, vcc, s6, v25
	v_addc_co_u32_e32 v30, vcc, v3, v26, vcc
	global_load_dwordx4 v[25:28], v[29:30], off
	global_load_dwordx4 v[41:44], v[29:30], off offset:16
	global_load_dwordx4 v[45:48], v[23:24], off offset:48
	v_add_co_u32_e32 v23, vcc, 0x400, v23
	v_addc_co_u32_e32 v24, vcc, 0, v24, vcc
	s_waitcnt vmcnt(2)
	v_fmac_f32_e32 v40, v12, v25
	v_fmac_f32_e32 v35, 0, v25
	;; [unrolled: 1-line block ×32, first 2 shown]
	s_waitcnt vmcnt(1)
	v_fmac_f32_e32 v40, v4, v41
	v_fmac_f32_e32 v35, 0, v41
	;; [unrolled: 1-line block ×16, first 2 shown]
	s_waitcnt vmcnt(0)
	v_fmac_f32_e32 v40, v45, v43
	v_fmac_f32_e32 v35, 0, v43
	;; [unrolled: 1-line block ×16, first 2 shown]
	s_andn2_b64 exec, exec, s[10:11]
	s_cbranch_execnz .LBB122_27
; %bb.28:
	s_or_b64 exec, exec, s[10:11]
.LBB122_29:
	s_or_b64 exec, exec, s[8:9]
	v_cmp_lt_u32_e32 vcc, 47, v0
	s_and_saveexec_b64 s[0:1], vcc
	s_cbranch_execz .LBB122_33
; %bb.30:
	s_mov_b64 s[8:9], 0
	v_mov_b32_e32 v10, s13
	v_mov_b32_e32 v11, s7
.LBB122_31:                             ; =>This Inner Loop Header: Depth=1
	v_ashrrev_i32_e32 v22, 31, v21
	v_lshlrev_b64 v[4:5], 2, v[21:22]
	global_load_dwordx4 v[0:3], v[23:24], off offset:48
	global_load_dwordx4 v[12:15], v[23:24], off offset:16
	global_load_dwordx4 v[25:28], v[23:24], off
	v_add_co_u32_e32 v8, vcc, s12, v4
	v_addc_co_u32_e32 v9, vcc, v10, v5, vcc
	global_load_dword v4, v[8:9], off
	v_add_u32_e32 v21, 64, v21
	s_waitcnt vmcnt(0)
	v_subrev_u32_e32 v4, s16, v4
	v_lshlrev_b32_e32 v4, 2, v4
	v_ashrrev_i32_e32 v5, 31, v4
	v_lshlrev_b64 v[4:5], 3, v[4:5]
	v_add_co_u32_e32 v4, vcc, s6, v4
	v_addc_co_u32_e32 v5, vcc, v11, v5, vcc
	global_load_dwordx4 v[41:44], v[4:5], off
	s_waitcnt vmcnt(0)
	v_fmac_f32_e32 v40, v25, v41
	v_fmac_f32_e32 v35, 0, v41
	;; [unrolled: 1-line block ×24, first 2 shown]
	global_load_dwordx4 v[25:28], v[23:24], off offset:32
	v_fmac_f32_e32 v35, v12, v44
	v_fmac_f32_e32 v37, v13, v44
	;; [unrolled: 1-line block ×4, first 2 shown]
	global_load_dwordx4 v[12:15], v[23:24], off offset:1072
	v_fmac_f32_e32 v40, 0x80000000, v44
	v_fmac_f32_e32 v39, 0x80000000, v44
	;; [unrolled: 1-line block ×4, first 2 shown]
	global_load_dwordx4 v[41:44], v[23:24], off offset:1040
	global_load_dwordx4 v[45:48], v[4:5], off offset:16
	s_waitcnt vmcnt(0)
	v_fmac_f32_e32 v35, 0, v45
	v_fmac_f32_e32 v40, v25, v45
	;; [unrolled: 1-line block ×7, first 2 shown]
	global_load_dword v0, v[8:9], off offset:64
	v_fmac_f32_e32 v37, 0, v45
	v_fmac_f32_e32 v39, v26, v45
	;; [unrolled: 1-line block ×17, first 2 shown]
	global_load_dwordx4 v[4:7], v[23:24], off offset:1024
	global_load_dwordx4 v[25:28], v[23:24], off offset:2096
	v_fmac_f32_e32 v38, v2, v47
	v_fmac_f32_e32 v32, v3, v47
	;; [unrolled: 1-line block ×8, first 2 shown]
	s_waitcnt vmcnt(2)
	v_subrev_u32_e32 v0, s16, v0
	v_lshlrev_b32_e32 v0, 2, v0
	v_ashrrev_i32_e32 v1, 31, v0
	v_lshlrev_b64 v[0:1], 3, v[0:1]
	v_add_co_u32_e32 v29, vcc, s6, v0
	v_addc_co_u32_e32 v30, vcc, v11, v1, vcc
	global_load_dwordx4 v[0:3], v[29:30], off
	s_waitcnt vmcnt(0)
	v_fmac_f32_e32 v40, v4, v0
	v_fmac_f32_e32 v35, 0, v0
	;; [unrolled: 1-line block ×24, first 2 shown]
	global_load_dwordx4 v[4:7], v[23:24], off offset:1056
	v_fmac_f32_e32 v35, v41, v3
	v_fmac_f32_e32 v37, v42, v3
	;; [unrolled: 1-line block ×8, first 2 shown]
	global_load_dwordx4 v[0:3], v[23:24], off offset:2064
	global_load_dwordx4 v[41:44], v[29:30], off offset:16
	s_waitcnt vmcnt(0)
	v_fmac_f32_e32 v35, 0, v41
	v_fmac_f32_e32 v40, v4, v41
	;; [unrolled: 1-line block ×7, first 2 shown]
	global_load_dword v12, v[8:9], off offset:128
	v_fmac_f32_e32 v37, 0, v41
	v_fmac_f32_e32 v39, v5, v41
	;; [unrolled: 1-line block ×21, first 2 shown]
	global_load_dwordx4 v[4:7], v[23:24], off offset:2048
	v_fmac_f32_e32 v40, 0x80000000, v44
	v_fmac_f32_e32 v39, 0x80000000, v44
	;; [unrolled: 1-line block ×4, first 2 shown]
	global_load_dwordx4 v[41:44], v[23:24], off offset:2080
	s_waitcnt vmcnt(2)
	v_subrev_u32_e32 v12, s16, v12
	v_lshlrev_b32_e32 v12, 2, v12
	v_ashrrev_i32_e32 v13, 31, v12
	v_lshlrev_b64 v[12:13], 3, v[12:13]
	v_add_co_u32_e32 v29, vcc, s6, v12
	v_addc_co_u32_e32 v30, vcc, v11, v13, vcc
	global_load_dwordx4 v[12:15], v[29:30], off
	s_waitcnt vmcnt(0)
	v_fmac_f32_e32 v35, 0, v12
	v_fmac_f32_e32 v37, 0, v12
	;; [unrolled: 1-line block ×28, first 2 shown]
	global_load_dwordx4 v[0:3], v[23:24], off offset:3104
	global_load_dwordx4 v[4:7], v[23:24], off offset:3088
	global_load_dword v12, v[8:9], off offset:192
	v_fmac_f32_e32 v40, 0x80000000, v15
	v_fmac_f32_e32 v39, 0x80000000, v15
	;; [unrolled: 1-line block ×4, first 2 shown]
	s_waitcnt vmcnt(0)
	v_subrev_u32_e32 v8, s16, v12
	global_load_dwordx4 v[12:15], v[29:30], off offset:16
	v_lshlrev_b32_e32 v8, 2, v8
	v_ashrrev_i32_e32 v9, 31, v8
	v_lshlrev_b64 v[8:9], 3, v[8:9]
	v_add_co_u32_e32 v8, vcc, s6, v8
	v_addc_co_u32_e32 v9, vcc, v11, v9, vcc
	s_waitcnt vmcnt(0)
	v_fmac_f32_e32 v35, 0, v12
	v_fmac_f32_e32 v37, 0, v12
	;; [unrolled: 1-line block ×28, first 2 shown]
	global_load_dwordx4 v[25:28], v[8:9], off
	global_load_dwordx4 v[41:44], v[23:24], off offset:3072
	v_fmac_f32_e32 v40, 0x80000000, v15
	v_fmac_f32_e32 v39, 0x80000000, v15
	;; [unrolled: 1-line block ×4, first 2 shown]
	global_load_dwordx4 v[12:15], v[8:9], off offset:16
	s_waitcnt vmcnt(2)
	v_fmac_f32_e32 v35, 0, v25
	v_fmac_f32_e32 v37, 0, v25
	;; [unrolled: 1-line block ×4, first 2 shown]
	s_waitcnt vmcnt(1)
	v_fmac_f32_e32 v40, v41, v25
	v_fmac_f32_e32 v39, v42, v25
	;; [unrolled: 1-line block ×8, first 2 shown]
	global_load_dwordx4 v[41:44], v[23:24], off offset:3120
	v_fmac_f32_e32 v40, 0x80000000, v26
	v_fmac_f32_e32 v39, 0x80000000, v26
	;; [unrolled: 1-line block ×20, first 2 shown]
	v_add_co_u32_e32 v23, vcc, 0x1000, v23
	s_waitcnt vmcnt(1)
	v_fmac_f32_e32 v40, v0, v12
	v_fmac_f32_e32 v35, 0, v12
	;; [unrolled: 1-line block ×8, first 2 shown]
	v_addc_co_u32_e32 v24, vcc, 0, v24, vcc
	v_fmac_f32_e32 v40, 0x80000000, v13
	v_fmac_f32_e32 v35, v0, v13
	;; [unrolled: 1-line block ×8, first 2 shown]
	v_cmp_ge_i32_e32 vcc, v21, v33
	v_fmac_f32_e32 v35, 0, v14
	v_fmac_f32_e32 v37, 0, v14
	;; [unrolled: 1-line block ×4, first 2 shown]
	s_or_b64 s[8:9], vcc, s[8:9]
	s_waitcnt vmcnt(0)
	v_fmac_f32_e32 v40, v41, v14
	v_fmac_f32_e32 v39, v42, v14
	;; [unrolled: 1-line block ×12, first 2 shown]
	s_andn2_b64 exec, exec, s[8:9]
	s_cbranch_execnz .LBB122_31
; %bb.32:
	s_or_b64 exec, exec, s[8:9]
.LBB122_33:
	s_or_b64 exec, exec, s[0:1]
.LBB122_34:
	s_or_b64 exec, exec, s[2:3]
.LBB122_35:
	v_mov_b32_dpp v0, v40 row_shr:1 row_mask:0xf bank_mask:0xf
	v_mov_b32_dpp v2, v35 row_shr:1 row_mask:0xf bank_mask:0xf
	v_mov_b32_dpp v4, v39 row_shr:1 row_mask:0xf bank_mask:0xf
	v_mov_b32_dpp v6, v37 row_shr:1 row_mask:0xf bank_mask:0xf
	v_mov_b32_dpp v8, v38 row_shr:1 row_mask:0xf bank_mask:0xf
	v_mov_b32_dpp v10, v36 row_shr:1 row_mask:0xf bank_mask:0xf
	v_mov_b32_dpp v12, v32 row_shr:1 row_mask:0xf bank_mask:0xf
	v_mov_b32_dpp v14, v34 row_shr:1 row_mask:0xf bank_mask:0xf
	v_add_f32_e32 v0, v40, v0
	v_add_f32_e32 v2, v35, v2
	v_add_f32_e32 v4, v39, v4
	v_add_f32_e32 v6, v37, v6
	v_add_f32_e32 v8, v38, v8
	v_add_f32_e32 v10, v36, v10
	v_add_f32_e32 v12, v32, v12
	v_add_f32_e32 v14, v34, v14
	v_mov_b32_dpp v1, v0 row_shr:2 row_mask:0xf bank_mask:0xf
	v_mov_b32_dpp v3, v2 row_shr:2 row_mask:0xf bank_mask:0xf
	v_mov_b32_dpp v5, v4 row_shr:2 row_mask:0xf bank_mask:0xf
	v_mov_b32_dpp v7, v6 row_shr:2 row_mask:0xf bank_mask:0xf
	v_mov_b32_dpp v9, v8 row_shr:2 row_mask:0xf bank_mask:0xf
	v_mov_b32_dpp v11, v10 row_shr:2 row_mask:0xf bank_mask:0xf
	v_mov_b32_dpp v13, v12 row_shr:2 row_mask:0xf bank_mask:0xf
	v_mov_b32_dpp v15, v14 row_shr:2 row_mask:0xf bank_mask:0xf
	v_add_f32_e32 v0, v0, v1
	v_add_f32_e32 v2, v2, v3
	v_add_f32_e32 v4, v4, v5
	v_add_f32_e32 v6, v6, v7
	v_add_f32_e32 v8, v8, v9
	v_add_f32_e32 v10, v10, v11
	v_add_f32_e32 v12, v12, v13
	v_add_f32_e32 v14, v14, v15
	;; [unrolled: 16-line block ×3, first 2 shown]
	v_mov_b32_dpp v1, v0 row_shr:8 row_mask:0xf bank_mask:0xc
	v_mov_b32_dpp v3, v2 row_shr:8 row_mask:0xf bank_mask:0xc
	;; [unrolled: 1-line block ×8, first 2 shown]
	v_cmp_eq_u32_e32 vcc, 15, v31
	s_and_b64 exec, exec, vcc
	s_cbranch_execz .LBB122_8
; %bb.36:
	s_load_dwordx2 s[2:3], s[4:5], 0x50
	v_add_f32_e32 v21, v0, v1
	v_add_f32_e32 v0, v2, v3
	;; [unrolled: 1-line block ×8, first 2 shown]
	v_cmp_eq_f32_e32 vcc, 0, v16
	v_cmp_eq_f32_e64 s[0:1], 0, v17
	v_mul_f32_e64 v4, v0, -v19
	v_mul_f32_e32 v5, v18, v0
	v_mul_f32_e64 v6, v1, -v19
	v_mul_f32_e32 v7, v18, v1
	;; [unrolled: 2-line block ×4, first 2 shown]
	s_and_b64 s[0:1], vcc, s[0:1]
	v_fmac_f32_e32 v4, v18, v21
	v_fmac_f32_e32 v5, v19, v21
	v_lshlrev_b32_e32 v8, 2, v20
	v_fmac_f32_e32 v6, v18, v22
	v_fmac_f32_e32 v7, v19, v22
	;; [unrolled: 1-line block ×6, first 2 shown]
	s_and_saveexec_b64 s[4:5], s[0:1]
	s_xor_b64 s[0:1], exec, s[4:5]
	s_cbranch_execz .LBB122_38
; %bb.37:
	v_ashrrev_i32_e32 v9, 31, v8
	v_lshlrev_b64 v[8:9], 3, v[8:9]
	s_waitcnt lgkmcnt(0)
	v_mov_b32_e32 v10, s3
	v_add_co_u32_e32 v8, vcc, s2, v8
	v_addc_co_u32_e32 v9, vcc, v10, v9, vcc
	global_store_dwordx4 v[8:9], v[4:7], off
	global_store_dwordx4 v[8:9], v[0:3], off offset:16
                                        ; implicit-def: $vgpr16_vgpr17
                                        ; implicit-def: $vgpr4
                                        ; implicit-def: $vgpr8
                                        ; implicit-def: $vgpr0
.LBB122_38:
	s_andn2_saveexec_b64 s[0:1], s[0:1]
	s_cbranch_execz .LBB122_8
; %bb.39:
	v_ashrrev_i32_e32 v9, 31, v8
	v_lshlrev_b64 v[8:9], 3, v[8:9]
	s_waitcnt lgkmcnt(0)
	v_mov_b32_e32 v10, s3
	v_add_co_u32_e32 v18, vcc, s2, v8
	v_addc_co_u32_e32 v19, vcc, v10, v9, vcc
	global_load_dwordx4 v[8:11], v[18:19], off
	global_load_dwordx4 v[12:15], v[18:19], off offset:16
	s_waitcnt vmcnt(1)
	v_fmac_f32_e32 v4, v16, v8
	v_fmac_f32_e32 v5, v17, v8
	v_fmac_f32_e32 v6, v16, v10
	v_fmac_f32_e32 v7, v17, v10
	s_waitcnt vmcnt(0)
	v_fmac_f32_e32 v0, v16, v12
	v_fmac_f32_e32 v1, v17, v12
	;; [unrolled: 1-line block ×4, first 2 shown]
	v_fma_f32 v4, -v17, v9, v4
	v_fmac_f32_e32 v5, v16, v9
	v_fma_f32 v6, -v17, v11, v6
	v_fmac_f32_e32 v7, v16, v11
	;; [unrolled: 2-line block ×4, first 2 shown]
	global_store_dwordx4 v[18:19], v[4:7], off
	global_store_dwordx4 v[18:19], v[0:3], off offset:16
	s_endpgm
	.section	.rodata,"a",@progbits
	.p2align	6, 0x0
	.amdhsa_kernel _ZN9rocsparseL18bsrxmvn_4x4_kernelILj128ELj16E21rocsparse_complex_numIfEiifS2_S2_EEvT3_20rocsparse_direction_NS_24const_host_device_scalarIT1_EES3_PKS3_PKT2_SC_S9_PKT4_PKT5_S7_PT6_21rocsparse_index_base_b
		.amdhsa_group_segment_fixed_size 0
		.amdhsa_private_segment_fixed_size 0
		.amdhsa_kernarg_size 96
		.amdhsa_user_sgpr_count 6
		.amdhsa_user_sgpr_private_segment_buffer 1
		.amdhsa_user_sgpr_dispatch_ptr 0
		.amdhsa_user_sgpr_queue_ptr 0
		.amdhsa_user_sgpr_kernarg_segment_ptr 1
		.amdhsa_user_sgpr_dispatch_id 0
		.amdhsa_user_sgpr_flat_scratch_init 0
		.amdhsa_user_sgpr_private_segment_size 0
		.amdhsa_uses_dynamic_stack 0
		.amdhsa_system_sgpr_private_segment_wavefront_offset 0
		.amdhsa_system_sgpr_workgroup_id_x 1
		.amdhsa_system_sgpr_workgroup_id_y 0
		.amdhsa_system_sgpr_workgroup_id_z 0
		.amdhsa_system_sgpr_workgroup_info 0
		.amdhsa_system_vgpr_workitem_id 0
		.amdhsa_next_free_vgpr 54
		.amdhsa_next_free_sgpr 18
		.amdhsa_reserve_vcc 1
		.amdhsa_reserve_flat_scratch 0
		.amdhsa_float_round_mode_32 0
		.amdhsa_float_round_mode_16_64 0
		.amdhsa_float_denorm_mode_32 3
		.amdhsa_float_denorm_mode_16_64 3
		.amdhsa_dx10_clamp 1
		.amdhsa_ieee_mode 1
		.amdhsa_fp16_overflow 0
		.amdhsa_exception_fp_ieee_invalid_op 0
		.amdhsa_exception_fp_denorm_src 0
		.amdhsa_exception_fp_ieee_div_zero 0
		.amdhsa_exception_fp_ieee_overflow 0
		.amdhsa_exception_fp_ieee_underflow 0
		.amdhsa_exception_fp_ieee_inexact 0
		.amdhsa_exception_int_div_zero 0
	.end_amdhsa_kernel
	.section	.text._ZN9rocsparseL18bsrxmvn_4x4_kernelILj128ELj16E21rocsparse_complex_numIfEiifS2_S2_EEvT3_20rocsparse_direction_NS_24const_host_device_scalarIT1_EES3_PKS3_PKT2_SC_S9_PKT4_PKT5_S7_PT6_21rocsparse_index_base_b,"axG",@progbits,_ZN9rocsparseL18bsrxmvn_4x4_kernelILj128ELj16E21rocsparse_complex_numIfEiifS2_S2_EEvT3_20rocsparse_direction_NS_24const_host_device_scalarIT1_EES3_PKS3_PKT2_SC_S9_PKT4_PKT5_S7_PT6_21rocsparse_index_base_b,comdat
.Lfunc_end122:
	.size	_ZN9rocsparseL18bsrxmvn_4x4_kernelILj128ELj16E21rocsparse_complex_numIfEiifS2_S2_EEvT3_20rocsparse_direction_NS_24const_host_device_scalarIT1_EES3_PKS3_PKT2_SC_S9_PKT4_PKT5_S7_PT6_21rocsparse_index_base_b, .Lfunc_end122-_ZN9rocsparseL18bsrxmvn_4x4_kernelILj128ELj16E21rocsparse_complex_numIfEiifS2_S2_EEvT3_20rocsparse_direction_NS_24const_host_device_scalarIT1_EES3_PKS3_PKT2_SC_S9_PKT4_PKT5_S7_PT6_21rocsparse_index_base_b
                                        ; -- End function
	.set _ZN9rocsparseL18bsrxmvn_4x4_kernelILj128ELj16E21rocsparse_complex_numIfEiifS2_S2_EEvT3_20rocsparse_direction_NS_24const_host_device_scalarIT1_EES3_PKS3_PKT2_SC_S9_PKT4_PKT5_S7_PT6_21rocsparse_index_base_b.num_vgpr, 54
	.set _ZN9rocsparseL18bsrxmvn_4x4_kernelILj128ELj16E21rocsparse_complex_numIfEiifS2_S2_EEvT3_20rocsparse_direction_NS_24const_host_device_scalarIT1_EES3_PKS3_PKT2_SC_S9_PKT4_PKT5_S7_PT6_21rocsparse_index_base_b.num_agpr, 0
	.set _ZN9rocsparseL18bsrxmvn_4x4_kernelILj128ELj16E21rocsparse_complex_numIfEiifS2_S2_EEvT3_20rocsparse_direction_NS_24const_host_device_scalarIT1_EES3_PKS3_PKT2_SC_S9_PKT4_PKT5_S7_PT6_21rocsparse_index_base_b.numbered_sgpr, 18
	.set _ZN9rocsparseL18bsrxmvn_4x4_kernelILj128ELj16E21rocsparse_complex_numIfEiifS2_S2_EEvT3_20rocsparse_direction_NS_24const_host_device_scalarIT1_EES3_PKS3_PKT2_SC_S9_PKT4_PKT5_S7_PT6_21rocsparse_index_base_b.num_named_barrier, 0
	.set _ZN9rocsparseL18bsrxmvn_4x4_kernelILj128ELj16E21rocsparse_complex_numIfEiifS2_S2_EEvT3_20rocsparse_direction_NS_24const_host_device_scalarIT1_EES3_PKS3_PKT2_SC_S9_PKT4_PKT5_S7_PT6_21rocsparse_index_base_b.private_seg_size, 0
	.set _ZN9rocsparseL18bsrxmvn_4x4_kernelILj128ELj16E21rocsparse_complex_numIfEiifS2_S2_EEvT3_20rocsparse_direction_NS_24const_host_device_scalarIT1_EES3_PKS3_PKT2_SC_S9_PKT4_PKT5_S7_PT6_21rocsparse_index_base_b.uses_vcc, 1
	.set _ZN9rocsparseL18bsrxmvn_4x4_kernelILj128ELj16E21rocsparse_complex_numIfEiifS2_S2_EEvT3_20rocsparse_direction_NS_24const_host_device_scalarIT1_EES3_PKS3_PKT2_SC_S9_PKT4_PKT5_S7_PT6_21rocsparse_index_base_b.uses_flat_scratch, 0
	.set _ZN9rocsparseL18bsrxmvn_4x4_kernelILj128ELj16E21rocsparse_complex_numIfEiifS2_S2_EEvT3_20rocsparse_direction_NS_24const_host_device_scalarIT1_EES3_PKS3_PKT2_SC_S9_PKT4_PKT5_S7_PT6_21rocsparse_index_base_b.has_dyn_sized_stack, 0
	.set _ZN9rocsparseL18bsrxmvn_4x4_kernelILj128ELj16E21rocsparse_complex_numIfEiifS2_S2_EEvT3_20rocsparse_direction_NS_24const_host_device_scalarIT1_EES3_PKS3_PKT2_SC_S9_PKT4_PKT5_S7_PT6_21rocsparse_index_base_b.has_recursion, 0
	.set _ZN9rocsparseL18bsrxmvn_4x4_kernelILj128ELj16E21rocsparse_complex_numIfEiifS2_S2_EEvT3_20rocsparse_direction_NS_24const_host_device_scalarIT1_EES3_PKS3_PKT2_SC_S9_PKT4_PKT5_S7_PT6_21rocsparse_index_base_b.has_indirect_call, 0
	.section	.AMDGPU.csdata,"",@progbits
; Kernel info:
; codeLenInByte = 6080
; TotalNumSgprs: 22
; NumVgprs: 54
; ScratchSize: 0
; MemoryBound: 0
; FloatMode: 240
; IeeeMode: 1
; LDSByteSize: 0 bytes/workgroup (compile time only)
; SGPRBlocks: 2
; VGPRBlocks: 13
; NumSGPRsForWavesPerEU: 22
; NumVGPRsForWavesPerEU: 54
; Occupancy: 4
; WaveLimiterHint : 1
; COMPUTE_PGM_RSRC2:SCRATCH_EN: 0
; COMPUTE_PGM_RSRC2:USER_SGPR: 6
; COMPUTE_PGM_RSRC2:TRAP_HANDLER: 0
; COMPUTE_PGM_RSRC2:TGID_X_EN: 1
; COMPUTE_PGM_RSRC2:TGID_Y_EN: 0
; COMPUTE_PGM_RSRC2:TGID_Z_EN: 0
; COMPUTE_PGM_RSRC2:TIDIG_COMP_CNT: 0
	.section	.text._ZN9rocsparseL18bsrxmvn_4x4_kernelILj128ELj32E21rocsparse_complex_numIfEiifS2_S2_EEvT3_20rocsparse_direction_NS_24const_host_device_scalarIT1_EES3_PKS3_PKT2_SC_S9_PKT4_PKT5_S7_PT6_21rocsparse_index_base_b,"axG",@progbits,_ZN9rocsparseL18bsrxmvn_4x4_kernelILj128ELj32E21rocsparse_complex_numIfEiifS2_S2_EEvT3_20rocsparse_direction_NS_24const_host_device_scalarIT1_EES3_PKS3_PKT2_SC_S9_PKT4_PKT5_S7_PT6_21rocsparse_index_base_b,comdat
	.globl	_ZN9rocsparseL18bsrxmvn_4x4_kernelILj128ELj32E21rocsparse_complex_numIfEiifS2_S2_EEvT3_20rocsparse_direction_NS_24const_host_device_scalarIT1_EES3_PKS3_PKT2_SC_S9_PKT4_PKT5_S7_PT6_21rocsparse_index_base_b ; -- Begin function _ZN9rocsparseL18bsrxmvn_4x4_kernelILj128ELj32E21rocsparse_complex_numIfEiifS2_S2_EEvT3_20rocsparse_direction_NS_24const_host_device_scalarIT1_EES3_PKS3_PKT2_SC_S9_PKT4_PKT5_S7_PT6_21rocsparse_index_base_b
	.p2align	8
	.type	_ZN9rocsparseL18bsrxmvn_4x4_kernelILj128ELj32E21rocsparse_complex_numIfEiifS2_S2_EEvT3_20rocsparse_direction_NS_24const_host_device_scalarIT1_EES3_PKS3_PKT2_SC_S9_PKT4_PKT5_S7_PT6_21rocsparse_index_base_b,@function
_ZN9rocsparseL18bsrxmvn_4x4_kernelILj128ELj32E21rocsparse_complex_numIfEiifS2_S2_EEvT3_20rocsparse_direction_NS_24const_host_device_scalarIT1_EES3_PKS3_PKT2_SC_S9_PKT4_PKT5_S7_PT6_21rocsparse_index_base_b: ; @_ZN9rocsparseL18bsrxmvn_4x4_kernelILj128ELj32E21rocsparse_complex_numIfEiifS2_S2_EEvT3_20rocsparse_direction_NS_24const_host_device_scalarIT1_EES3_PKS3_PKT2_SC_S9_PKT4_PKT5_S7_PT6_21rocsparse_index_base_b
; %bb.0:
	s_load_dwordx2 s[0:1], s[4:5], 0x8
	s_load_dwordx2 s[16:17], s[4:5], 0x58
	s_add_u32 s7, s4, 8
	s_addc_u32 s8, s5, 0
	s_add_u32 s9, s4, 0x48
	s_load_dwordx2 s[2:3], s[4:5], 0x48
	s_addc_u32 s10, s5, 0
	s_waitcnt lgkmcnt(0)
	s_bitcmp1_b32 s17, 0
	s_cselect_b32 s1, s8, s1
	s_cselect_b32 s0, s7, s0
	v_mov_b32_e32 v1, s0
	v_mov_b32_e32 v2, s1
	flat_load_dwordx2 v[21:22], v[1:2]
	s_cselect_b32 s0, s10, s3
	s_cselect_b32 s1, s9, s2
	v_mov_b32_e32 v1, s1
	v_mov_b32_e32 v2, s0
	flat_load_dwordx2 v[19:20], v[1:2]
	s_waitcnt vmcnt(0) lgkmcnt(0)
	v_cmp_eq_f32_e32 vcc, 0, v21
	v_cmp_eq_f32_e64 s[0:1], 0, v22
	s_and_b64 s[8:9], vcc, s[0:1]
	s_mov_b64 s[0:1], -1
	s_and_saveexec_b64 s[2:3], s[8:9]
; %bb.1:
	v_cmp_neq_f32_e32 vcc, 1.0, v19
	v_cmp_neq_f32_e64 s[0:1], 0, v20
	s_or_b64 s[0:1], vcc, s[0:1]
	s_orn2_b64 s[0:1], s[0:1], exec
; %bb.2:
	s_or_b64 exec, exec, s[2:3]
	s_and_saveexec_b64 s[2:3], s[0:1]
	s_cbranch_execz .LBB123_8
; %bb.3:
	s_load_dwordx2 s[8:9], s[4:5], 0x18
	s_load_dwordx2 s[0:1], s[4:5], 0x0
	v_lshrrev_b32_e32 v1, 5, v0
	v_lshl_or_b32 v23, s6, 2, v1
	s_mov_b64 s[2:3], 0
	s_waitcnt lgkmcnt(0)
	s_cmp_lg_u64 s[8:9], 0
	s_cbranch_scc0 .LBB123_9
; %bb.4:
	s_load_dword s6, s[4:5], 0x10
                                        ; implicit-def: $vgpr1
	s_waitcnt lgkmcnt(0)
	v_cmp_gt_i32_e32 vcc, s6, v23
	s_and_saveexec_b64 s[6:7], vcc
	s_xor_b64 s[6:7], exec, s[6:7]
	s_cbranch_execz .LBB123_6
; %bb.5:
	v_ashrrev_i32_e32 v24, 31, v23
	v_lshlrev_b64 v[1:2], 2, v[23:24]
	v_mov_b32_e32 v3, s9
	v_add_co_u32_e32 v1, vcc, s8, v1
	v_addc_co_u32_e32 v2, vcc, v3, v2, vcc
	global_load_dword v1, v[1:2], off
	s_mov_b64 s[2:3], exec
	s_waitcnt vmcnt(0)
	v_subrev_u32_e32 v1, s16, v1
.LBB123_6:
	s_or_b64 exec, exec, s[6:7]
	s_branch .LBB123_10
.LBB123_7:
	v_cmp_gt_i32_e32 vcc, s0, v23
	s_andn2_b64 s[2:3], s[2:3], exec
	s_and_b64 s[6:7], vcc, exec
	s_or_b64 s[2:3], s[2:3], s[6:7]
	s_and_b64 exec, exec, s[2:3]
	s_cbranch_execnz .LBB123_11
.LBB123_8:
	s_endpgm
.LBB123_9:
                                        ; implicit-def: $vgpr1
	s_cbranch_execnz .LBB123_7
.LBB123_10:
	v_mov_b32_e32 v23, v1
	s_and_b64 exec, exec, s[2:3]
	s_cbranch_execz .LBB123_8
.LBB123_11:
	s_load_dwordx8 s[8:15], s[4:5], 0x20
	v_ashrrev_i32_e32 v24, 31, v23
	v_lshlrev_b64 v[1:2], 2, v[23:24]
	v_and_b32_e32 v28, 31, v0
	s_load_dwordx2 s[6:7], s[4:5], 0x40
	s_waitcnt lgkmcnt(0)
	v_mov_b32_e32 v4, s9
	v_add_co_u32_e32 v3, vcc, s8, v1
	v_addc_co_u32_e32 v4, vcc, v4, v2, vcc
	global_load_dword v6, v[3:4], off
	v_add_co_u32_e32 v3, vcc, 4, v3
	v_addc_co_u32_e32 v4, vcc, 0, v4, vcc
	v_mov_b32_e32 v5, s11
	v_add_co_u32_e32 v1, vcc, s10, v1
	s_cmp_eq_u64 s[10:11], 0
	v_addc_co_u32_e32 v2, vcc, v5, v2, vcc
	s_cselect_b64 vcc, -1, 0
	v_cndmask_b32_e32 v2, v2, v4, vcc
	v_cndmask_b32_e32 v1, v1, v3, vcc
	global_load_dword v1, v[1:2], off
	v_mov_b32_e32 v2, s15
	s_cmp_eq_u32 s1, 1
	s_waitcnt vmcnt(1)
	v_subrev_u32_e32 v0, s16, v6
	v_add_u32_e32 v24, v0, v28
	v_ashrrev_i32_e32 v25, 31, v24
	s_waitcnt vmcnt(0)
	v_subrev_u32_e32 v31, s16, v1
	v_lshlrev_b64 v[0:1], 6, v[24:25]
	v_cmp_lt_i32_e64 s[0:1], v24, v31
	v_add_co_u32_e32 v26, vcc, s14, v0
	v_addc_co_u32_e32 v27, vcc, v2, v1, vcc
	s_cbranch_scc1 .LBB123_23
; %bb.12:
	v_mov_b32_e32 v33, 0
	v_mov_b32_e32 v37, 0
	v_mov_b32_e32 v34, 0
	v_mov_b32_e32 v36, 0
	v_mov_b32_e32 v32, 0
	v_mov_b32_e32 v35, 0
	v_mov_b32_e32 v30, 0
	v_mov_b32_e32 v29, 0
	s_and_saveexec_b64 s[8:9], s[0:1]
	s_cbranch_execz .LBB123_22
; %bb.13:
	v_add_u32_e32 v0, v6, v28
	v_subrev_u32_e32 v0, s16, v0
	v_add_u32_e32 v0, 32, v0
	v_max_i32_e32 v0, v0, v31
	v_not_b32_e32 v1, v6
	v_add3_u32 v0, s16, v0, v1
	v_sub_u32_e32 v4, v0, v28
	s_movk_i32 s2, 0x60
	v_and_b32_e32 v0, 0x60, v4
	v_mov_b32_e32 v2, v26
	v_cmp_ne_u32_e32 vcc, s2, v0
	v_mov_b32_e32 v29, 0
	v_mov_b32_e32 v30, 0
	;; [unrolled: 1-line block ×10, first 2 shown]
	s_and_saveexec_b64 s[10:11], vcc
	s_cbranch_execz .LBB123_17
; %bb.14:
	v_lshrrev_b32_e32 v0, 5, v4
	v_add_u32_e32 v0, 1, v0
	v_and_b32_e32 v0, 3, v0
	v_mov_b32_e32 v2, v26
	v_sub_u32_e32 v5, 0, v0
	v_mov_b32_e32 v33, 0
	s_mov_b64 s[14:15], 0
	v_mov_b32_e32 v7, s13
	v_mov_b32_e32 v8, s7
	;; [unrolled: 1-line block ×11, first 2 shown]
.LBB123_15:                             ; =>This Inner Loop Header: Depth=1
	v_ashrrev_i32_e32 v1, 31, v0
	v_lshlrev_b64 v[9:10], 2, v[0:1]
	v_add_co_u32_e64 v5, s[2:3], 1, v5
	v_add_co_u32_e32 v17, vcc, s12, v9
	v_addc_co_u32_e32 v18, vcc, v7, v10, vcc
	global_load_dword v1, v[17:18], off
	global_load_dwordx4 v[9:12], v[2:3], off
	global_load_dwordx4 v[13:16], v[2:3], off offset:16
	global_load_dwordx4 v[38:41], v[2:3], off offset:32
	;; [unrolled: 1-line block ×3, first 2 shown]
	v_add_u32_e32 v0, 32, v0
	s_or_b64 s[14:15], s[2:3], s[14:15]
	s_waitcnt vmcnt(4)
	v_subrev_u32_e32 v1, s16, v1
	v_lshlrev_b32_e32 v17, 2, v1
	v_ashrrev_i32_e32 v18, 31, v17
	v_lshlrev_b64 v[17:18], 3, v[17:18]
	v_add_co_u32_e32 v17, vcc, s6, v17
	v_addc_co_u32_e32 v18, vcc, v8, v18, vcc
	global_load_dwordx4 v[46:49], v[17:18], off
	global_load_dwordx4 v[50:53], v[17:18], off offset:16
	v_add_co_u32_e32 v2, vcc, 0x800, v2
	v_addc_co_u32_e32 v3, vcc, 0, v3, vcc
	s_waitcnt vmcnt(1)
	v_fmac_f32_e32 v37, v9, v46
	v_fmac_f32_e32 v33, 0, v46
	;; [unrolled: 1-line block ×32, first 2 shown]
	s_waitcnt vmcnt(0)
	v_fmac_f32_e32 v37, v11, v50
	v_fmac_f32_e32 v33, 0, v50
	;; [unrolled: 1-line block ×32, first 2 shown]
	s_andn2_b64 exec, exec, s[14:15]
	s_cbranch_execnz .LBB123_15
; %bb.16:
	s_or_b64 exec, exec, s[14:15]
.LBB123_17:
	s_or_b64 exec, exec, s[10:11]
	s_movk_i32 s2, 0x5f
	v_cmp_lt_u32_e32 vcc, s2, v4
	s_and_saveexec_b64 s[10:11], vcc
	s_cbranch_execz .LBB123_21
; %bb.18:
	s_mov_b64 s[14:15], 0
	v_mov_b32_e32 v7, s13
	v_mov_b32_e32 v8, s7
	s_movk_i32 s17, 0x1000
.LBB123_19:                             ; =>This Inner Loop Header: Depth=1
	v_ashrrev_i32_e32 v1, 31, v0
	v_lshlrev_b64 v[4:5], 2, v[0:1]
	v_add_u32_e32 v0, 0x80, v0
	v_add_co_u32_e32 v4, vcc, s12, v4
	v_addc_co_u32_e32 v5, vcc, v7, v5, vcc
	global_load_dword v1, v[4:5], off
	global_load_dwordx4 v[9:12], v[2:3], off offset:48
	global_load_dwordx4 v[13:16], v[2:3], off offset:32
	;; [unrolled: 1-line block ×3, first 2 shown]
	global_load_dwordx4 v[42:45], v[2:3], off
	v_cmp_ge_i32_e64 s[2:3], v0, v31
	s_or_b64 s[14:15], s[2:3], s[14:15]
	s_waitcnt vmcnt(4)
	v_subrev_u32_e32 v1, s16, v1
	v_lshlrev_b32_e32 v17, 2, v1
	v_ashrrev_i32_e32 v18, 31, v17
	v_lshlrev_b64 v[17:18], 3, v[17:18]
	v_add_co_u32_e32 v17, vcc, s6, v17
	v_addc_co_u32_e32 v18, vcc, v8, v18, vcc
	global_load_dwordx4 v[46:49], v[17:18], off offset:16
	global_load_dwordx4 v[50:53], v[17:18], off
	global_load_dword v1, v[4:5], off offset:128
	s_waitcnt vmcnt(1)
	v_fmac_f32_e32 v37, v42, v50
	v_fmac_f32_e32 v33, 0, v50
	;; [unrolled: 1-line block ×8, first 2 shown]
	s_waitcnt vmcnt(0)
	v_subrev_u32_e32 v1, s16, v1
	v_fmac_f32_e32 v37, 0x80000000, v51
	v_fmac_f32_e32 v33, v42, v51
	;; [unrolled: 1-line block ×8, first 2 shown]
	v_lshlrev_b32_e32 v17, 2, v1
	v_fmac_f32_e32 v37, v43, v52
	v_fmac_f32_e32 v33, 0, v52
	;; [unrolled: 1-line block ×8, first 2 shown]
	v_ashrrev_i32_e32 v18, 31, v17
	v_fmac_f32_e32 v37, 0x80000000, v53
	v_fmac_f32_e32 v33, v43, v53
	;; [unrolled: 1-line block ×8, first 2 shown]
	v_lshlrev_b64 v[17:18], 3, v[17:18]
	v_fmac_f32_e32 v37, v44, v46
	v_fmac_f32_e32 v33, 0, v46
	;; [unrolled: 1-line block ×16, first 2 shown]
	v_add_co_u32_e32 v17, vcc, s6, v17
	v_fmac_f32_e32 v37, v45, v48
	v_fmac_f32_e32 v33, 0, v48
	;; [unrolled: 1-line block ×8, first 2 shown]
	v_addc_co_u32_e32 v18, vcc, v8, v18, vcc
	v_fmac_f32_e32 v37, 0x80000000, v49
	v_fmac_f32_e32 v33, v45, v49
	;; [unrolled: 1-line block ×8, first 2 shown]
	global_load_dwordx4 v[9:12], v[2:3], off offset:2096
	global_load_dwordx4 v[13:16], v[2:3], off offset:2080
	;; [unrolled: 1-line block ×5, first 2 shown]
	global_load_dwordx4 v[50:53], v[17:18], off
	global_load_dword v1, v[4:5], off offset:256
	v_add_co_u32_e32 v17, vcc, s17, v2
	v_addc_co_u32_e32 v18, vcc, 0, v3, vcc
	s_waitcnt vmcnt(1)
	v_fmac_f32_e32 v37, v42, v50
	v_fmac_f32_e32 v33, 0, v50
	;; [unrolled: 1-line block ×32, first 2 shown]
	s_waitcnt vmcnt(0)
	v_subrev_u32_e32 v1, s16, v1
	v_fmac_f32_e32 v37, v44, v46
	v_fmac_f32_e32 v33, 0, v46
	;; [unrolled: 1-line block ×8, first 2 shown]
	v_lshlrev_b32_e32 v46, 2, v1
	v_fmac_f32_e32 v37, 0x80000000, v47
	v_fmac_f32_e32 v33, v44, v47
	;; [unrolled: 1-line block ×8, first 2 shown]
	v_ashrrev_i32_e32 v47, 31, v46
	v_lshlrev_b64 v[46:47], 3, v[46:47]
	v_fmac_f32_e32 v37, v45, v48
	v_add_co_u32_e32 v54, vcc, s6, v46
	v_fmac_f32_e32 v33, 0, v48
	v_fmac_f32_e32 v36, v41, v48
	;; [unrolled: 1-line block ×7, first 2 shown]
	v_addc_co_u32_e32 v55, vcc, v8, v47, vcc
	v_fmac_f32_e32 v37, 0x80000000, v49
	v_fmac_f32_e32 v33, v45, v49
	;; [unrolled: 1-line block ×8, first 2 shown]
	global_load_dwordx4 v[9:12], v[17:18], off
	global_load_dwordx4 v[13:16], v[17:18], off offset:48
	global_load_dwordx4 v[38:41], v[17:18], off offset:32
	;; [unrolled: 1-line block ×4, first 2 shown]
	global_load_dwordx4 v[50:53], v[54:55], off
	global_load_dword v1, v[4:5], off offset:384
	s_waitcnt vmcnt(1)
	v_fmac_f32_e32 v37, v9, v50
	v_fmac_f32_e32 v33, 0, v50
	;; [unrolled: 1-line block ×8, first 2 shown]
	s_waitcnt vmcnt(0)
	v_subrev_u32_e32 v1, s16, v1
	v_fmac_f32_e32 v37, 0x80000000, v51
	v_fmac_f32_e32 v33, v9, v51
	;; [unrolled: 1-line block ×8, first 2 shown]
	v_lshlrev_b32_e32 v4, 2, v1
	v_fmac_f32_e32 v37, v10, v52
	v_fmac_f32_e32 v33, 0, v52
	;; [unrolled: 1-line block ×8, first 2 shown]
	v_ashrrev_i32_e32 v5, 31, v4
	v_fmac_f32_e32 v37, 0x80000000, v53
	v_fmac_f32_e32 v33, v10, v53
	;; [unrolled: 1-line block ×8, first 2 shown]
	v_lshlrev_b64 v[4:5], 3, v[4:5]
	v_fmac_f32_e32 v37, v11, v46
	v_fmac_f32_e32 v33, 0, v46
	;; [unrolled: 1-line block ×16, first 2 shown]
	v_add_co_u32_e32 v4, vcc, s6, v4
	v_fmac_f32_e32 v37, v12, v48
	v_fmac_f32_e32 v33, 0, v48
	;; [unrolled: 1-line block ×8, first 2 shown]
	v_addc_co_u32_e32 v5, vcc, v8, v5, vcc
	v_fmac_f32_e32 v37, 0x80000000, v49
	v_fmac_f32_e32 v33, v12, v49
	;; [unrolled: 1-line block ×8, first 2 shown]
	global_load_dwordx4 v[9:12], v[17:18], off offset:2096
	global_load_dwordx4 v[13:16], v[17:18], off offset:2080
	;; [unrolled: 1-line block ×5, first 2 shown]
	global_load_dwordx4 v[50:53], v[4:5], off
	v_add_co_u32_e32 v2, vcc, 0x2000, v2
	v_addc_co_u32_e32 v3, vcc, 0, v3, vcc
	s_waitcnt vmcnt(0)
	v_fmac_f32_e32 v37, v42, v50
	v_fmac_f32_e32 v33, 0, v50
	;; [unrolled: 1-line block ×64, first 2 shown]
	s_andn2_b64 exec, exec, s[14:15]
	s_cbranch_execnz .LBB123_19
; %bb.20:
	s_or_b64 exec, exec, s[14:15]
.LBB123_21:
	s_or_b64 exec, exec, s[10:11]
.LBB123_22:
	s_or_b64 exec, exec, s[8:9]
	s_cbranch_execz .LBB123_24
	s_branch .LBB123_35
.LBB123_23:
                                        ; implicit-def: $vgpr33
                                        ; implicit-def: $vgpr37
                                        ; implicit-def: $vgpr34
                                        ; implicit-def: $vgpr36
                                        ; implicit-def: $vgpr32
                                        ; implicit-def: $vgpr35
                                        ; implicit-def: $vgpr30
                                        ; implicit-def: $vgpr29
.LBB123_24:
	v_mov_b32_e32 v33, 0
	v_mov_b32_e32 v37, 0
	;; [unrolled: 1-line block ×8, first 2 shown]
	s_and_saveexec_b64 s[2:3], s[0:1]
	s_cbranch_execz .LBB123_34
; %bb.25:
	v_add_u32_e32 v0, v6, v28
	v_subrev_u32_e32 v0, s16, v0
	v_add_u32_e32 v0, 32, v0
	v_max_i32_e32 v0, v0, v31
	v_not_b32_e32 v1, v6
	v_add3_u32 v0, s16, v0, v1
	v_sub_u32_e32 v0, v0, v28
	s_movk_i32 s0, 0x60
	v_and_b32_e32 v1, 0x60, v0
	v_cmp_ne_u32_e32 vcc, s0, v1
	v_mov_b32_e32 v29, 0
	v_mov_b32_e32 v30, 0
	;; [unrolled: 1-line block ×8, first 2 shown]
	s_and_saveexec_b64 s[8:9], vcc
	s_cbranch_execz .LBB123_29
; %bb.26:
	v_lshrrev_b32_e32 v1, 5, v0
	v_add_u32_e32 v1, 1, v1
	v_and_b32_e32 v1, 3, v1
	v_sub_u32_e32 v1, 0, v1
	v_mov_b32_e32 v33, 0
	s_mov_b64 s[10:11], 0
	v_mov_b32_e32 v2, s13
	v_mov_b32_e32 v3, s7
	;; [unrolled: 1-line block ×9, first 2 shown]
.LBB123_27:                             ; =>This Inner Loop Header: Depth=1
	v_ashrrev_i32_e32 v25, 31, v24
	v_lshlrev_b64 v[4:5], 2, v[24:25]
	v_add_co_u32_e64 v1, s[0:1], 1, v1
	v_add_co_u32_e32 v16, vcc, s12, v4
	v_addc_co_u32_e32 v17, vcc, v2, v5, vcc
	global_load_dword v18, v[16:17], off
	global_load_dwordx4 v[4:7], v[26:27], off offset:32
	global_load_dwordx4 v[8:11], v[26:27], off offset:16
	global_load_dwordx4 v[12:15], v[26:27], off
	v_add_u32_e32 v24, 32, v24
	s_or_b64 s[10:11], s[0:1], s[10:11]
	s_waitcnt vmcnt(3)
	v_subrev_u32_e32 v16, s16, v18
	v_lshlrev_b32_e32 v16, 2, v16
	v_ashrrev_i32_e32 v17, 31, v16
	v_lshlrev_b64 v[16:17], 3, v[16:17]
	v_add_co_u32_e32 v16, vcc, s6, v16
	v_addc_co_u32_e32 v17, vcc, v3, v17, vcc
	global_load_dwordx4 v[38:41], v[16:17], off
	global_load_dwordx4 v[42:45], v[16:17], off offset:16
	global_load_dwordx4 v[46:49], v[26:27], off offset:48
	v_add_co_u32_e32 v26, vcc, 0x800, v26
	v_addc_co_u32_e32 v27, vcc, 0, v27, vcc
	s_waitcnt vmcnt(2)
	v_fmac_f32_e32 v37, v12, v38
	v_fmac_f32_e32 v33, 0, v38
	;; [unrolled: 1-line block ×32, first 2 shown]
	s_waitcnt vmcnt(1)
	v_fmac_f32_e32 v37, v4, v42
	v_fmac_f32_e32 v33, 0, v42
	v_fmac_f32_e32 v36, v5, v42
	v_fmac_f32_e32 v34, 0, v42
	v_fmac_f32_e32 v35, v6, v42
	v_fmac_f32_e32 v32, 0, v42
	v_fmac_f32_e32 v29, v7, v42
	v_fmac_f32_e32 v30, 0, v42
	v_fmac_f32_e32 v37, 0x80000000, v43
	v_fmac_f32_e32 v33, v4, v43
	v_fmac_f32_e32 v36, 0x80000000, v43
	v_fmac_f32_e32 v34, v5, v43
	v_fmac_f32_e32 v35, 0x80000000, v43
	v_fmac_f32_e32 v32, v6, v43
	v_fmac_f32_e32 v29, 0x80000000, v43
	v_fmac_f32_e32 v30, v7, v43
	s_waitcnt vmcnt(0)
	v_fmac_f32_e32 v37, v46, v44
	v_fmac_f32_e32 v33, 0, v44
	;; [unrolled: 1-line block ×16, first 2 shown]
	s_andn2_b64 exec, exec, s[10:11]
	s_cbranch_execnz .LBB123_27
; %bb.28:
	s_or_b64 exec, exec, s[10:11]
.LBB123_29:
	s_or_b64 exec, exec, s[8:9]
	s_movk_i32 s0, 0x5f
	v_cmp_lt_u32_e32 vcc, s0, v0
	s_and_saveexec_b64 s[0:1], vcc
	s_cbranch_execz .LBB123_33
; %bb.30:
	s_mov_b64 s[8:9], 0
	v_mov_b32_e32 v38, s13
	v_mov_b32_e32 v39, s7
	s_movk_i32 s7, 0x1000
.LBB123_31:                             ; =>This Inner Loop Header: Depth=1
	v_ashrrev_i32_e32 v25, 31, v24
	v_lshlrev_b64 v[4:5], 2, v[24:25]
	global_load_dwordx4 v[0:3], v[26:27], off offset:48
	global_load_dwordx4 v[8:11], v[26:27], off offset:16
	global_load_dwordx4 v[12:15], v[26:27], off
	v_add_co_u32_e32 v4, vcc, s12, v4
	v_addc_co_u32_e32 v5, vcc, v38, v5, vcc
	global_load_dword v6, v[4:5], off
	v_add_u32_e32 v24, 0x80, v24
	s_waitcnt vmcnt(0)
	v_subrev_u32_e32 v6, s16, v6
	v_lshlrev_b32_e32 v6, 2, v6
	v_ashrrev_i32_e32 v7, 31, v6
	v_lshlrev_b64 v[6:7], 3, v[6:7]
	v_add_co_u32_e32 v6, vcc, s6, v6
	v_addc_co_u32_e32 v7, vcc, v39, v7, vcc
	global_load_dwordx4 v[40:43], v[6:7], off
	s_waitcnt vmcnt(0)
	v_fmac_f32_e32 v37, v12, v40
	v_fmac_f32_e32 v33, 0, v40
	v_fmac_f32_e32 v36, v13, v40
	v_fmac_f32_e32 v34, 0, v40
	v_fmac_f32_e32 v35, v14, v40
	v_fmac_f32_e32 v32, 0, v40
	v_fmac_f32_e32 v29, v15, v40
	v_fmac_f32_e32 v30, 0, v40
	v_fmac_f32_e32 v33, v12, v41
	v_fmac_f32_e32 v34, v13, v41
	v_fmac_f32_e32 v32, v14, v41
	v_fmac_f32_e32 v30, v15, v41
	v_fmac_f32_e32 v37, 0x80000000, v41
	v_fmac_f32_e32 v36, 0x80000000, v41
	v_fmac_f32_e32 v35, 0x80000000, v41
	v_fmac_f32_e32 v29, 0x80000000, v41
	v_fmac_f32_e32 v37, v8, v42
	v_fmac_f32_e32 v33, 0, v42
	v_fmac_f32_e32 v36, v9, v42
	v_fmac_f32_e32 v34, 0, v42
	v_fmac_f32_e32 v35, v10, v42
	v_fmac_f32_e32 v32, 0, v42
	v_fmac_f32_e32 v29, v11, v42
	v_fmac_f32_e32 v30, 0, v42
	global_load_dwordx4 v[12:15], v[26:27], off offset:32
	v_fmac_f32_e32 v33, v8, v43
	v_fmac_f32_e32 v34, v9, v43
	;; [unrolled: 1-line block ×4, first 2 shown]
	global_load_dwordx4 v[8:11], v[26:27], off offset:2096
	v_fmac_f32_e32 v37, 0x80000000, v43
	v_fmac_f32_e32 v36, 0x80000000, v43
	;; [unrolled: 1-line block ×4, first 2 shown]
	global_load_dwordx4 v[40:43], v[26:27], off offset:2064
	global_load_dwordx4 v[44:47], v[6:7], off offset:16
	s_waitcnt vmcnt(0)
	v_fmac_f32_e32 v33, 0, v44
	v_fmac_f32_e32 v37, v12, v44
	;; [unrolled: 1-line block ×7, first 2 shown]
	global_load_dword v0, v[4:5], off offset:128
	v_fmac_f32_e32 v34, 0, v44
	v_fmac_f32_e32 v36, v13, v44
	;; [unrolled: 1-line block ×17, first 2 shown]
	global_load_dwordx4 v[12:15], v[26:27], off offset:2048
	v_fmac_f32_e32 v35, v2, v46
	v_fmac_f32_e32 v29, v3, v46
	;; [unrolled: 1-line block ×8, first 2 shown]
	s_waitcnt vmcnt(1)
	v_subrev_u32_e32 v0, s16, v0
	v_lshlrev_b32_e32 v0, 2, v0
	v_ashrrev_i32_e32 v1, 31, v0
	v_lshlrev_b64 v[0:1], 3, v[0:1]
	v_add_co_u32_e32 v6, vcc, s6, v0
	v_addc_co_u32_e32 v7, vcc, v39, v1, vcc
	global_load_dwordx4 v[0:3], v[6:7], off
	v_add_co_u32_e32 v48, vcc, s7, v26
	v_addc_co_u32_e32 v49, vcc, 0, v27, vcc
	s_waitcnt vmcnt(0)
	v_fmac_f32_e32 v37, v12, v0
	v_fmac_f32_e32 v33, 0, v0
	;; [unrolled: 1-line block ×8, first 2 shown]
	global_load_dword v0, v[4:5], off offset:256
	v_fmac_f32_e32 v33, v12, v1
	v_fmac_f32_e32 v34, v13, v1
	;; [unrolled: 1-line block ×24, first 2 shown]
	global_load_dwordx4 v[12:15], v[26:27], off offset:2080
	global_load_dwordx4 v[40:43], v[48:49], off
	s_waitcnt vmcnt(2)
	v_subrev_u32_e32 v0, s16, v0
	v_lshlrev_b32_e32 v0, 2, v0
	v_ashrrev_i32_e32 v1, 31, v0
	v_lshlrev_b64 v[0:1], 3, v[0:1]
	v_add_co_u32_e32 v16, vcc, s6, v0
	v_addc_co_u32_e32 v17, vcc, v39, v1, vcc
	global_load_dwordx4 v[0:3], v[6:7], off offset:16
	global_load_dwordx4 v[44:47], v[16:17], off
	s_waitcnt vmcnt(1)
	v_fmac_f32_e32 v33, 0, v0
	v_fmac_f32_e32 v34, 0, v0
	;; [unrolled: 1-line block ×14, first 2 shown]
	global_load_dwordx4 v[6:9], v[48:49], off offset:16
	v_fmac_f32_e32 v35, v14, v0
	v_fmac_f32_e32 v32, 0, v0
	;; [unrolled: 1-line block ×18, first 2 shown]
	s_waitcnt vmcnt(1)
	v_fmac_f32_e32 v37, v40, v44
	v_fmac_f32_e32 v33, 0, v44
	;; [unrolled: 1-line block ×16, first 2 shown]
	global_load_dwordx4 v[40:43], v[48:49], off offset:32
	v_fmac_f32_e32 v33, 0, v46
	v_fmac_f32_e32 v34, 0, v46
	;; [unrolled: 1-line block ×4, first 2 shown]
	global_load_dwordx4 v[12:15], v[48:49], off offset:48
	global_load_dwordx4 v[0:3], v[48:49], off offset:2080
	s_waitcnt vmcnt(3)
	v_fmac_f32_e32 v37, v6, v46
	v_fmac_f32_e32 v36, v7, v46
	;; [unrolled: 1-line block ×12, first 2 shown]
	global_load_dwordx4 v[44:47], v[16:17], off offset:16
	global_load_dwordx4 v[8:11], v[48:49], off offset:2064
	s_waitcnt vmcnt(1)
	v_fmac_f32_e32 v33, 0, v44
	v_fmac_f32_e32 v34, 0, v44
	;; [unrolled: 1-line block ×12, first 2 shown]
	global_load_dwordx4 v[40:43], v[48:49], off offset:2048
	global_load_dword v6, v[4:5], off offset:384
	v_fmac_f32_e32 v37, 0x80000000, v45
	v_fmac_f32_e32 v33, 0, v46
	;; [unrolled: 1-line block ×20, first 2 shown]
	s_waitcnt vmcnt(0)
	v_subrev_u32_e32 v4, s16, v6
	v_lshlrev_b32_e32 v4, 2, v4
	v_ashrrev_i32_e32 v5, 31, v4
	v_lshlrev_b64 v[4:5], 3, v[4:5]
	v_add_co_u32_e32 v12, vcc, s6, v4
	v_addc_co_u32_e32 v13, vcc, v39, v5, vcc
	global_load_dwordx4 v[15:18], v[12:13], off
	global_load_dwordx4 v[4:7], v[12:13], off offset:16
	v_add_co_u32_e32 v26, vcc, 0x2000, v26
	v_addc_co_u32_e32 v27, vcc, 0, v27, vcc
	v_cmp_ge_i32_e32 vcc, v24, v31
	s_or_b64 s[8:9], vcc, s[8:9]
	s_waitcnt vmcnt(1)
	v_fmac_f32_e32 v37, v40, v15
	v_fmac_f32_e32 v33, 0, v15
	;; [unrolled: 1-line block ×8, first 2 shown]
	global_load_dwordx4 v[12:15], v[48:49], off offset:2096
	v_fmac_f32_e32 v33, v40, v16
	v_fmac_f32_e32 v34, v41, v16
	;; [unrolled: 1-line block ×24, first 2 shown]
	s_waitcnt vmcnt(1)
	v_fmac_f32_e32 v37, v0, v4
	v_fmac_f32_e32 v33, 0, v4
	;; [unrolled: 1-line block ×20, first 2 shown]
	s_waitcnt vmcnt(0)
	v_fmac_f32_e32 v37, v12, v6
	v_fmac_f32_e32 v36, v13, v6
	v_fmac_f32_e32 v35, v14, v6
	v_fmac_f32_e32 v29, v15, v6
	v_fmac_f32_e32 v37, 0x80000000, v7
	v_fmac_f32_e32 v33, v12, v7
	v_fmac_f32_e32 v36, 0x80000000, v7
	v_fmac_f32_e32 v34, v13, v7
	v_fmac_f32_e32 v35, 0x80000000, v7
	v_fmac_f32_e32 v32, v14, v7
	v_fmac_f32_e32 v29, 0x80000000, v7
	v_fmac_f32_e32 v30, v15, v7
	s_andn2_b64 exec, exec, s[8:9]
	s_cbranch_execnz .LBB123_31
; %bb.32:
	s_or_b64 exec, exec, s[8:9]
.LBB123_33:
	s_or_b64 exec, exec, s[0:1]
.LBB123_34:
	s_or_b64 exec, exec, s[2:3]
.LBB123_35:
	v_mov_b32_dpp v0, v37 row_shr:1 row_mask:0xf bank_mask:0xf
	v_mov_b32_dpp v2, v33 row_shr:1 row_mask:0xf bank_mask:0xf
	v_mov_b32_dpp v4, v36 row_shr:1 row_mask:0xf bank_mask:0xf
	v_mov_b32_dpp v6, v34 row_shr:1 row_mask:0xf bank_mask:0xf
	v_mov_b32_dpp v8, v35 row_shr:1 row_mask:0xf bank_mask:0xf
	v_mov_b32_dpp v10, v32 row_shr:1 row_mask:0xf bank_mask:0xf
	v_mov_b32_dpp v12, v29 row_shr:1 row_mask:0xf bank_mask:0xf
	v_mov_b32_dpp v14, v30 row_shr:1 row_mask:0xf bank_mask:0xf
	v_add_f32_e32 v0, v37, v0
	v_add_f32_e32 v2, v33, v2
	v_add_f32_e32 v4, v36, v4
	v_add_f32_e32 v6, v34, v6
	v_add_f32_e32 v8, v35, v8
	v_add_f32_e32 v10, v32, v10
	v_add_f32_e32 v12, v29, v12
	v_add_f32_e32 v14, v30, v14
	v_mov_b32_dpp v1, v0 row_shr:2 row_mask:0xf bank_mask:0xf
	v_mov_b32_dpp v3, v2 row_shr:2 row_mask:0xf bank_mask:0xf
	v_mov_b32_dpp v5, v4 row_shr:2 row_mask:0xf bank_mask:0xf
	v_mov_b32_dpp v7, v6 row_shr:2 row_mask:0xf bank_mask:0xf
	v_mov_b32_dpp v9, v8 row_shr:2 row_mask:0xf bank_mask:0xf
	v_mov_b32_dpp v11, v10 row_shr:2 row_mask:0xf bank_mask:0xf
	v_mov_b32_dpp v13, v12 row_shr:2 row_mask:0xf bank_mask:0xf
	v_mov_b32_dpp v15, v14 row_shr:2 row_mask:0xf bank_mask:0xf
	v_add_f32_e32 v0, v0, v1
	v_add_f32_e32 v2, v2, v3
	v_add_f32_e32 v4, v4, v5
	v_add_f32_e32 v6, v6, v7
	v_add_f32_e32 v8, v8, v9
	v_add_f32_e32 v10, v10, v11
	v_add_f32_e32 v12, v12, v13
	v_add_f32_e32 v14, v14, v15
	;; [unrolled: 16-line block ×4, first 2 shown]
	v_mov_b32_dpp v1, v0 row_bcast:15 row_mask:0xa bank_mask:0xf
	v_mov_b32_dpp v3, v2 row_bcast:15 row_mask:0xa bank_mask:0xf
	;; [unrolled: 1-line block ×8, first 2 shown]
	v_cmp_eq_u32_e32 vcc, 31, v28
	s_and_b64 exec, exec, vcc
	s_cbranch_execz .LBB123_8
; %bb.36:
	s_load_dwordx2 s[2:3], s[4:5], 0x50
	v_add_f32_e32 v16, v0, v1
	v_add_f32_e32 v0, v2, v3
	;; [unrolled: 1-line block ×8, first 2 shown]
	v_cmp_eq_f32_e32 vcc, 0, v19
	v_cmp_eq_f32_e64 s[0:1], 0, v20
	v_mul_f32_e64 v4, v0, -v22
	v_mul_f32_e32 v5, v21, v0
	v_mul_f32_e64 v6, v1, -v22
	v_mul_f32_e32 v7, v21, v1
	;; [unrolled: 2-line block ×4, first 2 shown]
	s_and_b64 s[0:1], vcc, s[0:1]
	v_fmac_f32_e32 v4, v21, v16
	v_fmac_f32_e32 v5, v22, v16
	v_lshlrev_b32_e32 v8, 2, v23
	v_fmac_f32_e32 v6, v21, v17
	v_fmac_f32_e32 v7, v22, v17
	v_fmac_f32_e32 v0, v21, v9
	v_fmac_f32_e32 v1, v22, v9
	v_fmac_f32_e32 v2, v21, v10
	v_fmac_f32_e32 v3, v22, v10
	s_and_saveexec_b64 s[4:5], s[0:1]
	s_xor_b64 s[0:1], exec, s[4:5]
	s_cbranch_execz .LBB123_38
; %bb.37:
	v_ashrrev_i32_e32 v9, 31, v8
	v_lshlrev_b64 v[8:9], 3, v[8:9]
	s_waitcnt lgkmcnt(0)
	v_mov_b32_e32 v10, s3
	v_add_co_u32_e32 v8, vcc, s2, v8
	v_addc_co_u32_e32 v9, vcc, v10, v9, vcc
	global_store_dwordx4 v[8:9], v[4:7], off
	global_store_dwordx4 v[8:9], v[0:3], off offset:16
                                        ; implicit-def: $vgpr19_vgpr20
                                        ; implicit-def: $vgpr4
                                        ; implicit-def: $vgpr8
                                        ; implicit-def: $vgpr0
.LBB123_38:
	s_andn2_saveexec_b64 s[0:1], s[0:1]
	s_cbranch_execz .LBB123_8
; %bb.39:
	v_ashrrev_i32_e32 v9, 31, v8
	v_lshlrev_b64 v[8:9], 3, v[8:9]
	s_waitcnt lgkmcnt(0)
	v_mov_b32_e32 v10, s3
	v_add_co_u32_e32 v16, vcc, s2, v8
	v_addc_co_u32_e32 v17, vcc, v10, v9, vcc
	global_load_dwordx4 v[8:11], v[16:17], off
	global_load_dwordx4 v[12:15], v[16:17], off offset:16
	s_waitcnt vmcnt(1)
	v_fmac_f32_e32 v4, v19, v8
	v_fmac_f32_e32 v5, v20, v8
	;; [unrolled: 1-line block ×4, first 2 shown]
	s_waitcnt vmcnt(0)
	v_fmac_f32_e32 v0, v19, v12
	v_fmac_f32_e32 v1, v20, v12
	;; [unrolled: 1-line block ×4, first 2 shown]
	v_fma_f32 v4, -v20, v9, v4
	v_fmac_f32_e32 v5, v19, v9
	v_fma_f32 v6, -v20, v11, v6
	v_fmac_f32_e32 v7, v19, v11
	;; [unrolled: 2-line block ×4, first 2 shown]
	global_store_dwordx4 v[16:17], v[4:7], off
	global_store_dwordx4 v[16:17], v[0:3], off offset:16
	s_endpgm
	.section	.rodata,"a",@progbits
	.p2align	6, 0x0
	.amdhsa_kernel _ZN9rocsparseL18bsrxmvn_4x4_kernelILj128ELj32E21rocsparse_complex_numIfEiifS2_S2_EEvT3_20rocsparse_direction_NS_24const_host_device_scalarIT1_EES3_PKS3_PKT2_SC_S9_PKT4_PKT5_S7_PT6_21rocsparse_index_base_b
		.amdhsa_group_segment_fixed_size 0
		.amdhsa_private_segment_fixed_size 0
		.amdhsa_kernarg_size 96
		.amdhsa_user_sgpr_count 6
		.amdhsa_user_sgpr_private_segment_buffer 1
		.amdhsa_user_sgpr_dispatch_ptr 0
		.amdhsa_user_sgpr_queue_ptr 0
		.amdhsa_user_sgpr_kernarg_segment_ptr 1
		.amdhsa_user_sgpr_dispatch_id 0
		.amdhsa_user_sgpr_flat_scratch_init 0
		.amdhsa_user_sgpr_private_segment_size 0
		.amdhsa_uses_dynamic_stack 0
		.amdhsa_system_sgpr_private_segment_wavefront_offset 0
		.amdhsa_system_sgpr_workgroup_id_x 1
		.amdhsa_system_sgpr_workgroup_id_y 0
		.amdhsa_system_sgpr_workgroup_id_z 0
		.amdhsa_system_sgpr_workgroup_info 0
		.amdhsa_system_vgpr_workitem_id 0
		.amdhsa_next_free_vgpr 56
		.amdhsa_next_free_sgpr 18
		.amdhsa_reserve_vcc 1
		.amdhsa_reserve_flat_scratch 0
		.amdhsa_float_round_mode_32 0
		.amdhsa_float_round_mode_16_64 0
		.amdhsa_float_denorm_mode_32 3
		.amdhsa_float_denorm_mode_16_64 3
		.amdhsa_dx10_clamp 1
		.amdhsa_ieee_mode 1
		.amdhsa_fp16_overflow 0
		.amdhsa_exception_fp_ieee_invalid_op 0
		.amdhsa_exception_fp_denorm_src 0
		.amdhsa_exception_fp_ieee_div_zero 0
		.amdhsa_exception_fp_ieee_overflow 0
		.amdhsa_exception_fp_ieee_underflow 0
		.amdhsa_exception_fp_ieee_inexact 0
		.amdhsa_exception_int_div_zero 0
	.end_amdhsa_kernel
	.section	.text._ZN9rocsparseL18bsrxmvn_4x4_kernelILj128ELj32E21rocsparse_complex_numIfEiifS2_S2_EEvT3_20rocsparse_direction_NS_24const_host_device_scalarIT1_EES3_PKS3_PKT2_SC_S9_PKT4_PKT5_S7_PT6_21rocsparse_index_base_b,"axG",@progbits,_ZN9rocsparseL18bsrxmvn_4x4_kernelILj128ELj32E21rocsparse_complex_numIfEiifS2_S2_EEvT3_20rocsparse_direction_NS_24const_host_device_scalarIT1_EES3_PKS3_PKT2_SC_S9_PKT4_PKT5_S7_PT6_21rocsparse_index_base_b,comdat
.Lfunc_end123:
	.size	_ZN9rocsparseL18bsrxmvn_4x4_kernelILj128ELj32E21rocsparse_complex_numIfEiifS2_S2_EEvT3_20rocsparse_direction_NS_24const_host_device_scalarIT1_EES3_PKS3_PKT2_SC_S9_PKT4_PKT5_S7_PT6_21rocsparse_index_base_b, .Lfunc_end123-_ZN9rocsparseL18bsrxmvn_4x4_kernelILj128ELj32E21rocsparse_complex_numIfEiifS2_S2_EEvT3_20rocsparse_direction_NS_24const_host_device_scalarIT1_EES3_PKS3_PKT2_SC_S9_PKT4_PKT5_S7_PT6_21rocsparse_index_base_b
                                        ; -- End function
	.set _ZN9rocsparseL18bsrxmvn_4x4_kernelILj128ELj32E21rocsparse_complex_numIfEiifS2_S2_EEvT3_20rocsparse_direction_NS_24const_host_device_scalarIT1_EES3_PKS3_PKT2_SC_S9_PKT4_PKT5_S7_PT6_21rocsparse_index_base_b.num_vgpr, 56
	.set _ZN9rocsparseL18bsrxmvn_4x4_kernelILj128ELj32E21rocsparse_complex_numIfEiifS2_S2_EEvT3_20rocsparse_direction_NS_24const_host_device_scalarIT1_EES3_PKS3_PKT2_SC_S9_PKT4_PKT5_S7_PT6_21rocsparse_index_base_b.num_agpr, 0
	.set _ZN9rocsparseL18bsrxmvn_4x4_kernelILj128ELj32E21rocsparse_complex_numIfEiifS2_S2_EEvT3_20rocsparse_direction_NS_24const_host_device_scalarIT1_EES3_PKS3_PKT2_SC_S9_PKT4_PKT5_S7_PT6_21rocsparse_index_base_b.numbered_sgpr, 18
	.set _ZN9rocsparseL18bsrxmvn_4x4_kernelILj128ELj32E21rocsparse_complex_numIfEiifS2_S2_EEvT3_20rocsparse_direction_NS_24const_host_device_scalarIT1_EES3_PKS3_PKT2_SC_S9_PKT4_PKT5_S7_PT6_21rocsparse_index_base_b.num_named_barrier, 0
	.set _ZN9rocsparseL18bsrxmvn_4x4_kernelILj128ELj32E21rocsparse_complex_numIfEiifS2_S2_EEvT3_20rocsparse_direction_NS_24const_host_device_scalarIT1_EES3_PKS3_PKT2_SC_S9_PKT4_PKT5_S7_PT6_21rocsparse_index_base_b.private_seg_size, 0
	.set _ZN9rocsparseL18bsrxmvn_4x4_kernelILj128ELj32E21rocsparse_complex_numIfEiifS2_S2_EEvT3_20rocsparse_direction_NS_24const_host_device_scalarIT1_EES3_PKS3_PKT2_SC_S9_PKT4_PKT5_S7_PT6_21rocsparse_index_base_b.uses_vcc, 1
	.set _ZN9rocsparseL18bsrxmvn_4x4_kernelILj128ELj32E21rocsparse_complex_numIfEiifS2_S2_EEvT3_20rocsparse_direction_NS_24const_host_device_scalarIT1_EES3_PKS3_PKT2_SC_S9_PKT4_PKT5_S7_PT6_21rocsparse_index_base_b.uses_flat_scratch, 0
	.set _ZN9rocsparseL18bsrxmvn_4x4_kernelILj128ELj32E21rocsparse_complex_numIfEiifS2_S2_EEvT3_20rocsparse_direction_NS_24const_host_device_scalarIT1_EES3_PKS3_PKT2_SC_S9_PKT4_PKT5_S7_PT6_21rocsparse_index_base_b.has_dyn_sized_stack, 0
	.set _ZN9rocsparseL18bsrxmvn_4x4_kernelILj128ELj32E21rocsparse_complex_numIfEiifS2_S2_EEvT3_20rocsparse_direction_NS_24const_host_device_scalarIT1_EES3_PKS3_PKT2_SC_S9_PKT4_PKT5_S7_PT6_21rocsparse_index_base_b.has_recursion, 0
	.set _ZN9rocsparseL18bsrxmvn_4x4_kernelILj128ELj32E21rocsparse_complex_numIfEiifS2_S2_EEvT3_20rocsparse_direction_NS_24const_host_device_scalarIT1_EES3_PKS3_PKT2_SC_S9_PKT4_PKT5_S7_PT6_21rocsparse_index_base_b.has_indirect_call, 0
	.section	.AMDGPU.csdata,"",@progbits
; Kernel info:
; codeLenInByte = 6216
; TotalNumSgprs: 22
; NumVgprs: 56
; ScratchSize: 0
; MemoryBound: 0
; FloatMode: 240
; IeeeMode: 1
; LDSByteSize: 0 bytes/workgroup (compile time only)
; SGPRBlocks: 2
; VGPRBlocks: 13
; NumSGPRsForWavesPerEU: 22
; NumVGPRsForWavesPerEU: 56
; Occupancy: 4
; WaveLimiterHint : 1
; COMPUTE_PGM_RSRC2:SCRATCH_EN: 0
; COMPUTE_PGM_RSRC2:USER_SGPR: 6
; COMPUTE_PGM_RSRC2:TRAP_HANDLER: 0
; COMPUTE_PGM_RSRC2:TGID_X_EN: 1
; COMPUTE_PGM_RSRC2:TGID_Y_EN: 0
; COMPUTE_PGM_RSRC2:TGID_Z_EN: 0
; COMPUTE_PGM_RSRC2:TIDIG_COMP_CNT: 0
	.section	.text._ZN9rocsparseL18bsrxmvn_4x4_kernelILj128ELj64E21rocsparse_complex_numIfEiifS2_S2_EEvT3_20rocsparse_direction_NS_24const_host_device_scalarIT1_EES3_PKS3_PKT2_SC_S9_PKT4_PKT5_S7_PT6_21rocsparse_index_base_b,"axG",@progbits,_ZN9rocsparseL18bsrxmvn_4x4_kernelILj128ELj64E21rocsparse_complex_numIfEiifS2_S2_EEvT3_20rocsparse_direction_NS_24const_host_device_scalarIT1_EES3_PKS3_PKT2_SC_S9_PKT4_PKT5_S7_PT6_21rocsparse_index_base_b,comdat
	.globl	_ZN9rocsparseL18bsrxmvn_4x4_kernelILj128ELj64E21rocsparse_complex_numIfEiifS2_S2_EEvT3_20rocsparse_direction_NS_24const_host_device_scalarIT1_EES3_PKS3_PKT2_SC_S9_PKT4_PKT5_S7_PT6_21rocsparse_index_base_b ; -- Begin function _ZN9rocsparseL18bsrxmvn_4x4_kernelILj128ELj64E21rocsparse_complex_numIfEiifS2_S2_EEvT3_20rocsparse_direction_NS_24const_host_device_scalarIT1_EES3_PKS3_PKT2_SC_S9_PKT4_PKT5_S7_PT6_21rocsparse_index_base_b
	.p2align	8
	.type	_ZN9rocsparseL18bsrxmvn_4x4_kernelILj128ELj64E21rocsparse_complex_numIfEiifS2_S2_EEvT3_20rocsparse_direction_NS_24const_host_device_scalarIT1_EES3_PKS3_PKT2_SC_S9_PKT4_PKT5_S7_PT6_21rocsparse_index_base_b,@function
_ZN9rocsparseL18bsrxmvn_4x4_kernelILj128ELj64E21rocsparse_complex_numIfEiifS2_S2_EEvT3_20rocsparse_direction_NS_24const_host_device_scalarIT1_EES3_PKS3_PKT2_SC_S9_PKT4_PKT5_S7_PT6_21rocsparse_index_base_b: ; @_ZN9rocsparseL18bsrxmvn_4x4_kernelILj128ELj64E21rocsparse_complex_numIfEiifS2_S2_EEvT3_20rocsparse_direction_NS_24const_host_device_scalarIT1_EES3_PKS3_PKT2_SC_S9_PKT4_PKT5_S7_PT6_21rocsparse_index_base_b
; %bb.0:
	s_load_dwordx2 s[0:1], s[4:5], 0x8
	s_load_dwordx2 s[16:17], s[4:5], 0x58
	s_add_u32 s7, s4, 8
	s_addc_u32 s8, s5, 0
	s_add_u32 s9, s4, 0x48
	s_load_dwordx2 s[2:3], s[4:5], 0x48
	s_addc_u32 s10, s5, 0
	s_waitcnt lgkmcnt(0)
	s_bitcmp1_b32 s17, 0
	s_cselect_b32 s1, s8, s1
	s_cselect_b32 s0, s7, s0
	v_mov_b32_e32 v1, s0
	v_mov_b32_e32 v2, s1
	flat_load_dwordx2 v[10:11], v[1:2]
	s_cselect_b32 s0, s10, s3
	s_cselect_b32 s1, s9, s2
	v_mov_b32_e32 v1, s1
	v_mov_b32_e32 v2, s0
	flat_load_dwordx2 v[8:9], v[1:2]
	s_waitcnt vmcnt(0) lgkmcnt(0)
	v_cmp_eq_f32_e32 vcc, 0, v10
	v_cmp_eq_f32_e64 s[0:1], 0, v11
	s_and_b64 s[8:9], vcc, s[0:1]
	s_mov_b64 s[0:1], -1
	s_and_saveexec_b64 s[2:3], s[8:9]
; %bb.1:
	v_cmp_neq_f32_e32 vcc, 1.0, v8
	v_cmp_neq_f32_e64 s[0:1], 0, v9
	s_or_b64 s[0:1], vcc, s[0:1]
	s_orn2_b64 s[0:1], s[0:1], exec
; %bb.2:
	s_or_b64 exec, exec, s[2:3]
	s_and_saveexec_b64 s[2:3], s[0:1]
	s_cbranch_execz .LBB124_8
; %bb.3:
	s_load_dwordx2 s[8:9], s[4:5], 0x18
	s_load_dwordx2 s[0:1], s[4:5], 0x0
	v_lshrrev_b32_e32 v1, 6, v0
	v_lshl_or_b32 v12, s6, 1, v1
	s_mov_b64 s[2:3], 0
	s_waitcnt lgkmcnt(0)
	s_cmp_lg_u64 s[8:9], 0
	s_cbranch_scc0 .LBB124_9
; %bb.4:
	s_load_dword s6, s[4:5], 0x10
                                        ; implicit-def: $vgpr1
	s_waitcnt lgkmcnt(0)
	v_cmp_gt_i32_e32 vcc, s6, v12
	s_and_saveexec_b64 s[6:7], vcc
	s_xor_b64 s[6:7], exec, s[6:7]
	s_cbranch_execz .LBB124_6
; %bb.5:
	v_ashrrev_i32_e32 v13, 31, v12
	v_lshlrev_b64 v[1:2], 2, v[12:13]
	v_mov_b32_e32 v3, s9
	v_add_co_u32_e32 v1, vcc, s8, v1
	v_addc_co_u32_e32 v2, vcc, v3, v2, vcc
	global_load_dword v1, v[1:2], off
	s_mov_b64 s[2:3], exec
	s_waitcnt vmcnt(0)
	v_subrev_u32_e32 v1, s16, v1
.LBB124_6:
	s_or_b64 exec, exec, s[6:7]
	s_branch .LBB124_10
.LBB124_7:
	v_cmp_gt_i32_e32 vcc, s0, v12
	s_andn2_b64 s[2:3], s[2:3], exec
	s_and_b64 s[6:7], vcc, exec
	s_or_b64 s[2:3], s[2:3], s[6:7]
	s_and_b64 exec, exec, s[2:3]
	s_cbranch_execnz .LBB124_11
.LBB124_8:
	s_endpgm
.LBB124_9:
                                        ; implicit-def: $vgpr1
	s_cbranch_execnz .LBB124_7
.LBB124_10:
	v_mov_b32_e32 v12, v1
	s_and_b64 exec, exec, s[2:3]
	s_cbranch_execz .LBB124_8
.LBB124_11:
	s_load_dwordx8 s[8:15], s[4:5], 0x20
	v_ashrrev_i32_e32 v13, 31, v12
	v_lshlrev_b64 v[1:2], 2, v[12:13]
	v_and_b32_e32 v25, 63, v0
	s_load_dwordx2 s[6:7], s[4:5], 0x40
	s_waitcnt lgkmcnt(0)
	v_mov_b32_e32 v4, s9
	v_add_co_u32_e32 v3, vcc, s8, v1
	v_addc_co_u32_e32 v4, vcc, v4, v2, vcc
	global_load_dword v6, v[3:4], off
	v_add_co_u32_e32 v3, vcc, 4, v3
	v_addc_co_u32_e32 v4, vcc, 0, v4, vcc
	v_mov_b32_e32 v5, s11
	v_add_co_u32_e32 v1, vcc, s10, v1
	s_cmp_eq_u64 s[10:11], 0
	v_addc_co_u32_e32 v2, vcc, v5, v2, vcc
	s_cselect_b64 vcc, -1, 0
	v_cndmask_b32_e32 v2, v2, v4, vcc
	v_cndmask_b32_e32 v1, v1, v3, vcc
	global_load_dword v1, v[1:2], off
	v_mov_b32_e32 v2, s15
	s_cmp_eq_u32 s1, 1
	s_waitcnt vmcnt(1)
	v_subrev_u32_e32 v0, s16, v6
	v_add_u32_e32 v13, v0, v25
	v_ashrrev_i32_e32 v14, 31, v13
	s_waitcnt vmcnt(0)
	v_subrev_u32_e32 v29, s16, v1
	v_lshlrev_b64 v[0:1], 6, v[13:14]
	v_cmp_lt_i32_e64 s[0:1], v13, v29
	v_add_co_u32_e32 v15, vcc, s14, v0
	v_addc_co_u32_e32 v16, vcc, v2, v1, vcc
	s_cbranch_scc1 .LBB124_23
; %bb.12:
	v_mov_b32_e32 v30, 0
	v_mov_b32_e32 v34, 0
	;; [unrolled: 1-line block ×8, first 2 shown]
	s_and_saveexec_b64 s[8:9], s[0:1]
	s_cbranch_execz .LBB124_22
; %bb.13:
	v_add_u32_e32 v0, v6, v25
	v_subrev_u32_e32 v0, s16, v0
	v_add_u32_e32 v0, 64, v0
	v_max_i32_e32 v0, v0, v29
	v_not_b32_e32 v1, v6
	v_add3_u32 v0, s16, v0, v1
	v_sub_u32_e32 v4, v0, v25
	s_movk_i32 s2, 0xc0
	v_and_b32_e32 v0, 0xc0, v4
	v_mov_b32_e32 v2, v15
	v_cmp_ne_u32_e32 vcc, s2, v0
	v_mov_b32_e32 v26, 0
	v_mov_b32_e32 v27, 0
	;; [unrolled: 1-line block ×10, first 2 shown]
	s_and_saveexec_b64 s[10:11], vcc
	s_cbranch_execz .LBB124_17
; %bb.14:
	v_lshrrev_b32_e32 v0, 6, v4
	v_add_u32_e32 v0, 1, v0
	v_and_b32_e32 v0, 3, v0
	v_mov_b32_e32 v2, v15
	v_sub_u32_e32 v5, 0, v0
	v_mov_b32_e32 v30, 0
	s_mov_b64 s[14:15], 0
	v_mov_b32_e32 v7, s13
	v_mov_b32_e32 v14, s7
	;; [unrolled: 1-line block ×11, first 2 shown]
.LBB124_15:                             ; =>This Inner Loop Header: Depth=1
	v_ashrrev_i32_e32 v1, 31, v0
	v_lshlrev_b64 v[17:18], 2, v[0:1]
	v_add_co_u32_e64 v5, s[2:3], 1, v5
	v_add_co_u32_e32 v43, vcc, s12, v17
	v_addc_co_u32_e32 v44, vcc, v7, v18, vcc
	global_load_dword v1, v[43:44], off
	global_load_dwordx4 v[17:20], v[2:3], off
	global_load_dwordx4 v[21:24], v[2:3], off offset:16
	global_load_dwordx4 v[35:38], v[2:3], off offset:32
	;; [unrolled: 1-line block ×3, first 2 shown]
	v_add_u32_e32 v0, 64, v0
	s_or_b64 s[14:15], s[2:3], s[14:15]
	s_waitcnt vmcnt(4)
	v_subrev_u32_e32 v1, s16, v1
	v_lshlrev_b32_e32 v43, 2, v1
	v_ashrrev_i32_e32 v44, 31, v43
	v_lshlrev_b64 v[43:44], 3, v[43:44]
	v_add_co_u32_e32 v51, vcc, s6, v43
	v_addc_co_u32_e32 v52, vcc, v14, v44, vcc
	global_load_dwordx4 v[43:46], v[51:52], off
	global_load_dwordx4 v[47:50], v[51:52], off offset:16
	v_add_co_u32_e32 v2, vcc, 0x1000, v2
	v_addc_co_u32_e32 v3, vcc, 0, v3, vcc
	s_waitcnt vmcnt(1)
	v_fmac_f32_e32 v34, v17, v43
	v_fmac_f32_e32 v30, 0, v43
	;; [unrolled: 1-line block ×32, first 2 shown]
	s_waitcnt vmcnt(0)
	v_fmac_f32_e32 v34, v19, v47
	v_fmac_f32_e32 v30, 0, v47
	;; [unrolled: 1-line block ×32, first 2 shown]
	s_andn2_b64 exec, exec, s[14:15]
	s_cbranch_execnz .LBB124_15
; %bb.16:
	s_or_b64 exec, exec, s[14:15]
.LBB124_17:
	s_or_b64 exec, exec, s[10:11]
	s_movk_i32 s2, 0xbf
	v_cmp_lt_u32_e32 vcc, s2, v4
	s_and_saveexec_b64 s[10:11], vcc
	s_cbranch_execz .LBB124_21
; %bb.18:
	s_mov_b64 s[14:15], 0
	v_mov_b32_e32 v7, s13
	v_mov_b32_e32 v14, s7
	s_movk_i32 s17, 0x1000
	s_movk_i32 s18, 0x2000
	;; [unrolled: 1-line block ×3, first 2 shown]
.LBB124_19:                             ; =>This Inner Loop Header: Depth=1
	v_ashrrev_i32_e32 v1, 31, v0
	v_lshlrev_b64 v[4:5], 2, v[0:1]
	v_add_u32_e32 v0, 0x100, v0
	v_add_co_u32_e32 v4, vcc, s12, v4
	v_addc_co_u32_e32 v5, vcc, v7, v5, vcc
	global_load_dword v1, v[4:5], off
	global_load_dwordx4 v[17:20], v[2:3], off offset:48
	global_load_dwordx4 v[21:24], v[2:3], off offset:32
	;; [unrolled: 1-line block ×3, first 2 shown]
	global_load_dwordx4 v[39:42], v[2:3], off
	v_cmp_ge_i32_e64 s[2:3], v0, v29
	s_or_b64 s[14:15], s[2:3], s[14:15]
	s_waitcnt vmcnt(4)
	v_subrev_u32_e32 v1, s16, v1
	v_lshlrev_b32_e32 v43, 2, v1
	v_ashrrev_i32_e32 v44, 31, v43
	v_lshlrev_b64 v[43:44], 3, v[43:44]
	v_add_co_u32_e32 v51, vcc, s6, v43
	v_addc_co_u32_e32 v52, vcc, v14, v44, vcc
	global_load_dwordx4 v[43:46], v[51:52], off offset:16
	global_load_dwordx4 v[47:50], v[51:52], off
	global_load_dword v1, v[4:5], off offset:256
	s_waitcnt vmcnt(1)
	v_fmac_f32_e32 v34, v39, v47
	v_fmac_f32_e32 v30, 0, v47
	;; [unrolled: 1-line block ×40, first 2 shown]
	v_add_co_u32_e32 v43, vcc, s17, v2
	v_fmac_f32_e32 v34, 0x80000000, v44
	v_fmac_f32_e32 v30, v41, v44
	;; [unrolled: 1-line block ×8, first 2 shown]
	v_addc_co_u32_e32 v44, vcc, 0, v3, vcc
	s_waitcnt vmcnt(0)
	v_subrev_u32_e32 v1, s16, v1
	v_fmac_f32_e32 v34, v42, v45
	v_fmac_f32_e32 v30, 0, v45
	;; [unrolled: 1-line block ×8, first 2 shown]
	v_lshlrev_b32_e32 v45, 2, v1
	v_add_co_u32_e32 v51, vcc, s18, v2
	v_fmac_f32_e32 v34, 0x80000000, v46
	v_fmac_f32_e32 v30, v42, v46
	;; [unrolled: 1-line block ×8, first 2 shown]
	v_addc_co_u32_e32 v52, vcc, 0, v3, vcc
	v_ashrrev_i32_e32 v46, 31, v45
	global_load_dwordx4 v[17:20], v[51:52], off offset:-4096
	global_load_dwordx4 v[21:24], v[43:44], off offset:48
	global_load_dwordx4 v[35:38], v[43:44], off offset:32
	;; [unrolled: 1-line block ×3, first 2 shown]
	v_lshlrev_b64 v[43:44], 3, v[45:46]
	v_add_co_u32_e32 v53, vcc, s6, v43
	v_addc_co_u32_e32 v54, vcc, v14, v44, vcc
	global_load_dwordx4 v[43:46], v[53:54], off offset:16
	global_load_dwordx4 v[47:50], v[53:54], off
	global_load_dword v1, v[4:5], off offset:512
	s_waitcnt vmcnt(1)
	v_fmac_f32_e32 v34, v17, v47
	v_fmac_f32_e32 v30, 0, v47
	;; [unrolled: 1-line block ×32, first 2 shown]
	s_waitcnt vmcnt(0)
	v_subrev_u32_e32 v1, s16, v1
	v_fmac_f32_e32 v34, v19, v43
	v_fmac_f32_e32 v30, 0, v43
	v_fmac_f32_e32 v33, v41, v43
	v_fmac_f32_e32 v32, 0, v43
	v_fmac_f32_e32 v31, v37, v43
	v_fmac_f32_e32 v28, 0, v43
	v_fmac_f32_e32 v26, v23, v43
	v_fmac_f32_e32 v27, 0, v43
	v_lshlrev_b32_e32 v43, 2, v1
	v_fmac_f32_e32 v34, 0x80000000, v44
	v_fmac_f32_e32 v30, v19, v44
	;; [unrolled: 1-line block ×8, first 2 shown]
	v_ashrrev_i32_e32 v44, 31, v43
	v_lshlrev_b64 v[43:44], 3, v[43:44]
	v_fmac_f32_e32 v30, 0, v45
	v_fmac_f32_e32 v32, 0, v45
	;; [unrolled: 1-line block ×12, first 2 shown]
	global_load_dwordx4 v[17:20], v[51:52], off
	global_load_dwordx4 v[21:24], v[51:52], off offset:48
	global_load_dwordx4 v[35:38], v[51:52], off offset:32
	;; [unrolled: 1-line block ×3, first 2 shown]
	v_add_co_u32_e32 v51, vcc, s6, v43
	v_addc_co_u32_e32 v52, vcc, v14, v44, vcc
	v_fmac_f32_e32 v34, 0x80000000, v46
	v_fmac_f32_e32 v33, 0x80000000, v46
	;; [unrolled: 1-line block ×4, first 2 shown]
	global_load_dwordx4 v[43:46], v[51:52], off offset:16
	global_load_dwordx4 v[47:50], v[51:52], off
	global_load_dword v1, v[4:5], off offset:768
	s_waitcnt vmcnt(1)
	v_fmac_f32_e32 v34, v17, v47
	v_fmac_f32_e32 v30, 0, v47
	;; [unrolled: 1-line block ×16, first 2 shown]
	s_waitcnt vmcnt(0)
	v_subrev_u32_e32 v1, s16, v1
	v_fmac_f32_e32 v34, v18, v49
	v_fmac_f32_e32 v30, 0, v49
	;; [unrolled: 1-line block ×8, first 2 shown]
	v_lshlrev_b32_e32 v4, 2, v1
	v_fmac_f32_e32 v34, 0x80000000, v50
	v_fmac_f32_e32 v30, v18, v50
	;; [unrolled: 1-line block ×8, first 2 shown]
	v_ashrrev_i32_e32 v5, 31, v4
	v_fmac_f32_e32 v34, v19, v43
	v_fmac_f32_e32 v30, 0, v43
	v_fmac_f32_e32 v33, v41, v43
	v_fmac_f32_e32 v32, 0, v43
	v_fmac_f32_e32 v31, v37, v43
	v_fmac_f32_e32 v28, 0, v43
	v_fmac_f32_e32 v26, v23, v43
	v_fmac_f32_e32 v27, 0, v43
	v_add_co_u32_e32 v43, vcc, s19, v2
	v_lshlrev_b64 v[4:5], 3, v[4:5]
	v_fmac_f32_e32 v34, 0x80000000, v44
	v_fmac_f32_e32 v30, v19, v44
	;; [unrolled: 1-line block ×8, first 2 shown]
	v_addc_co_u32_e32 v44, vcc, 0, v3, vcc
	v_add_co_u32_e32 v4, vcc, s6, v4
	v_fmac_f32_e32 v34, v20, v45
	v_fmac_f32_e32 v30, 0, v45
	;; [unrolled: 1-line block ×8, first 2 shown]
	v_addc_co_u32_e32 v5, vcc, v14, v5, vcc
	v_fmac_f32_e32 v34, 0x80000000, v46
	v_fmac_f32_e32 v30, v20, v46
	;; [unrolled: 1-line block ×8, first 2 shown]
	global_load_dwordx4 v[17:20], v[43:44], off
	global_load_dwordx4 v[21:24], v[43:44], off offset:48
	global_load_dwordx4 v[35:38], v[43:44], off offset:32
	;; [unrolled: 1-line block ×3, first 2 shown]
	s_nop 0
	global_load_dwordx4 v[43:46], v[4:5], off offset:16
	global_load_dwordx4 v[47:50], v[4:5], off
	v_add_co_u32_e32 v2, vcc, 0x4000, v2
	v_addc_co_u32_e32 v3, vcc, 0, v3, vcc
	s_waitcnt vmcnt(0)
	v_fmac_f32_e32 v34, v17, v47
	v_fmac_f32_e32 v30, 0, v47
	;; [unrolled: 1-line block ×64, first 2 shown]
	s_andn2_b64 exec, exec, s[14:15]
	s_cbranch_execnz .LBB124_19
; %bb.20:
	s_or_b64 exec, exec, s[14:15]
.LBB124_21:
	s_or_b64 exec, exec, s[10:11]
.LBB124_22:
	s_or_b64 exec, exec, s[8:9]
	s_cbranch_execz .LBB124_24
	s_branch .LBB124_35
.LBB124_23:
                                        ; implicit-def: $vgpr30
                                        ; implicit-def: $vgpr34
                                        ; implicit-def: $vgpr32
                                        ; implicit-def: $vgpr33
                                        ; implicit-def: $vgpr28
                                        ; implicit-def: $vgpr31
                                        ; implicit-def: $vgpr27
                                        ; implicit-def: $vgpr26
.LBB124_24:
	v_mov_b32_e32 v30, 0
	v_mov_b32_e32 v34, 0
	;; [unrolled: 1-line block ×8, first 2 shown]
	s_and_saveexec_b64 s[8:9], s[0:1]
	s_cbranch_execz .LBB124_34
; %bb.25:
	v_add_u32_e32 v0, v6, v25
	v_subrev_u32_e32 v0, s16, v0
	v_add_u32_e32 v0, 64, v0
	v_max_i32_e32 v0, v0, v29
	v_not_b32_e32 v1, v6
	v_add3_u32 v0, s16, v0, v1
	v_sub_u32_e32 v0, v0, v25
	s_movk_i32 s0, 0xc0
	v_and_b32_e32 v1, 0xc0, v0
	v_cmp_ne_u32_e32 vcc, s0, v1
	v_mov_b32_e32 v26, 0
	v_mov_b32_e32 v27, 0
	;; [unrolled: 1-line block ×8, first 2 shown]
	s_and_saveexec_b64 s[2:3], vcc
	s_cbranch_execz .LBB124_29
; %bb.26:
	v_lshrrev_b32_e32 v1, 6, v0
	v_add_u32_e32 v1, 1, v1
	v_and_b32_e32 v1, 3, v1
	v_sub_u32_e32 v1, 0, v1
	v_mov_b32_e32 v30, 0
	s_mov_b64 s[10:11], 0
	v_mov_b32_e32 v2, s13
	v_mov_b32_e32 v3, s7
	;; [unrolled: 1-line block ×9, first 2 shown]
.LBB124_27:                             ; =>This Inner Loop Header: Depth=1
	v_ashrrev_i32_e32 v14, 31, v13
	v_lshlrev_b64 v[4:5], 2, v[13:14]
	v_add_co_u32_e64 v1, s[0:1], 1, v1
	v_add_co_u32_e32 v35, vcc, s12, v4
	v_addc_co_u32_e32 v36, vcc, v2, v5, vcc
	global_load_dword v14, v[35:36], off
	global_load_dwordx4 v[4:7], v[15:16], off offset:32
	global_load_dwordx4 v[17:20], v[15:16], off offset:16
	global_load_dwordx4 v[21:24], v[15:16], off
	v_add_u32_e32 v13, 64, v13
	s_or_b64 s[10:11], s[0:1], s[10:11]
	s_waitcnt vmcnt(3)
	v_subrev_u32_e32 v14, s16, v14
	v_lshlrev_b32_e32 v35, 2, v14
	v_ashrrev_i32_e32 v36, 31, v35
	v_lshlrev_b64 v[35:36], 3, v[35:36]
	v_add_co_u32_e32 v47, vcc, s6, v35
	v_addc_co_u32_e32 v48, vcc, v3, v36, vcc
	global_load_dwordx4 v[35:38], v[47:48], off
	global_load_dwordx4 v[39:42], v[47:48], off offset:16
	global_load_dwordx4 v[43:46], v[15:16], off offset:48
	v_add_co_u32_e32 v15, vcc, 0x1000, v15
	v_addc_co_u32_e32 v16, vcc, 0, v16, vcc
	s_waitcnt vmcnt(2)
	v_fmac_f32_e32 v34, v21, v35
	v_fmac_f32_e32 v30, 0, v35
	;; [unrolled: 1-line block ×32, first 2 shown]
	s_waitcnt vmcnt(1)
	v_fmac_f32_e32 v34, v4, v39
	v_fmac_f32_e32 v30, 0, v39
	;; [unrolled: 1-line block ×16, first 2 shown]
	s_waitcnt vmcnt(0)
	v_fmac_f32_e32 v34, v43, v41
	v_fmac_f32_e32 v30, 0, v41
	;; [unrolled: 1-line block ×16, first 2 shown]
	s_andn2_b64 exec, exec, s[10:11]
	s_cbranch_execnz .LBB124_27
; %bb.28:
	s_or_b64 exec, exec, s[10:11]
.LBB124_29:
	s_or_b64 exec, exec, s[2:3]
	s_movk_i32 s0, 0xbf
	v_cmp_lt_u32_e32 vcc, s0, v0
	s_and_saveexec_b64 s[10:11], vcc
	s_cbranch_execz .LBB124_33
; %bb.30:
	s_mov_b64 s[14:15], 0
	v_mov_b32_e32 v35, s13
	v_mov_b32_e32 v36, s7
	s_movk_i32 s7, 0x1000
	s_movk_i32 s13, 0x2000
	;; [unrolled: 1-line block ×3, first 2 shown]
.LBB124_31:                             ; =>This Inner Loop Header: Depth=1
	v_ashrrev_i32_e32 v14, 31, v13
	v_lshlrev_b64 v[4:5], 2, v[13:14]
	global_load_dwordx4 v[0:3], v[15:16], off offset:32
	global_load_dwordx4 v[37:40], v[15:16], off offset:16
	global_load_dwordx4 v[41:44], v[15:16], off
	v_add_co_u32_e64 v17, s[0:1], s12, v4
	v_addc_co_u32_e64 v18, s[0:1], v35, v5, s[0:1]
	global_load_dword v4, v[17:18], off
	v_add_co_u32_e32 v19, vcc, s13, v15
	v_add_co_u32_e64 v21, s[2:3], s17, v15
	v_addc_co_u32_e32 v20, vcc, 0, v16, vcc
	v_addc_co_u32_e64 v22, vcc, 0, v16, s[2:3]
	v_add_u32_e32 v13, 0x100, v13
	s_waitcnt vmcnt(0)
	v_subrev_u32_e32 v4, s16, v4
	v_lshlrev_b32_e32 v4, 2, v4
	v_ashrrev_i32_e32 v5, 31, v4
	v_lshlrev_b64 v[4:5], 3, v[4:5]
	v_add_co_u32_e64 v23, s[0:1], s6, v4
	v_addc_co_u32_e64 v24, s[0:1], v36, v5, s[0:1]
	global_load_dwordx4 v[4:7], v[23:24], off
	v_add_co_u32_e64 v45, s[0:1], s7, v15
	v_addc_co_u32_e64 v46, vcc, 0, v16, s[0:1]
	v_cmp_ge_i32_e64 s[0:1], v13, v29
	s_or_b64 s[14:15], s[0:1], s[14:15]
	s_waitcnt vmcnt(0)
	v_fmac_f32_e32 v34, v41, v4
	v_fmac_f32_e32 v30, 0, v4
	;; [unrolled: 1-line block ×8, first 2 shown]
	global_load_dword v4, v[17:18], off offset:256
	v_fmac_f32_e32 v30, v41, v5
	v_fmac_f32_e32 v32, v42, v5
	;; [unrolled: 1-line block ×24, first 2 shown]
	global_load_dwordx4 v[41:44], v[15:16], off offset:48
	global_load_dwordx4 v[37:40], v[45:46], off offset:16
	s_waitcnt vmcnt(2)
	v_subrev_u32_e32 v4, s16, v4
	v_lshlrev_b32_e32 v4, 2, v4
	v_ashrrev_i32_e32 v5, 31, v4
	v_lshlrev_b64 v[4:5], 3, v[4:5]
	v_add_co_u32_e32 v47, vcc, s6, v4
	v_addc_co_u32_e32 v48, vcc, v36, v5, vcc
	global_load_dwordx4 v[4:7], v[23:24], off offset:16
	s_waitcnt vmcnt(0)
	v_fmac_f32_e32 v34, v0, v4
	v_fmac_f32_e32 v30, 0, v4
	;; [unrolled: 1-line block ×24, first 2 shown]
	global_load_dwordx4 v[0:3], v[19:20], off offset:-4096
	v_fmac_f32_e32 v30, v41, v7
	v_fmac_f32_e32 v32, v42, v7
	;; [unrolled: 1-line block ×8, first 2 shown]
	global_load_dwordx4 v[4:7], v[47:48], off
	s_waitcnt vmcnt(0)
	v_fmac_f32_e32 v34, v0, v4
	v_fmac_f32_e32 v30, 0, v4
	;; [unrolled: 1-line block ×24, first 2 shown]
	global_load_dwordx4 v[0:3], v[19:20], off
	v_fmac_f32_e32 v30, v37, v7
	v_fmac_f32_e32 v32, v38, v7
	;; [unrolled: 1-line block ×4, first 2 shown]
	global_load_dwordx4 v[37:40], v[45:46], off offset:32
	v_fmac_f32_e32 v34, 0x80000000, v7
	v_fmac_f32_e32 v33, 0x80000000, v7
	;; [unrolled: 1-line block ×4, first 2 shown]
	global_load_dwordx4 v[4:7], v[45:46], off offset:48
	global_load_dwordx4 v[41:44], v[47:48], off offset:16
	s_waitcnt vmcnt(0)
	v_fmac_f32_e32 v30, 0, v41
	v_fmac_f32_e32 v34, v37, v41
	;; [unrolled: 1-line block ×7, first 2 shown]
	global_load_dword v4, v[17:18], off offset:512
	v_fmac_f32_e32 v32, 0, v41
	v_fmac_f32_e32 v33, v38, v41
	;; [unrolled: 1-line block ×21, first 2 shown]
	global_load_dwordx4 v[37:40], v[19:20], off offset:16
	v_fmac_f32_e32 v34, 0x80000000, v44
	v_fmac_f32_e32 v33, 0x80000000, v44
	;; [unrolled: 1-line block ×4, first 2 shown]
	s_waitcnt vmcnt(1)
	v_subrev_u32_e32 v4, s16, v4
	v_lshlrev_b32_e32 v4, 2, v4
	v_ashrrev_i32_e32 v5, 31, v4
	v_lshlrev_b64 v[4:5], 3, v[4:5]
	v_add_co_u32_e32 v23, vcc, s6, v4
	v_addc_co_u32_e32 v24, vcc, v36, v5, vcc
	global_load_dwordx4 v[4:7], v[23:24], off
	s_waitcnt vmcnt(0)
	v_fmac_f32_e32 v30, 0, v4
	v_fmac_f32_e32 v32, 0, v4
	;; [unrolled: 1-line block ×12, first 2 shown]
	global_load_dwordx4 v[41:44], v[19:20], off offset:48
	global_load_dwordx4 v[0:3], v[19:20], off offset:32
	;; [unrolled: 1-line block ×3, first 2 shown]
	v_fmac_f32_e32 v34, 0x80000000, v5
	v_fmac_f32_e32 v33, 0x80000000, v5
	;; [unrolled: 1-line block ×20, first 2 shown]
	global_load_dwordx4 v[37:40], v[21:22], off
	s_waitcnt vmcnt(1)
	v_fmac_f32_e32 v30, 0, v45
	v_fmac_f32_e32 v32, 0, v45
	v_fmac_f32_e32 v28, 0, v45
	v_fmac_f32_e32 v27, 0, v45
	v_fmac_f32_e32 v34, v0, v45
	v_fmac_f32_e32 v33, v1, v45
	v_fmac_f32_e32 v31, v2, v45
	v_fmac_f32_e32 v26, v3, v45
	v_fmac_f32_e32 v30, v0, v46
	v_fmac_f32_e32 v32, v1, v46
	v_fmac_f32_e32 v28, v2, v46
	v_fmac_f32_e32 v27, v3, v46
	global_load_dwordx4 v[0:3], v[21:22], off offset:32
	global_load_dwordx4 v[4:7], v[21:22], off offset:16
	global_load_dword v14, v[17:18], off offset:768
	v_fmac_f32_e32 v34, 0x80000000, v46
	v_fmac_f32_e32 v33, 0x80000000, v46
	;; [unrolled: 1-line block ×20, first 2 shown]
	s_waitcnt vmcnt(0)
	v_subrev_u32_e32 v14, s16, v14
	v_lshlrev_b32_e32 v17, 2, v14
	v_ashrrev_i32_e32 v18, 31, v17
	v_lshlrev_b64 v[17:18], 3, v[17:18]
	v_add_co_u32_e32 v23, vcc, s6, v17
	v_addc_co_u32_e32 v24, vcc, v36, v18, vcc
	global_load_dwordx4 v[17:20], v[23:24], off
	global_load_dwordx4 v[41:44], v[23:24], off offset:16
	v_add_co_u32_e32 v15, vcc, 0x4000, v15
	global_load_dwordx4 v[21:24], v[21:22], off offset:48
	v_addc_co_u32_e32 v16, vcc, 0, v16, vcc
	s_waitcnt vmcnt(2)
	v_fmac_f32_e32 v34, v37, v17
	v_fmac_f32_e32 v30, 0, v17
	;; [unrolled: 1-line block ×32, first 2 shown]
	s_waitcnt vmcnt(1)
	v_fmac_f32_e32 v34, v0, v41
	v_fmac_f32_e32 v30, 0, v41
	;; [unrolled: 1-line block ×16, first 2 shown]
	s_waitcnt vmcnt(0)
	v_fmac_f32_e32 v34, v21, v43
	v_fmac_f32_e32 v30, 0, v43
	;; [unrolled: 1-line block ×16, first 2 shown]
	s_andn2_b64 exec, exec, s[14:15]
	s_cbranch_execnz .LBB124_31
; %bb.32:
	s_or_b64 exec, exec, s[14:15]
.LBB124_33:
	s_or_b64 exec, exec, s[10:11]
.LBB124_34:
	s_or_b64 exec, exec, s[8:9]
.LBB124_35:
	v_mov_b32_dpp v0, v34 row_shr:1 row_mask:0xf bank_mask:0xf
	v_mov_b32_dpp v2, v30 row_shr:1 row_mask:0xf bank_mask:0xf
	v_mov_b32_dpp v4, v33 row_shr:1 row_mask:0xf bank_mask:0xf
	v_mov_b32_dpp v6, v32 row_shr:1 row_mask:0xf bank_mask:0xf
	v_mov_b32_dpp v13, v31 row_shr:1 row_mask:0xf bank_mask:0xf
	v_mov_b32_dpp v15, v28 row_shr:1 row_mask:0xf bank_mask:0xf
	v_mov_b32_dpp v17, v26 row_shr:1 row_mask:0xf bank_mask:0xf
	v_mov_b32_dpp v19, v27 row_shr:1 row_mask:0xf bank_mask:0xf
	v_add_f32_e32 v0, v34, v0
	v_add_f32_e32 v2, v30, v2
	v_add_f32_e32 v4, v33, v4
	v_add_f32_e32 v6, v32, v6
	v_add_f32_e32 v13, v31, v13
	v_add_f32_e32 v15, v28, v15
	v_add_f32_e32 v17, v26, v17
	v_add_f32_e32 v19, v27, v19
	v_mov_b32_dpp v1, v0 row_shr:2 row_mask:0xf bank_mask:0xf
	v_mov_b32_dpp v3, v2 row_shr:2 row_mask:0xf bank_mask:0xf
	v_mov_b32_dpp v5, v4 row_shr:2 row_mask:0xf bank_mask:0xf
	v_mov_b32_dpp v7, v6 row_shr:2 row_mask:0xf bank_mask:0xf
	v_mov_b32_dpp v14, v13 row_shr:2 row_mask:0xf bank_mask:0xf
	v_mov_b32_dpp v16, v15 row_shr:2 row_mask:0xf bank_mask:0xf
	v_mov_b32_dpp v18, v17 row_shr:2 row_mask:0xf bank_mask:0xf
	v_mov_b32_dpp v20, v19 row_shr:2 row_mask:0xf bank_mask:0xf
	v_add_f32_e32 v0, v0, v1
	v_add_f32_e32 v2, v2, v3
	v_add_f32_e32 v4, v4, v5
	v_add_f32_e32 v6, v6, v7
	v_add_f32_e32 v13, v13, v14
	v_add_f32_e32 v15, v15, v16
	v_add_f32_e32 v17, v17, v18
	v_add_f32_e32 v19, v19, v20
	v_mov_b32_dpp v1, v0 row_shr:4 row_mask:0xf bank_mask:0xe
	v_mov_b32_dpp v3, v2 row_shr:4 row_mask:0xf bank_mask:0xe
	v_mov_b32_dpp v5, v4 row_shr:4 row_mask:0xf bank_mask:0xe
	v_mov_b32_dpp v7, v6 row_shr:4 row_mask:0xf bank_mask:0xe
	v_mov_b32_dpp v14, v13 row_shr:4 row_mask:0xf bank_mask:0xe
	v_mov_b32_dpp v16, v15 row_shr:4 row_mask:0xf bank_mask:0xe
	v_mov_b32_dpp v18, v17 row_shr:4 row_mask:0xf bank_mask:0xe
	v_mov_b32_dpp v20, v19 row_shr:4 row_mask:0xf bank_mask:0xe
	v_add_f32_e32 v0, v0, v1
	v_add_f32_e32 v2, v2, v3
	v_add_f32_e32 v4, v4, v5
	v_add_f32_e32 v6, v6, v7
	v_add_f32_e32 v13, v13, v14
	v_add_f32_e32 v15, v15, v16
	v_add_f32_e32 v17, v17, v18
	v_add_f32_e32 v19, v19, v20
	v_mov_b32_dpp v1, v0 row_shr:8 row_mask:0xf bank_mask:0xc
	v_mov_b32_dpp v3, v2 row_shr:8 row_mask:0xf bank_mask:0xc
	v_mov_b32_dpp v5, v4 row_shr:8 row_mask:0xf bank_mask:0xc
	v_mov_b32_dpp v7, v6 row_shr:8 row_mask:0xf bank_mask:0xc
	v_mov_b32_dpp v14, v13 row_shr:8 row_mask:0xf bank_mask:0xc
	v_mov_b32_dpp v16, v15 row_shr:8 row_mask:0xf bank_mask:0xc
	v_mov_b32_dpp v18, v17 row_shr:8 row_mask:0xf bank_mask:0xc
	v_mov_b32_dpp v20, v19 row_shr:8 row_mask:0xf bank_mask:0xc
	v_add_f32_e32 v0, v0, v1
	v_add_f32_e32 v2, v2, v3
	v_add_f32_e32 v4, v4, v5
	v_add_f32_e32 v6, v6, v7
	v_add_f32_e32 v13, v13, v14
	v_add_f32_e32 v15, v15, v16
	v_add_f32_e32 v17, v17, v18
	v_add_f32_e32 v19, v19, v20
	v_mov_b32_dpp v1, v0 row_bcast:15 row_mask:0xa bank_mask:0xf
	v_mov_b32_dpp v3, v2 row_bcast:15 row_mask:0xa bank_mask:0xf
	;; [unrolled: 1-line block ×8, first 2 shown]
	v_add_f32_e32 v0, v0, v1
	v_add_f32_e32 v2, v2, v3
	;; [unrolled: 1-line block ×8, first 2 shown]
	v_mov_b32_dpp v1, v0 row_bcast:31 row_mask:0xc bank_mask:0xf
	v_mov_b32_dpp v3, v2 row_bcast:31 row_mask:0xc bank_mask:0xf
	;; [unrolled: 1-line block ×8, first 2 shown]
	v_cmp_eq_u32_e32 vcc, 63, v25
	s_and_b64 exec, exec, vcc
	s_cbranch_execz .LBB124_8
; %bb.36:
	s_load_dwordx2 s[2:3], s[4:5], 0x50
	v_add_f32_e32 v21, v0, v1
	v_add_f32_e32 v0, v2, v3
	;; [unrolled: 1-line block ×8, first 2 shown]
	v_cmp_eq_f32_e32 vcc, 0, v8
	v_cmp_eq_f32_e64 s[0:1], 0, v9
	v_mul_f32_e64 v4, v0, -v11
	v_mul_f32_e32 v5, v10, v0
	v_mul_f32_e64 v6, v1, -v11
	v_mul_f32_e32 v7, v10, v1
	v_mul_f32_e64 v0, v2, -v11
	v_mul_f32_e32 v1, v10, v2
	v_mul_f32_e64 v2, v3, -v11
	v_mul_f32_e32 v3, v10, v3
	s_and_b64 s[0:1], vcc, s[0:1]
	v_fmac_f32_e32 v4, v10, v21
	v_fmac_f32_e32 v5, v11, v21
	v_lshlrev_b32_e32 v12, 2, v12
	v_fmac_f32_e32 v6, v10, v22
	v_fmac_f32_e32 v7, v11, v22
	;; [unrolled: 1-line block ×6, first 2 shown]
	s_and_saveexec_b64 s[4:5], s[0:1]
	s_xor_b64 s[0:1], exec, s[4:5]
	s_cbranch_execz .LBB124_38
; %bb.37:
	v_ashrrev_i32_e32 v13, 31, v12
	v_lshlrev_b64 v[8:9], 3, v[12:13]
	s_waitcnt lgkmcnt(0)
	v_mov_b32_e32 v10, s3
	v_add_co_u32_e32 v8, vcc, s2, v8
	v_addc_co_u32_e32 v9, vcc, v10, v9, vcc
	global_store_dwordx4 v[8:9], v[4:7], off
	global_store_dwordx4 v[8:9], v[0:3], off offset:16
                                        ; implicit-def: $vgpr8_vgpr9
                                        ; implicit-def: $vgpr4
                                        ; implicit-def: $vgpr12
                                        ; implicit-def: $vgpr0
.LBB124_38:
	s_andn2_saveexec_b64 s[0:1], s[0:1]
	s_cbranch_execz .LBB124_8
; %bb.39:
	v_ashrrev_i32_e32 v13, 31, v12
	v_lshlrev_b64 v[10:11], 3, v[12:13]
	s_waitcnt lgkmcnt(0)
	v_mov_b32_e32 v12, s3
	v_add_co_u32_e32 v18, vcc, s2, v10
	v_addc_co_u32_e32 v19, vcc, v12, v11, vcc
	global_load_dwordx4 v[10:13], v[18:19], off
	global_load_dwordx4 v[14:17], v[18:19], off offset:16
	s_waitcnt vmcnt(1)
	v_fmac_f32_e32 v4, v8, v10
	v_fmac_f32_e32 v5, v9, v10
	v_fmac_f32_e32 v6, v8, v12
	v_fmac_f32_e32 v7, v9, v12
	s_waitcnt vmcnt(0)
	v_fmac_f32_e32 v0, v8, v14
	v_fmac_f32_e32 v1, v9, v14
	;; [unrolled: 1-line block ×4, first 2 shown]
	v_fma_f32 v4, -v9, v11, v4
	v_fmac_f32_e32 v5, v8, v11
	v_fma_f32 v6, -v9, v13, v6
	v_fmac_f32_e32 v7, v8, v13
	;; [unrolled: 2-line block ×4, first 2 shown]
	global_store_dwordx4 v[18:19], v[4:7], off
	global_store_dwordx4 v[18:19], v[0:3], off offset:16
	s_endpgm
	.section	.rodata,"a",@progbits
	.p2align	6, 0x0
	.amdhsa_kernel _ZN9rocsparseL18bsrxmvn_4x4_kernelILj128ELj64E21rocsparse_complex_numIfEiifS2_S2_EEvT3_20rocsparse_direction_NS_24const_host_device_scalarIT1_EES3_PKS3_PKT2_SC_S9_PKT4_PKT5_S7_PT6_21rocsparse_index_base_b
		.amdhsa_group_segment_fixed_size 0
		.amdhsa_private_segment_fixed_size 0
		.amdhsa_kernarg_size 96
		.amdhsa_user_sgpr_count 6
		.amdhsa_user_sgpr_private_segment_buffer 1
		.amdhsa_user_sgpr_dispatch_ptr 0
		.amdhsa_user_sgpr_queue_ptr 0
		.amdhsa_user_sgpr_kernarg_segment_ptr 1
		.amdhsa_user_sgpr_dispatch_id 0
		.amdhsa_user_sgpr_flat_scratch_init 0
		.amdhsa_user_sgpr_private_segment_size 0
		.amdhsa_uses_dynamic_stack 0
		.amdhsa_system_sgpr_private_segment_wavefront_offset 0
		.amdhsa_system_sgpr_workgroup_id_x 1
		.amdhsa_system_sgpr_workgroup_id_y 0
		.amdhsa_system_sgpr_workgroup_id_z 0
		.amdhsa_system_sgpr_workgroup_info 0
		.amdhsa_system_vgpr_workitem_id 0
		.amdhsa_next_free_vgpr 55
		.amdhsa_next_free_sgpr 20
		.amdhsa_reserve_vcc 1
		.amdhsa_reserve_flat_scratch 0
		.amdhsa_float_round_mode_32 0
		.amdhsa_float_round_mode_16_64 0
		.amdhsa_float_denorm_mode_32 3
		.amdhsa_float_denorm_mode_16_64 3
		.amdhsa_dx10_clamp 1
		.amdhsa_ieee_mode 1
		.amdhsa_fp16_overflow 0
		.amdhsa_exception_fp_ieee_invalid_op 0
		.amdhsa_exception_fp_denorm_src 0
		.amdhsa_exception_fp_ieee_div_zero 0
		.amdhsa_exception_fp_ieee_overflow 0
		.amdhsa_exception_fp_ieee_underflow 0
		.amdhsa_exception_fp_ieee_inexact 0
		.amdhsa_exception_int_div_zero 0
	.end_amdhsa_kernel
	.section	.text._ZN9rocsparseL18bsrxmvn_4x4_kernelILj128ELj64E21rocsparse_complex_numIfEiifS2_S2_EEvT3_20rocsparse_direction_NS_24const_host_device_scalarIT1_EES3_PKS3_PKT2_SC_S9_PKT4_PKT5_S7_PT6_21rocsparse_index_base_b,"axG",@progbits,_ZN9rocsparseL18bsrxmvn_4x4_kernelILj128ELj64E21rocsparse_complex_numIfEiifS2_S2_EEvT3_20rocsparse_direction_NS_24const_host_device_scalarIT1_EES3_PKS3_PKT2_SC_S9_PKT4_PKT5_S7_PT6_21rocsparse_index_base_b,comdat
.Lfunc_end124:
	.size	_ZN9rocsparseL18bsrxmvn_4x4_kernelILj128ELj64E21rocsparse_complex_numIfEiifS2_S2_EEvT3_20rocsparse_direction_NS_24const_host_device_scalarIT1_EES3_PKS3_PKT2_SC_S9_PKT4_PKT5_S7_PT6_21rocsparse_index_base_b, .Lfunc_end124-_ZN9rocsparseL18bsrxmvn_4x4_kernelILj128ELj64E21rocsparse_complex_numIfEiifS2_S2_EEvT3_20rocsparse_direction_NS_24const_host_device_scalarIT1_EES3_PKS3_PKT2_SC_S9_PKT4_PKT5_S7_PT6_21rocsparse_index_base_b
                                        ; -- End function
	.set _ZN9rocsparseL18bsrxmvn_4x4_kernelILj128ELj64E21rocsparse_complex_numIfEiifS2_S2_EEvT3_20rocsparse_direction_NS_24const_host_device_scalarIT1_EES3_PKS3_PKT2_SC_S9_PKT4_PKT5_S7_PT6_21rocsparse_index_base_b.num_vgpr, 55
	.set _ZN9rocsparseL18bsrxmvn_4x4_kernelILj128ELj64E21rocsparse_complex_numIfEiifS2_S2_EEvT3_20rocsparse_direction_NS_24const_host_device_scalarIT1_EES3_PKS3_PKT2_SC_S9_PKT4_PKT5_S7_PT6_21rocsparse_index_base_b.num_agpr, 0
	.set _ZN9rocsparseL18bsrxmvn_4x4_kernelILj128ELj64E21rocsparse_complex_numIfEiifS2_S2_EEvT3_20rocsparse_direction_NS_24const_host_device_scalarIT1_EES3_PKS3_PKT2_SC_S9_PKT4_PKT5_S7_PT6_21rocsparse_index_base_b.numbered_sgpr, 20
	.set _ZN9rocsparseL18bsrxmvn_4x4_kernelILj128ELj64E21rocsparse_complex_numIfEiifS2_S2_EEvT3_20rocsparse_direction_NS_24const_host_device_scalarIT1_EES3_PKS3_PKT2_SC_S9_PKT4_PKT5_S7_PT6_21rocsparse_index_base_b.num_named_barrier, 0
	.set _ZN9rocsparseL18bsrxmvn_4x4_kernelILj128ELj64E21rocsparse_complex_numIfEiifS2_S2_EEvT3_20rocsparse_direction_NS_24const_host_device_scalarIT1_EES3_PKS3_PKT2_SC_S9_PKT4_PKT5_S7_PT6_21rocsparse_index_base_b.private_seg_size, 0
	.set _ZN9rocsparseL18bsrxmvn_4x4_kernelILj128ELj64E21rocsparse_complex_numIfEiifS2_S2_EEvT3_20rocsparse_direction_NS_24const_host_device_scalarIT1_EES3_PKS3_PKT2_SC_S9_PKT4_PKT5_S7_PT6_21rocsparse_index_base_b.uses_vcc, 1
	.set _ZN9rocsparseL18bsrxmvn_4x4_kernelILj128ELj64E21rocsparse_complex_numIfEiifS2_S2_EEvT3_20rocsparse_direction_NS_24const_host_device_scalarIT1_EES3_PKS3_PKT2_SC_S9_PKT4_PKT5_S7_PT6_21rocsparse_index_base_b.uses_flat_scratch, 0
	.set _ZN9rocsparseL18bsrxmvn_4x4_kernelILj128ELj64E21rocsparse_complex_numIfEiifS2_S2_EEvT3_20rocsparse_direction_NS_24const_host_device_scalarIT1_EES3_PKS3_PKT2_SC_S9_PKT4_PKT5_S7_PT6_21rocsparse_index_base_b.has_dyn_sized_stack, 0
	.set _ZN9rocsparseL18bsrxmvn_4x4_kernelILj128ELj64E21rocsparse_complex_numIfEiifS2_S2_EEvT3_20rocsparse_direction_NS_24const_host_device_scalarIT1_EES3_PKS3_PKT2_SC_S9_PKT4_PKT5_S7_PT6_21rocsparse_index_base_b.has_recursion, 0
	.set _ZN9rocsparseL18bsrxmvn_4x4_kernelILj128ELj64E21rocsparse_complex_numIfEiifS2_S2_EEvT3_20rocsparse_direction_NS_24const_host_device_scalarIT1_EES3_PKS3_PKT2_SC_S9_PKT4_PKT5_S7_PT6_21rocsparse_index_base_b.has_indirect_call, 0
	.section	.AMDGPU.csdata,"",@progbits
; Kernel info:
; codeLenInByte = 6396
; TotalNumSgprs: 24
; NumVgprs: 55
; ScratchSize: 0
; MemoryBound: 0
; FloatMode: 240
; IeeeMode: 1
; LDSByteSize: 0 bytes/workgroup (compile time only)
; SGPRBlocks: 2
; VGPRBlocks: 13
; NumSGPRsForWavesPerEU: 24
; NumVGPRsForWavesPerEU: 55
; Occupancy: 4
; WaveLimiterHint : 1
; COMPUTE_PGM_RSRC2:SCRATCH_EN: 0
; COMPUTE_PGM_RSRC2:USER_SGPR: 6
; COMPUTE_PGM_RSRC2:TRAP_HANDLER: 0
; COMPUTE_PGM_RSRC2:TGID_X_EN: 1
; COMPUTE_PGM_RSRC2:TGID_Y_EN: 0
; COMPUTE_PGM_RSRC2:TGID_Z_EN: 0
; COMPUTE_PGM_RSRC2:TIDIG_COMP_CNT: 0
	.section	.text._ZN9rocsparseL18bsrxmvn_4x4_kernelILj128ELj4E21rocsparse_complex_numIfElifS2_S2_EEvT3_20rocsparse_direction_NS_24const_host_device_scalarIT1_EES3_PKS3_PKT2_SC_S9_PKT4_PKT5_S7_PT6_21rocsparse_index_base_b,"axG",@progbits,_ZN9rocsparseL18bsrxmvn_4x4_kernelILj128ELj4E21rocsparse_complex_numIfElifS2_S2_EEvT3_20rocsparse_direction_NS_24const_host_device_scalarIT1_EES3_PKS3_PKT2_SC_S9_PKT4_PKT5_S7_PT6_21rocsparse_index_base_b,comdat
	.globl	_ZN9rocsparseL18bsrxmvn_4x4_kernelILj128ELj4E21rocsparse_complex_numIfElifS2_S2_EEvT3_20rocsparse_direction_NS_24const_host_device_scalarIT1_EES3_PKS3_PKT2_SC_S9_PKT4_PKT5_S7_PT6_21rocsparse_index_base_b ; -- Begin function _ZN9rocsparseL18bsrxmvn_4x4_kernelILj128ELj4E21rocsparse_complex_numIfElifS2_S2_EEvT3_20rocsparse_direction_NS_24const_host_device_scalarIT1_EES3_PKS3_PKT2_SC_S9_PKT4_PKT5_S7_PT6_21rocsparse_index_base_b
	.p2align	8
	.type	_ZN9rocsparseL18bsrxmvn_4x4_kernelILj128ELj4E21rocsparse_complex_numIfElifS2_S2_EEvT3_20rocsparse_direction_NS_24const_host_device_scalarIT1_EES3_PKS3_PKT2_SC_S9_PKT4_PKT5_S7_PT6_21rocsparse_index_base_b,@function
_ZN9rocsparseL18bsrxmvn_4x4_kernelILj128ELj4E21rocsparse_complex_numIfElifS2_S2_EEvT3_20rocsparse_direction_NS_24const_host_device_scalarIT1_EES3_PKS3_PKT2_SC_S9_PKT4_PKT5_S7_PT6_21rocsparse_index_base_b: ; @_ZN9rocsparseL18bsrxmvn_4x4_kernelILj128ELj4E21rocsparse_complex_numIfElifS2_S2_EEvT3_20rocsparse_direction_NS_24const_host_device_scalarIT1_EES3_PKS3_PKT2_SC_S9_PKT4_PKT5_S7_PT6_21rocsparse_index_base_b
; %bb.0:
	s_load_dwordx2 s[0:1], s[4:5], 0x8
	s_load_dwordx2 s[16:17], s[4:5], 0x58
	s_add_u32 s7, s4, 8
	s_addc_u32 s8, s5, 0
	s_add_u32 s9, s4, 0x48
	s_load_dwordx2 s[2:3], s[4:5], 0x48
	s_addc_u32 s10, s5, 0
	s_waitcnt lgkmcnt(0)
	s_bitcmp1_b32 s17, 0
	s_cselect_b32 s1, s8, s1
	s_cselect_b32 s0, s7, s0
	v_mov_b32_e32 v1, s0
	v_mov_b32_e32 v2, s1
	flat_load_dwordx2 v[10:11], v[1:2]
	s_cselect_b32 s0, s10, s3
	s_cselect_b32 s1, s9, s2
	v_mov_b32_e32 v1, s1
	v_mov_b32_e32 v2, s0
	flat_load_dwordx2 v[8:9], v[1:2]
	s_waitcnt vmcnt(0) lgkmcnt(0)
	v_cmp_eq_f32_e32 vcc, 0, v10
	v_cmp_eq_f32_e64 s[0:1], 0, v11
	s_and_b64 s[8:9], vcc, s[0:1]
	s_mov_b64 s[0:1], -1
	s_and_saveexec_b64 s[2:3], s[8:9]
; %bb.1:
	v_cmp_neq_f32_e32 vcc, 1.0, v8
	v_cmp_neq_f32_e64 s[0:1], 0, v9
	s_or_b64 s[0:1], vcc, s[0:1]
	s_orn2_b64 s[0:1], s[0:1], exec
; %bb.2:
	s_or_b64 exec, exec, s[2:3]
	s_and_saveexec_b64 s[2:3], s[0:1]
	s_cbranch_execz .LBB125_8
; %bb.3:
	s_load_dwordx2 s[8:9], s[4:5], 0x18
	s_load_dwordx2 s[0:1], s[4:5], 0x0
	v_lshrrev_b32_e32 v1, 2, v0
	v_lshl_or_b32 v12, s6, 5, v1
	s_mov_b64 s[2:3], 0
	s_waitcnt lgkmcnt(0)
	s_cmp_lg_u64 s[8:9], 0
	s_cbranch_scc0 .LBB125_9
; %bb.4:
	s_load_dword s6, s[4:5], 0x10
                                        ; implicit-def: $vgpr1
	s_waitcnt lgkmcnt(0)
	v_cmp_gt_i32_e32 vcc, s6, v12
	s_and_saveexec_b64 s[6:7], vcc
	s_xor_b64 s[6:7], exec, s[6:7]
	s_cbranch_execz .LBB125_6
; %bb.5:
	v_ashrrev_i32_e32 v13, 31, v12
	v_lshlrev_b64 v[1:2], 2, v[12:13]
	v_mov_b32_e32 v3, s9
	v_add_co_u32_e32 v1, vcc, s8, v1
	v_addc_co_u32_e32 v2, vcc, v3, v2, vcc
	global_load_dword v1, v[1:2], off
	s_mov_b64 s[2:3], exec
	s_waitcnt vmcnt(0)
	v_subrev_u32_e32 v1, s16, v1
.LBB125_6:
	s_or_b64 exec, exec, s[6:7]
	s_branch .LBB125_10
.LBB125_7:
	v_cmp_gt_i32_e32 vcc, s0, v12
	s_andn2_b64 s[2:3], s[2:3], exec
	s_and_b64 s[6:7], vcc, exec
	s_or_b64 s[2:3], s[2:3], s[6:7]
	s_and_b64 exec, exec, s[2:3]
	s_cbranch_execnz .LBB125_11
.LBB125_8:
	s_endpgm
.LBB125_9:
                                        ; implicit-def: $vgpr1
	s_cbranch_execnz .LBB125_7
.LBB125_10:
	v_mov_b32_e32 v12, v1
	s_and_b64 exec, exec, s[2:3]
	s_cbranch_execz .LBB125_8
.LBB125_11:
	s_load_dwordx8 s[8:15], s[4:5], 0x20
	v_ashrrev_i32_e32 v13, 31, v12
	v_lshlrev_b64 v[1:2], 3, v[12:13]
	v_and_b32_e32 v25, 3, v0
	s_load_dwordx2 s[6:7], s[4:5], 0x40
	s_waitcnt lgkmcnt(0)
	v_mov_b32_e32 v4, s9
	v_add_co_u32_e32 v3, vcc, s8, v1
	v_addc_co_u32_e32 v4, vcc, v4, v2, vcc
	global_load_dwordx2 v[13:14], v[3:4], off
	v_add_co_u32_e32 v3, vcc, 8, v3
	v_addc_co_u32_e32 v4, vcc, 0, v4, vcc
	v_mov_b32_e32 v5, s11
	v_add_co_u32_e32 v1, vcc, s10, v1
	s_cmp_eq_u64 s[10:11], 0
	v_addc_co_u32_e32 v2, vcc, v5, v2, vcc
	s_cselect_b64 vcc, -1, 0
	v_cndmask_b32_e32 v2, v2, v4, vcc
	v_cndmask_b32_e32 v1, v1, v3, vcc
	global_load_dwordx2 v[2:3], v[1:2], off
	v_mov_b32_e32 v7, s15
	s_cmp_eq_u32 s1, 1
	v_mov_b32_e32 v6, 0
	s_waitcnt vmcnt(1)
	v_subrev_co_u32_e32 v0, vcc, s16, v13
	v_subbrev_co_u32_e32 v1, vcc, 0, v14, vcc
	v_add_co_u32_e32 v0, vcc, v0, v25
	v_addc_co_u32_e32 v1, vcc, 0, v1, vcc
	v_lshlrev_b64 v[4:5], 6, v[0:1]
	s_waitcnt vmcnt(0)
	v_subrev_co_u32_e32 v2, vcc, s16, v2
	v_subbrev_co_u32_e32 v3, vcc, 0, v3, vcc
	v_cmp_lt_i64_e64 s[0:1], v[0:1], v[2:3]
	v_add_co_u32_e32 v4, vcc, s14, v4
	v_addc_co_u32_e32 v5, vcc, v7, v5, vcc
	s_cbranch_scc1 .LBB125_23
; %bb.12:
	v_mov_b32_e32 v31, 0
	v_mov_b32_e32 v26, 0
	;; [unrolled: 1-line block ×7, first 2 shown]
	s_and_saveexec_b64 s[8:9], s[0:1]
	s_cbranch_execz .LBB125_22
; %bb.13:
	v_or_b32_e32 v6, 4, v25
	v_subrev_co_u32_e32 v6, vcc, s16, v6
	v_subb_co_u32_e64 v7, s[2:3], 0, 0, vcc
	v_add_co_u32_e32 v6, vcc, v6, v13
	v_addc_co_u32_e32 v7, vcc, v7, v14, vcc
	v_cmp_gt_i64_e32 vcc, v[6:7], v[2:3]
	v_not_b32_e32 v16, v13
	v_cndmask_b32_e32 v7, v3, v7, vcc
	v_cndmask_b32_e32 v6, v2, v6, vcc
	v_sub_co_u32_e32 v17, vcc, s16, v25
	v_not_b32_e32 v15, v14
	v_subb_co_u32_e64 v18, s[2:3], 0, 0, vcc
	v_add_co_u32_e32 v16, vcc, v17, v16
	v_addc_co_u32_e32 v15, vcc, v18, v15, vcc
	v_add_co_u32_e32 v19, vcc, v16, v6
	v_addc_co_u32_e32 v20, vcc, v15, v7, vcc
	v_and_b32_e32 v6, 12, v19
	v_mov_b32_e32 v7, 0
	v_cmp_ne_u64_e32 vcc, 12, v[6:7]
	v_mov_b32_e32 v16, v5
	v_mov_b32_e32 v18, v1
	;; [unrolled: 1-line block ×11, first 2 shown]
	s_and_saveexec_b64 s[10:11], vcc
	s_cbranch_execz .LBB125_17
; %bb.14:
	v_lshlrev_b64 v[15:16], 2, v[0:1]
	v_lshrrev_b32_e32 v6, 2, v19
	v_add_u32_e32 v6, 1, v6
	v_mov_b32_e32 v17, s13
	v_add_co_u32_e32 v21, vcc, s12, v15
	v_and_b32_e32 v7, 3, v6
	v_addc_co_u32_e32 v22, vcc, v17, v16, vcc
	v_sub_co_u32_e32 v23, vcc, 0, v7
	v_mov_b32_e32 v18, v1
	v_mov_b32_e32 v16, v5
	v_mov_b32_e32 v6, 0
	s_mov_b64 s[14:15], 0
	v_subb_co_u32_e64 v24, s[2:3], 0, 0, vcc
	s_movk_i32 s17, 0x100
	v_mov_b32_e32 v32, s7
	v_mov_b32_e32 v17, v0
	;; [unrolled: 1-line block ×10, first 2 shown]
.LBB125_15:                             ; =>This Inner Loop Header: Depth=1
	global_load_dword v49, v[21:22], off
	global_load_dwordx4 v[33:36], v[15:16], off offset:16
	global_load_dwordx4 v[37:40], v[15:16], off
	global_load_dwordx4 v[41:44], v[15:16], off offset:32
	global_load_dwordx4 v[45:48], v[15:16], off offset:48
	v_add_co_u32_e64 v17, s[2:3], 4, v17
	v_addc_co_u32_e64 v18, s[2:3], 0, v18, s[2:3]
	v_add_co_u32_e64 v21, s[2:3], 16, v21
	v_addc_co_u32_e64 v22, s[2:3], 0, v22, s[2:3]
	;; [unrolled: 2-line block ×3, first 2 shown]
	v_cmp_eq_u64_e64 s[2:3], 0, v[23:24]
	s_or_b64 s[14:15], s[2:3], s[14:15]
	s_waitcnt vmcnt(4)
	v_subrev_u32_e32 v49, s16, v49
	v_lshlrev_b32_e32 v49, 2, v49
	v_ashrrev_i32_e32 v50, 31, v49
	v_lshlrev_b64 v[49:50], 3, v[49:50]
	v_add_co_u32_e32 v57, vcc, s6, v49
	v_addc_co_u32_e32 v58, vcc, v32, v50, vcc
	global_load_dwordx4 v[49:52], v[57:58], off
	global_load_dwordx4 v[53:56], v[57:58], off offset:16
	v_add_co_u32_e32 v15, vcc, s17, v15
	v_addc_co_u32_e32 v16, vcc, 0, v16, vcc
	s_waitcnt vmcnt(1)
	v_fmac_f32_e32 v31, v37, v49
	v_fmac_f32_e32 v6, 0, v49
	;; [unrolled: 1-line block ×32, first 2 shown]
	s_waitcnt vmcnt(0)
	v_fmac_f32_e32 v31, v39, v53
	v_fmac_f32_e32 v6, 0, v53
	;; [unrolled: 1-line block ×32, first 2 shown]
	s_andn2_b64 exec, exec, s[14:15]
	s_cbranch_execnz .LBB125_15
; %bb.16:
	s_or_b64 exec, exec, s[14:15]
.LBB125_17:
	s_or_b64 exec, exec, s[10:11]
	v_cmp_lt_u64_e32 vcc, 11, v[19:20]
	s_and_saveexec_b64 s[2:3], vcc
	s_cbranch_execz .LBB125_21
; %bb.18:
	v_lshlrev_b64 v[19:20], 2, v[17:18]
	v_mov_b32_e32 v21, s13
	v_add_co_u32_e32 v19, vcc, s12, v19
	v_addc_co_u32_e32 v20, vcc, v21, v20, vcc
	v_add_co_u32_e32 v19, vcc, 32, v19
	v_addc_co_u32_e32 v20, vcc, 0, v20, vcc
	s_mov_b64 s[10:11], 0
	v_mov_b32_e32 v21, s7
	s_movk_i32 s14, 0x400
.LBB125_19:                             ; =>This Inner Loop Header: Depth=1
	global_load_dword v22, v[19:20], off offset:-32
	global_load_dwordx4 v[32:35], v[15:16], off offset:48
	global_load_dwordx4 v[36:39], v[15:16], off offset:32
	;; [unrolled: 1-line block ×3, first 2 shown]
	global_load_dwordx4 v[44:47], v[15:16], off
	s_waitcnt vmcnt(4)
	v_subrev_u32_e32 v22, s16, v22
	v_lshlrev_b32_e32 v22, 2, v22
	v_ashrrev_i32_e32 v23, 31, v22
	v_lshlrev_b64 v[22:23], 3, v[22:23]
	v_add_co_u32_e32 v22, vcc, s6, v22
	v_addc_co_u32_e32 v23, vcc, v21, v23, vcc
	global_load_dwordx4 v[48:51], v[22:23], off offset:16
	global_load_dwordx4 v[52:55], v[22:23], off
	s_waitcnt vmcnt(0)
	v_fmac_f32_e32 v31, v44, v52
	global_load_dword v22, v[19:20], off offset:-16
	v_fmac_f32_e32 v6, 0, v52
	v_fmac_f32_e32 v29, v40, v52
	;; [unrolled: 1-line block ×63, first 2 shown]
	global_load_dwordx4 v[32:35], v[15:16], off offset:304
	global_load_dwordx4 v[36:39], v[15:16], off offset:288
	;; [unrolled: 1-line block ×4, first 2 shown]
	s_waitcnt vmcnt(4)
	v_subrev_u32_e32 v22, s16, v22
	v_lshlrev_b32_e32 v22, 2, v22
	v_ashrrev_i32_e32 v23, 31, v22
	v_lshlrev_b64 v[22:23], 3, v[22:23]
	v_add_co_u32_e32 v22, vcc, s6, v22
	v_addc_co_u32_e32 v23, vcc, v21, v23, vcc
	global_load_dwordx4 v[48:51], v[22:23], off offset:16
	global_load_dwordx4 v[52:55], v[22:23], off
	s_waitcnt vmcnt(0)
	v_fmac_f32_e32 v31, v44, v52
	global_load_dword v22, v[19:20], off
	v_fmac_f32_e32 v6, 0, v52
	v_fmac_f32_e32 v29, v40, v52
	;; [unrolled: 1-line block ×63, first 2 shown]
	global_load_dwordx4 v[32:35], v[15:16], off offset:560
	global_load_dwordx4 v[36:39], v[15:16], off offset:544
	;; [unrolled: 1-line block ×4, first 2 shown]
	s_waitcnt vmcnt(4)
	v_subrev_u32_e32 v22, s16, v22
	v_lshlrev_b32_e32 v22, 2, v22
	v_ashrrev_i32_e32 v23, 31, v22
	v_lshlrev_b64 v[22:23], 3, v[22:23]
	v_add_co_u32_e32 v22, vcc, s6, v22
	v_addc_co_u32_e32 v23, vcc, v21, v23, vcc
	global_load_dwordx4 v[48:51], v[22:23], off offset:16
	global_load_dwordx4 v[52:55], v[22:23], off
	s_waitcnt vmcnt(0)
	v_fmac_f32_e32 v31, v44, v52
	global_load_dword v22, v[19:20], off offset:16
	v_fmac_f32_e32 v6, 0, v52
	v_fmac_f32_e32 v29, v40, v52
	;; [unrolled: 1-line block ×63, first 2 shown]
	global_load_dwordx4 v[32:35], v[15:16], off offset:816
	global_load_dwordx4 v[36:39], v[15:16], off offset:800
	;; [unrolled: 1-line block ×4, first 2 shown]
	s_waitcnt vmcnt(4)
	v_subrev_u32_e32 v22, s16, v22
	v_lshlrev_b32_e32 v22, 2, v22
	v_ashrrev_i32_e32 v23, 31, v22
	v_lshlrev_b64 v[22:23], 3, v[22:23]
	v_add_co_u32_e32 v22, vcc, s6, v22
	v_addc_co_u32_e32 v23, vcc, v21, v23, vcc
	global_load_dwordx4 v[48:51], v[22:23], off offset:16
	global_load_dwordx4 v[52:55], v[22:23], off
	v_add_co_u32_e32 v15, vcc, s14, v15
	v_addc_co_u32_e32 v16, vcc, 0, v16, vcc
	v_add_co_u32_e32 v17, vcc, 16, v17
	v_addc_co_u32_e32 v18, vcc, 0, v18, vcc
	;; [unrolled: 2-line block ×3, first 2 shown]
	v_cmp_ge_i64_e32 vcc, v[17:18], v[2:3]
	s_or_b64 s[10:11], vcc, s[10:11]
	s_waitcnt vmcnt(0)
	v_fmac_f32_e32 v31, v44, v52
	v_fmac_f32_e32 v6, 0, v52
	;; [unrolled: 1-line block ×64, first 2 shown]
	s_andn2_b64 exec, exec, s[10:11]
	s_cbranch_execnz .LBB125_19
; %bb.20:
	s_or_b64 exec, exec, s[10:11]
.LBB125_21:
	s_or_b64 exec, exec, s[2:3]
.LBB125_22:
	s_or_b64 exec, exec, s[8:9]
	s_cbranch_execz .LBB125_24
	s_branch .LBB125_35
.LBB125_23:
                                        ; implicit-def: $vgpr6
                                        ; implicit-def: $vgpr31
                                        ; implicit-def: $vgpr26
                                        ; implicit-def: $vgpr29
                                        ; implicit-def: $vgpr27
                                        ; implicit-def: $vgpr30
                                        ; implicit-def: $vgpr28
                                        ; implicit-def: $vgpr7
.LBB125_24:
	v_mov_b32_e32 v6, 0
	v_mov_b32_e32 v31, 0
	;; [unrolled: 1-line block ×8, first 2 shown]
	s_and_saveexec_b64 s[2:3], s[0:1]
	s_cbranch_execz .LBB125_34
; %bb.25:
	v_or_b32_e32 v6, 4, v25
	v_subrev_co_u32_e32 v6, vcc, s16, v6
	v_subb_co_u32_e64 v7, s[0:1], 0, 0, vcc
	v_add_co_u32_e32 v6, vcc, v6, v13
	v_addc_co_u32_e32 v7, vcc, v7, v14, vcc
	v_cmp_gt_i64_e32 vcc, v[6:7], v[2:3]
	v_not_b32_e32 v13, v13
	v_cndmask_b32_e32 v7, v3, v7, vcc
	v_cndmask_b32_e32 v6, v2, v6, vcc
	v_sub_co_u32_e32 v15, vcc, s16, v25
	v_not_b32_e32 v14, v14
	v_subb_co_u32_e64 v16, s[0:1], 0, 0, vcc
	v_add_co_u32_e32 v13, vcc, v15, v13
	v_addc_co_u32_e32 v14, vcc, v16, v14, vcc
	v_add_co_u32_e32 v13, vcc, v13, v6
	v_addc_co_u32_e32 v14, vcc, v14, v7, vcc
	v_and_b32_e32 v6, 12, v13
	v_mov_b32_e32 v7, 0
	v_cmp_ne_u64_e32 vcc, 12, v[6:7]
	v_mov_b32_e32 v28, v7
	v_mov_b32_e32 v30, v7
	;; [unrolled: 1-line block ×7, first 2 shown]
	s_and_saveexec_b64 s[8:9], vcc
	s_cbranch_execz .LBB125_29
; %bb.26:
	v_lshlrev_b64 v[15:16], 2, v[0:1]
	v_lshrrev_b32_e32 v6, 2, v13
	v_add_u32_e32 v6, 1, v6
	v_mov_b32_e32 v17, s13
	v_add_co_u32_e32 v15, vcc, s12, v15
	v_and_b32_e32 v7, 3, v6
	v_addc_co_u32_e32 v16, vcc, v17, v16, vcc
	v_sub_co_u32_e32 v17, vcc, 0, v7
	v_mov_b32_e32 v6, 0
	s_mov_b64 s[10:11], 0
	v_subb_co_u32_e64 v18, s[0:1], 0, 0, vcc
	s_movk_i32 s14, 0x100
	v_mov_b32_e32 v19, s7
	v_mov_b32_e32 v31, 0
	;; [unrolled: 1-line block ×8, first 2 shown]
.LBB125_27:                             ; =>This Inner Loop Header: Depth=1
	global_load_dword v24, v[15:16], off
	global_load_dwordx4 v[20:23], v[4:5], off offset:32
	global_load_dwordx4 v[32:35], v[4:5], off offset:16
	global_load_dwordx4 v[36:39], v[4:5], off
	v_add_co_u32_e64 v0, s[0:1], 4, v0
	v_addc_co_u32_e64 v1, s[0:1], 0, v1, s[0:1]
	v_add_co_u32_e64 v15, s[0:1], 16, v15
	v_addc_co_u32_e64 v16, s[0:1], 0, v16, s[0:1]
	;; [unrolled: 2-line block ×3, first 2 shown]
	v_cmp_eq_u64_e64 s[0:1], 0, v[17:18]
	s_or_b64 s[10:11], s[0:1], s[10:11]
	s_waitcnt vmcnt(3)
	v_subrev_u32_e32 v24, s16, v24
	v_lshlrev_b32_e32 v40, 2, v24
	v_ashrrev_i32_e32 v41, 31, v40
	v_lshlrev_b64 v[40:41], 3, v[40:41]
	v_add_co_u32_e32 v52, vcc, s6, v40
	v_addc_co_u32_e32 v53, vcc, v19, v41, vcc
	global_load_dwordx4 v[40:43], v[52:53], off
	global_load_dwordx4 v[44:47], v[52:53], off offset:16
	global_load_dwordx4 v[48:51], v[4:5], off offset:48
	v_add_co_u32_e32 v4, vcc, s14, v4
	v_addc_co_u32_e32 v5, vcc, 0, v5, vcc
	s_waitcnt vmcnt(2)
	v_fmac_f32_e32 v31, v36, v40
	v_fmac_f32_e32 v6, 0, v40
	;; [unrolled: 1-line block ×32, first 2 shown]
	s_waitcnt vmcnt(1)
	v_fmac_f32_e32 v31, v20, v44
	v_fmac_f32_e32 v6, 0, v44
	;; [unrolled: 1-line block ×16, first 2 shown]
	s_waitcnt vmcnt(0)
	v_fmac_f32_e32 v31, v48, v46
	v_fmac_f32_e32 v6, 0, v46
	v_fmac_f32_e32 v29, v49, v46
	v_fmac_f32_e32 v26, 0, v46
	v_fmac_f32_e32 v30, v50, v46
	v_fmac_f32_e32 v27, 0, v46
	v_fmac_f32_e32 v7, v51, v46
	v_fmac_f32_e32 v28, 0, v46
	v_fmac_f32_e32 v31, 0x80000000, v47
	v_fmac_f32_e32 v6, v48, v47
	v_fmac_f32_e32 v29, 0x80000000, v47
	v_fmac_f32_e32 v26, v49, v47
	v_fmac_f32_e32 v30, 0x80000000, v47
	v_fmac_f32_e32 v27, v50, v47
	v_fmac_f32_e32 v7, 0x80000000, v47
	v_fmac_f32_e32 v28, v51, v47
	s_andn2_b64 exec, exec, s[10:11]
	s_cbranch_execnz .LBB125_27
; %bb.28:
	s_or_b64 exec, exec, s[10:11]
.LBB125_29:
	s_or_b64 exec, exec, s[8:9]
	v_cmp_lt_u64_e32 vcc, 11, v[13:14]
	s_and_saveexec_b64 s[0:1], vcc
	s_cbranch_execz .LBB125_33
; %bb.30:
	v_lshlrev_b64 v[13:14], 2, v[0:1]
	v_mov_b32_e32 v15, s13
	v_add_co_u32_e32 v13, vcc, s12, v13
	v_addc_co_u32_e32 v14, vcc, v15, v14, vcc
	v_add_co_u32_e32 v13, vcc, 32, v13
	v_addc_co_u32_e32 v14, vcc, 0, v14, vcc
	s_mov_b64 s[8:9], 0
	v_mov_b32_e32 v15, s7
	s_movk_i32 s7, 0x400
.LBB125_31:                             ; =>This Inner Loop Header: Depth=1
	global_load_dword v16, v[13:14], off offset:-32
	s_waitcnt vmcnt(0)
	v_subrev_u32_e32 v16, s16, v16
	v_lshlrev_b32_e32 v40, 2, v16
	v_ashrrev_i32_e32 v41, 31, v40
	v_lshlrev_b64 v[40:41], 3, v[40:41]
	global_load_dwordx4 v[16:19], v[4:5], off offset:48
	global_load_dwordx4 v[20:23], v[4:5], off offset:32
	;; [unrolled: 1-line block ×3, first 2 shown]
	global_load_dwordx4 v[36:39], v[4:5], off
	v_add_co_u32_e32 v48, vcc, s6, v40
	v_addc_co_u32_e32 v49, vcc, v15, v41, vcc
	global_load_dwordx4 v[40:43], v[48:49], off offset:16
	global_load_dwordx4 v[44:47], v[48:49], off
	s_waitcnt vmcnt(0)
	v_fmac_f32_e32 v6, 0, v44
	v_fmac_f32_e32 v31, v36, v44
	;; [unrolled: 1-line block ×15, first 2 shown]
	global_load_dword v16, v[13:14], off offset:-16
	v_fmac_f32_e32 v29, v37, v44
	v_fmac_f32_e32 v26, 0, v44
	v_fmac_f32_e32 v30, v38, v44
	v_fmac_f32_e32 v27, 0, v44
	v_fmac_f32_e32 v7, v39, v44
	v_fmac_f32_e32 v28, 0, v44
	v_fmac_f32_e32 v29, 0x80000000, v45
	v_fmac_f32_e32 v26, v37, v45
	v_fmac_f32_e32 v30, 0x80000000, v45
	v_fmac_f32_e32 v27, v38, v45
	v_fmac_f32_e32 v7, 0x80000000, v45
	v_fmac_f32_e32 v28, v39, v45
	v_fmac_f32_e32 v29, v33, v46
	v_fmac_f32_e32 v26, 0, v46
	v_fmac_f32_e32 v30, v34, v46
	v_fmac_f32_e32 v27, 0, v46
	v_fmac_f32_e32 v7, v35, v46
	v_fmac_f32_e32 v28, 0, v46
	v_fmac_f32_e32 v29, 0x80000000, v47
	v_fmac_f32_e32 v26, v33, v47
	v_fmac_f32_e32 v30, 0x80000000, v47
	v_fmac_f32_e32 v27, v34, v47
	v_fmac_f32_e32 v7, 0x80000000, v47
	v_fmac_f32_e32 v28, v35, v47
	v_fmac_f32_e32 v29, v21, v40
	v_fmac_f32_e32 v26, 0, v40
	v_fmac_f32_e32 v30, v22, v40
	v_fmac_f32_e32 v27, 0, v40
	v_fmac_f32_e32 v7, v23, v40
	v_fmac_f32_e32 v28, 0, v40
	v_fmac_f32_e32 v29, 0x80000000, v41
	v_fmac_f32_e32 v26, v21, v41
	v_fmac_f32_e32 v30, 0x80000000, v41
	v_fmac_f32_e32 v27, v22, v41
	v_fmac_f32_e32 v7, 0x80000000, v41
	v_fmac_f32_e32 v28, v23, v41
	v_fmac_f32_e32 v29, v17, v42
	v_fmac_f32_e32 v26, 0, v42
	v_fmac_f32_e32 v30, v18, v42
	v_fmac_f32_e32 v27, 0, v42
	v_fmac_f32_e32 v7, v19, v42
	v_fmac_f32_e32 v28, 0, v42
	v_fmac_f32_e32 v31, 0x80000000, v43
	v_fmac_f32_e32 v29, 0x80000000, v43
	v_fmac_f32_e32 v26, v17, v43
	v_fmac_f32_e32 v30, 0x80000000, v43
	v_fmac_f32_e32 v27, v18, v43
	v_fmac_f32_e32 v7, 0x80000000, v43
	v_fmac_f32_e32 v28, v19, v43
	s_waitcnt vmcnt(0)
	v_subrev_u32_e32 v16, s16, v16
	v_lshlrev_b32_e32 v40, 2, v16
	v_ashrrev_i32_e32 v41, 31, v40
	v_lshlrev_b64 v[40:41], 3, v[40:41]
	global_load_dwordx4 v[16:19], v[4:5], off offset:304
	global_load_dwordx4 v[20:23], v[4:5], off offset:288
	;; [unrolled: 1-line block ×4, first 2 shown]
	v_add_co_u32_e32 v48, vcc, s6, v40
	v_addc_co_u32_e32 v49, vcc, v15, v41, vcc
	global_load_dwordx4 v[40:43], v[48:49], off offset:16
	global_load_dwordx4 v[44:47], v[48:49], off
	s_waitcnt vmcnt(0)
	v_fmac_f32_e32 v6, 0, v44
	v_fmac_f32_e32 v31, v36, v44
	v_fmac_f32_e32 v6, v36, v45
	v_fmac_f32_e32 v31, 0x80000000, v45
	v_fmac_f32_e32 v6, 0, v46
	v_fmac_f32_e32 v31, v32, v46
	v_fmac_f32_e32 v6, v32, v47
	v_fmac_f32_e32 v31, 0x80000000, v47
	v_fmac_f32_e32 v6, 0, v40
	v_fmac_f32_e32 v31, v20, v40
	v_fmac_f32_e32 v6, v20, v41
	v_fmac_f32_e32 v31, 0x80000000, v41
	v_fmac_f32_e32 v6, 0, v42
	v_fmac_f32_e32 v31, v16, v42
	v_fmac_f32_e32 v6, v16, v43
	global_load_dword v16, v[13:14], off
	v_fmac_f32_e32 v29, v37, v44
	v_fmac_f32_e32 v26, 0, v44
	;; [unrolled: 1-line block ×49, first 2 shown]
	s_waitcnt vmcnt(0)
	v_subrev_u32_e32 v16, s16, v16
	v_lshlrev_b32_e32 v40, 2, v16
	v_ashrrev_i32_e32 v41, 31, v40
	v_lshlrev_b64 v[40:41], 3, v[40:41]
	global_load_dwordx4 v[16:19], v[4:5], off offset:560
	global_load_dwordx4 v[20:23], v[4:5], off offset:544
	;; [unrolled: 1-line block ×4, first 2 shown]
	v_add_co_u32_e32 v48, vcc, s6, v40
	v_addc_co_u32_e32 v49, vcc, v15, v41, vcc
	global_load_dwordx4 v[40:43], v[48:49], off offset:16
	global_load_dwordx4 v[44:47], v[48:49], off
	s_waitcnt vmcnt(0)
	v_fmac_f32_e32 v6, 0, v44
	v_fmac_f32_e32 v31, v36, v44
	v_fmac_f32_e32 v6, v36, v45
	v_fmac_f32_e32 v31, 0x80000000, v45
	v_fmac_f32_e32 v6, 0, v46
	v_fmac_f32_e32 v31, v32, v46
	v_fmac_f32_e32 v6, v32, v47
	v_fmac_f32_e32 v31, 0x80000000, v47
	v_fmac_f32_e32 v6, 0, v40
	v_fmac_f32_e32 v31, v20, v40
	v_fmac_f32_e32 v6, v20, v41
	v_fmac_f32_e32 v31, 0x80000000, v41
	v_fmac_f32_e32 v6, 0, v42
	v_fmac_f32_e32 v31, v16, v42
	v_fmac_f32_e32 v6, v16, v43
	global_load_dword v16, v[13:14], off offset:16
	v_fmac_f32_e32 v29, v37, v44
	v_fmac_f32_e32 v26, 0, v44
	;; [unrolled: 1-line block ×49, first 2 shown]
	s_waitcnt vmcnt(0)
	v_subrev_u32_e32 v16, s16, v16
	v_lshlrev_b32_e32 v40, 2, v16
	v_ashrrev_i32_e32 v41, 31, v40
	v_lshlrev_b64 v[40:41], 3, v[40:41]
	global_load_dwordx4 v[16:19], v[4:5], off offset:816
	global_load_dwordx4 v[20:23], v[4:5], off offset:800
	;; [unrolled: 1-line block ×4, first 2 shown]
	v_add_co_u32_e32 v48, vcc, s6, v40
	v_addc_co_u32_e32 v49, vcc, v15, v41, vcc
	global_load_dwordx4 v[40:43], v[48:49], off offset:16
	global_load_dwordx4 v[44:47], v[48:49], off
	v_add_co_u32_e32 v4, vcc, s7, v4
	v_addc_co_u32_e32 v5, vcc, 0, v5, vcc
	v_add_co_u32_e32 v0, vcc, 16, v0
	v_addc_co_u32_e32 v1, vcc, 0, v1, vcc
	;; [unrolled: 2-line block ×3, first 2 shown]
	v_cmp_ge_i64_e32 vcc, v[0:1], v[2:3]
	s_or_b64 s[8:9], vcc, s[8:9]
	s_waitcnt vmcnt(0)
	v_fmac_f32_e32 v31, v36, v44
	v_fmac_f32_e32 v6, 0, v44
	;; [unrolled: 1-line block ×64, first 2 shown]
	s_andn2_b64 exec, exec, s[8:9]
	s_cbranch_execnz .LBB125_31
; %bb.32:
	s_or_b64 exec, exec, s[8:9]
.LBB125_33:
	s_or_b64 exec, exec, s[0:1]
.LBB125_34:
	s_or_b64 exec, exec, s[2:3]
.LBB125_35:
	v_mov_b32_dpp v2, v6 row_shr:1 row_mask:0xf bank_mask:0xf
	v_mov_b32_dpp v0, v31 row_shr:1 row_mask:0xf bank_mask:0xf
	v_add_f32_e32 v2, v6, v2
	v_mov_b32_dpp v4, v29 row_shr:1 row_mask:0xf bank_mask:0xf
	v_mov_b32_dpp v6, v26 row_shr:1 row_mask:0xf bank_mask:0xf
	;; [unrolled: 1-line block ×6, first 2 shown]
	v_add_f32_e32 v0, v31, v0
	v_add_f32_e32 v4, v29, v4
	;; [unrolled: 1-line block ×7, first 2 shown]
	v_mov_b32_dpp v1, v0 row_shr:2 row_mask:0xf bank_mask:0xf
	v_mov_b32_dpp v3, v2 row_shr:2 row_mask:0xf bank_mask:0xf
	;; [unrolled: 1-line block ×8, first 2 shown]
	v_cmp_eq_u32_e32 vcc, 3, v25
	s_and_b64 exec, exec, vcc
	s_cbranch_execz .LBB125_8
; %bb.36:
	s_load_dwordx2 s[2:3], s[4:5], 0x50
	v_add_f32_e32 v21, v0, v1
	v_add_f32_e32 v0, v2, v3
	v_add_f32_e32 v1, v6, v13
	v_add_f32_e32 v2, v16, v17
	v_add_f32_e32 v3, v19, v20
	v_add_f32_e32 v22, v4, v5
	v_add_f32_e32 v13, v14, v15
	v_add_f32_e32 v14, v7, v18
	v_cmp_eq_f32_e32 vcc, 0, v8
	v_cmp_eq_f32_e64 s[0:1], 0, v9
	v_mul_f32_e64 v4, v0, -v11
	v_mul_f32_e32 v5, v10, v0
	v_mul_f32_e64 v6, v1, -v11
	v_mul_f32_e32 v7, v10, v1
	;; [unrolled: 2-line block ×4, first 2 shown]
	s_and_b64 s[0:1], vcc, s[0:1]
	v_fmac_f32_e32 v4, v10, v21
	v_fmac_f32_e32 v5, v11, v21
	v_lshlrev_b32_e32 v12, 2, v12
	v_fmac_f32_e32 v6, v10, v22
	v_fmac_f32_e32 v7, v11, v22
	;; [unrolled: 1-line block ×6, first 2 shown]
	s_and_saveexec_b64 s[4:5], s[0:1]
	s_xor_b64 s[0:1], exec, s[4:5]
	s_cbranch_execz .LBB125_38
; %bb.37:
	v_ashrrev_i32_e32 v13, 31, v12
	v_lshlrev_b64 v[8:9], 3, v[12:13]
	s_waitcnt lgkmcnt(0)
	v_mov_b32_e32 v10, s3
	v_add_co_u32_e32 v8, vcc, s2, v8
	v_addc_co_u32_e32 v9, vcc, v10, v9, vcc
	global_store_dwordx4 v[8:9], v[4:7], off
	global_store_dwordx4 v[8:9], v[0:3], off offset:16
                                        ; implicit-def: $vgpr8_vgpr9
                                        ; implicit-def: $vgpr4
                                        ; implicit-def: $vgpr12
                                        ; implicit-def: $vgpr0
.LBB125_38:
	s_andn2_saveexec_b64 s[0:1], s[0:1]
	s_cbranch_execz .LBB125_8
; %bb.39:
	v_ashrrev_i32_e32 v13, 31, v12
	v_lshlrev_b64 v[10:11], 3, v[12:13]
	s_waitcnt lgkmcnt(0)
	v_mov_b32_e32 v12, s3
	v_add_co_u32_e32 v18, vcc, s2, v10
	v_addc_co_u32_e32 v19, vcc, v12, v11, vcc
	global_load_dwordx4 v[10:13], v[18:19], off
	global_load_dwordx4 v[14:17], v[18:19], off offset:16
	s_waitcnt vmcnt(1)
	v_fmac_f32_e32 v4, v8, v10
	v_fmac_f32_e32 v5, v9, v10
	;; [unrolled: 1-line block ×4, first 2 shown]
	s_waitcnt vmcnt(0)
	v_fmac_f32_e32 v0, v8, v14
	v_fmac_f32_e32 v1, v9, v14
	v_fmac_f32_e32 v2, v8, v16
	v_fmac_f32_e32 v3, v9, v16
	v_fma_f32 v4, -v9, v11, v4
	v_fmac_f32_e32 v5, v8, v11
	v_fma_f32 v6, -v9, v13, v6
	v_fmac_f32_e32 v7, v8, v13
	v_fma_f32 v0, -v9, v15, v0
	v_fmac_f32_e32 v1, v8, v15
	v_fma_f32 v2, -v9, v17, v2
	v_fmac_f32_e32 v3, v8, v17
	global_store_dwordx4 v[18:19], v[4:7], off
	global_store_dwordx4 v[18:19], v[0:3], off offset:16
	s_endpgm
	.section	.rodata,"a",@progbits
	.p2align	6, 0x0
	.amdhsa_kernel _ZN9rocsparseL18bsrxmvn_4x4_kernelILj128ELj4E21rocsparse_complex_numIfElifS2_S2_EEvT3_20rocsparse_direction_NS_24const_host_device_scalarIT1_EES3_PKS3_PKT2_SC_S9_PKT4_PKT5_S7_PT6_21rocsparse_index_base_b
		.amdhsa_group_segment_fixed_size 0
		.amdhsa_private_segment_fixed_size 0
		.amdhsa_kernarg_size 96
		.amdhsa_user_sgpr_count 6
		.amdhsa_user_sgpr_private_segment_buffer 1
		.amdhsa_user_sgpr_dispatch_ptr 0
		.amdhsa_user_sgpr_queue_ptr 0
		.amdhsa_user_sgpr_kernarg_segment_ptr 1
		.amdhsa_user_sgpr_dispatch_id 0
		.amdhsa_user_sgpr_flat_scratch_init 0
		.amdhsa_user_sgpr_private_segment_size 0
		.amdhsa_uses_dynamic_stack 0
		.amdhsa_system_sgpr_private_segment_wavefront_offset 0
		.amdhsa_system_sgpr_workgroup_id_x 1
		.amdhsa_system_sgpr_workgroup_id_y 0
		.amdhsa_system_sgpr_workgroup_id_z 0
		.amdhsa_system_sgpr_workgroup_info 0
		.amdhsa_system_vgpr_workitem_id 0
		.amdhsa_next_free_vgpr 59
		.amdhsa_next_free_sgpr 18
		.amdhsa_reserve_vcc 1
		.amdhsa_reserve_flat_scratch 0
		.amdhsa_float_round_mode_32 0
		.amdhsa_float_round_mode_16_64 0
		.amdhsa_float_denorm_mode_32 3
		.amdhsa_float_denorm_mode_16_64 3
		.amdhsa_dx10_clamp 1
		.amdhsa_ieee_mode 1
		.amdhsa_fp16_overflow 0
		.amdhsa_exception_fp_ieee_invalid_op 0
		.amdhsa_exception_fp_denorm_src 0
		.amdhsa_exception_fp_ieee_div_zero 0
		.amdhsa_exception_fp_ieee_overflow 0
		.amdhsa_exception_fp_ieee_underflow 0
		.amdhsa_exception_fp_ieee_inexact 0
		.amdhsa_exception_int_div_zero 0
	.end_amdhsa_kernel
	.section	.text._ZN9rocsparseL18bsrxmvn_4x4_kernelILj128ELj4E21rocsparse_complex_numIfElifS2_S2_EEvT3_20rocsparse_direction_NS_24const_host_device_scalarIT1_EES3_PKS3_PKT2_SC_S9_PKT4_PKT5_S7_PT6_21rocsparse_index_base_b,"axG",@progbits,_ZN9rocsparseL18bsrxmvn_4x4_kernelILj128ELj4E21rocsparse_complex_numIfElifS2_S2_EEvT3_20rocsparse_direction_NS_24const_host_device_scalarIT1_EES3_PKS3_PKT2_SC_S9_PKT4_PKT5_S7_PT6_21rocsparse_index_base_b,comdat
.Lfunc_end125:
	.size	_ZN9rocsparseL18bsrxmvn_4x4_kernelILj128ELj4E21rocsparse_complex_numIfElifS2_S2_EEvT3_20rocsparse_direction_NS_24const_host_device_scalarIT1_EES3_PKS3_PKT2_SC_S9_PKT4_PKT5_S7_PT6_21rocsparse_index_base_b, .Lfunc_end125-_ZN9rocsparseL18bsrxmvn_4x4_kernelILj128ELj4E21rocsparse_complex_numIfElifS2_S2_EEvT3_20rocsparse_direction_NS_24const_host_device_scalarIT1_EES3_PKS3_PKT2_SC_S9_PKT4_PKT5_S7_PT6_21rocsparse_index_base_b
                                        ; -- End function
	.set _ZN9rocsparseL18bsrxmvn_4x4_kernelILj128ELj4E21rocsparse_complex_numIfElifS2_S2_EEvT3_20rocsparse_direction_NS_24const_host_device_scalarIT1_EES3_PKS3_PKT2_SC_S9_PKT4_PKT5_S7_PT6_21rocsparse_index_base_b.num_vgpr, 59
	.set _ZN9rocsparseL18bsrxmvn_4x4_kernelILj128ELj4E21rocsparse_complex_numIfElifS2_S2_EEvT3_20rocsparse_direction_NS_24const_host_device_scalarIT1_EES3_PKS3_PKT2_SC_S9_PKT4_PKT5_S7_PT6_21rocsparse_index_base_b.num_agpr, 0
	.set _ZN9rocsparseL18bsrxmvn_4x4_kernelILj128ELj4E21rocsparse_complex_numIfElifS2_S2_EEvT3_20rocsparse_direction_NS_24const_host_device_scalarIT1_EES3_PKS3_PKT2_SC_S9_PKT4_PKT5_S7_PT6_21rocsparse_index_base_b.numbered_sgpr, 18
	.set _ZN9rocsparseL18bsrxmvn_4x4_kernelILj128ELj4E21rocsparse_complex_numIfElifS2_S2_EEvT3_20rocsparse_direction_NS_24const_host_device_scalarIT1_EES3_PKS3_PKT2_SC_S9_PKT4_PKT5_S7_PT6_21rocsparse_index_base_b.num_named_barrier, 0
	.set _ZN9rocsparseL18bsrxmvn_4x4_kernelILj128ELj4E21rocsparse_complex_numIfElifS2_S2_EEvT3_20rocsparse_direction_NS_24const_host_device_scalarIT1_EES3_PKS3_PKT2_SC_S9_PKT4_PKT5_S7_PT6_21rocsparse_index_base_b.private_seg_size, 0
	.set _ZN9rocsparseL18bsrxmvn_4x4_kernelILj128ELj4E21rocsparse_complex_numIfElifS2_S2_EEvT3_20rocsparse_direction_NS_24const_host_device_scalarIT1_EES3_PKS3_PKT2_SC_S9_PKT4_PKT5_S7_PT6_21rocsparse_index_base_b.uses_vcc, 1
	.set _ZN9rocsparseL18bsrxmvn_4x4_kernelILj128ELj4E21rocsparse_complex_numIfElifS2_S2_EEvT3_20rocsparse_direction_NS_24const_host_device_scalarIT1_EES3_PKS3_PKT2_SC_S9_PKT4_PKT5_S7_PT6_21rocsparse_index_base_b.uses_flat_scratch, 0
	.set _ZN9rocsparseL18bsrxmvn_4x4_kernelILj128ELj4E21rocsparse_complex_numIfElifS2_S2_EEvT3_20rocsparse_direction_NS_24const_host_device_scalarIT1_EES3_PKS3_PKT2_SC_S9_PKT4_PKT5_S7_PT6_21rocsparse_index_base_b.has_dyn_sized_stack, 0
	.set _ZN9rocsparseL18bsrxmvn_4x4_kernelILj128ELj4E21rocsparse_complex_numIfElifS2_S2_EEvT3_20rocsparse_direction_NS_24const_host_device_scalarIT1_EES3_PKS3_PKT2_SC_S9_PKT4_PKT5_S7_PT6_21rocsparse_index_base_b.has_recursion, 0
	.set _ZN9rocsparseL18bsrxmvn_4x4_kernelILj128ELj4E21rocsparse_complex_numIfElifS2_S2_EEvT3_20rocsparse_direction_NS_24const_host_device_scalarIT1_EES3_PKS3_PKT2_SC_S9_PKT4_PKT5_S7_PT6_21rocsparse_index_base_b.has_indirect_call, 0
	.section	.AMDGPU.csdata,"",@progbits
; Kernel info:
; codeLenInByte = 6068
; TotalNumSgprs: 22
; NumVgprs: 59
; ScratchSize: 0
; MemoryBound: 0
; FloatMode: 240
; IeeeMode: 1
; LDSByteSize: 0 bytes/workgroup (compile time only)
; SGPRBlocks: 2
; VGPRBlocks: 14
; NumSGPRsForWavesPerEU: 22
; NumVGPRsForWavesPerEU: 59
; Occupancy: 4
; WaveLimiterHint : 1
; COMPUTE_PGM_RSRC2:SCRATCH_EN: 0
; COMPUTE_PGM_RSRC2:USER_SGPR: 6
; COMPUTE_PGM_RSRC2:TRAP_HANDLER: 0
; COMPUTE_PGM_RSRC2:TGID_X_EN: 1
; COMPUTE_PGM_RSRC2:TGID_Y_EN: 0
; COMPUTE_PGM_RSRC2:TGID_Z_EN: 0
; COMPUTE_PGM_RSRC2:TIDIG_COMP_CNT: 0
	.section	.text._ZN9rocsparseL18bsrxmvn_4x4_kernelILj128ELj8E21rocsparse_complex_numIfElifS2_S2_EEvT3_20rocsparse_direction_NS_24const_host_device_scalarIT1_EES3_PKS3_PKT2_SC_S9_PKT4_PKT5_S7_PT6_21rocsparse_index_base_b,"axG",@progbits,_ZN9rocsparseL18bsrxmvn_4x4_kernelILj128ELj8E21rocsparse_complex_numIfElifS2_S2_EEvT3_20rocsparse_direction_NS_24const_host_device_scalarIT1_EES3_PKS3_PKT2_SC_S9_PKT4_PKT5_S7_PT6_21rocsparse_index_base_b,comdat
	.globl	_ZN9rocsparseL18bsrxmvn_4x4_kernelILj128ELj8E21rocsparse_complex_numIfElifS2_S2_EEvT3_20rocsparse_direction_NS_24const_host_device_scalarIT1_EES3_PKS3_PKT2_SC_S9_PKT4_PKT5_S7_PT6_21rocsparse_index_base_b ; -- Begin function _ZN9rocsparseL18bsrxmvn_4x4_kernelILj128ELj8E21rocsparse_complex_numIfElifS2_S2_EEvT3_20rocsparse_direction_NS_24const_host_device_scalarIT1_EES3_PKS3_PKT2_SC_S9_PKT4_PKT5_S7_PT6_21rocsparse_index_base_b
	.p2align	8
	.type	_ZN9rocsparseL18bsrxmvn_4x4_kernelILj128ELj8E21rocsparse_complex_numIfElifS2_S2_EEvT3_20rocsparse_direction_NS_24const_host_device_scalarIT1_EES3_PKS3_PKT2_SC_S9_PKT4_PKT5_S7_PT6_21rocsparse_index_base_b,@function
_ZN9rocsparseL18bsrxmvn_4x4_kernelILj128ELj8E21rocsparse_complex_numIfElifS2_S2_EEvT3_20rocsparse_direction_NS_24const_host_device_scalarIT1_EES3_PKS3_PKT2_SC_S9_PKT4_PKT5_S7_PT6_21rocsparse_index_base_b: ; @_ZN9rocsparseL18bsrxmvn_4x4_kernelILj128ELj8E21rocsparse_complex_numIfElifS2_S2_EEvT3_20rocsparse_direction_NS_24const_host_device_scalarIT1_EES3_PKS3_PKT2_SC_S9_PKT4_PKT5_S7_PT6_21rocsparse_index_base_b
; %bb.0:
	s_load_dwordx2 s[0:1], s[4:5], 0x8
	s_load_dwordx2 s[16:17], s[4:5], 0x58
	s_add_u32 s7, s4, 8
	s_addc_u32 s8, s5, 0
	s_add_u32 s9, s4, 0x48
	s_load_dwordx2 s[2:3], s[4:5], 0x48
	s_addc_u32 s10, s5, 0
	s_waitcnt lgkmcnt(0)
	s_bitcmp1_b32 s17, 0
	s_cselect_b32 s1, s8, s1
	s_cselect_b32 s0, s7, s0
	v_mov_b32_e32 v1, s0
	v_mov_b32_e32 v2, s1
	flat_load_dwordx2 v[10:11], v[1:2]
	s_cselect_b32 s0, s10, s3
	s_cselect_b32 s1, s9, s2
	v_mov_b32_e32 v1, s1
	v_mov_b32_e32 v2, s0
	flat_load_dwordx2 v[8:9], v[1:2]
	s_waitcnt vmcnt(0) lgkmcnt(0)
	v_cmp_eq_f32_e32 vcc, 0, v10
	v_cmp_eq_f32_e64 s[0:1], 0, v11
	s_and_b64 s[8:9], vcc, s[0:1]
	s_mov_b64 s[0:1], -1
	s_and_saveexec_b64 s[2:3], s[8:9]
; %bb.1:
	v_cmp_neq_f32_e32 vcc, 1.0, v8
	v_cmp_neq_f32_e64 s[0:1], 0, v9
	s_or_b64 s[0:1], vcc, s[0:1]
	s_orn2_b64 s[0:1], s[0:1], exec
; %bb.2:
	s_or_b64 exec, exec, s[2:3]
	s_and_saveexec_b64 s[2:3], s[0:1]
	s_cbranch_execz .LBB126_8
; %bb.3:
	s_load_dwordx2 s[8:9], s[4:5], 0x18
	s_load_dwordx2 s[0:1], s[4:5], 0x0
	v_lshrrev_b32_e32 v1, 3, v0
	v_lshl_or_b32 v12, s6, 4, v1
	s_mov_b64 s[2:3], 0
	s_waitcnt lgkmcnt(0)
	s_cmp_lg_u64 s[8:9], 0
	s_cbranch_scc0 .LBB126_9
; %bb.4:
	s_load_dword s6, s[4:5], 0x10
                                        ; implicit-def: $vgpr1
	s_waitcnt lgkmcnt(0)
	v_cmp_gt_i32_e32 vcc, s6, v12
	s_and_saveexec_b64 s[6:7], vcc
	s_xor_b64 s[6:7], exec, s[6:7]
	s_cbranch_execz .LBB126_6
; %bb.5:
	v_ashrrev_i32_e32 v13, 31, v12
	v_lshlrev_b64 v[1:2], 2, v[12:13]
	v_mov_b32_e32 v3, s9
	v_add_co_u32_e32 v1, vcc, s8, v1
	v_addc_co_u32_e32 v2, vcc, v3, v2, vcc
	global_load_dword v1, v[1:2], off
	s_mov_b64 s[2:3], exec
	s_waitcnt vmcnt(0)
	v_subrev_u32_e32 v1, s16, v1
.LBB126_6:
	s_or_b64 exec, exec, s[6:7]
	s_branch .LBB126_10
.LBB126_7:
	v_cmp_gt_i32_e32 vcc, s0, v12
	s_andn2_b64 s[2:3], s[2:3], exec
	s_and_b64 s[6:7], vcc, exec
	s_or_b64 s[2:3], s[2:3], s[6:7]
	s_and_b64 exec, exec, s[2:3]
	s_cbranch_execnz .LBB126_11
.LBB126_8:
	s_endpgm
.LBB126_9:
                                        ; implicit-def: $vgpr1
	s_cbranch_execnz .LBB126_7
.LBB126_10:
	v_mov_b32_e32 v12, v1
	s_and_b64 exec, exec, s[2:3]
	s_cbranch_execz .LBB126_8
.LBB126_11:
	s_load_dwordx8 s[8:15], s[4:5], 0x20
	v_ashrrev_i32_e32 v13, 31, v12
	v_lshlrev_b64 v[1:2], 3, v[12:13]
	v_and_b32_e32 v25, 7, v0
	s_load_dwordx2 s[6:7], s[4:5], 0x40
	s_waitcnt lgkmcnt(0)
	v_mov_b32_e32 v4, s9
	v_add_co_u32_e32 v3, vcc, s8, v1
	v_addc_co_u32_e32 v4, vcc, v4, v2, vcc
	global_load_dwordx2 v[13:14], v[3:4], off
	v_add_co_u32_e32 v3, vcc, 8, v3
	v_addc_co_u32_e32 v4, vcc, 0, v4, vcc
	v_mov_b32_e32 v5, s11
	v_add_co_u32_e32 v1, vcc, s10, v1
	s_cmp_eq_u64 s[10:11], 0
	v_addc_co_u32_e32 v2, vcc, v5, v2, vcc
	s_cselect_b64 vcc, -1, 0
	v_cndmask_b32_e32 v2, v2, v4, vcc
	v_cndmask_b32_e32 v1, v1, v3, vcc
	global_load_dwordx2 v[2:3], v[1:2], off
	v_mov_b32_e32 v7, s15
	s_cmp_eq_u32 s1, 1
	v_mov_b32_e32 v6, 0
	s_waitcnt vmcnt(1)
	v_subrev_co_u32_e32 v0, vcc, s16, v13
	v_subbrev_co_u32_e32 v1, vcc, 0, v14, vcc
	v_add_co_u32_e32 v0, vcc, v0, v25
	v_addc_co_u32_e32 v1, vcc, 0, v1, vcc
	v_lshlrev_b64 v[4:5], 6, v[0:1]
	s_waitcnt vmcnt(0)
	v_subrev_co_u32_e32 v2, vcc, s16, v2
	v_subbrev_co_u32_e32 v3, vcc, 0, v3, vcc
	v_cmp_lt_i64_e64 s[0:1], v[0:1], v[2:3]
	v_add_co_u32_e32 v4, vcc, s14, v4
	v_addc_co_u32_e32 v5, vcc, v7, v5, vcc
	s_cbranch_scc1 .LBB126_23
; %bb.12:
	v_mov_b32_e32 v31, 0
	v_mov_b32_e32 v28, 0
	;; [unrolled: 1-line block ×7, first 2 shown]
	s_and_saveexec_b64 s[8:9], s[0:1]
	s_cbranch_execz .LBB126_22
; %bb.13:
	v_or_b32_e32 v6, 8, v25
	v_subrev_co_u32_e32 v6, vcc, s16, v6
	v_subb_co_u32_e64 v7, s[2:3], 0, 0, vcc
	v_add_co_u32_e32 v6, vcc, v6, v13
	v_addc_co_u32_e32 v7, vcc, v7, v14, vcc
	v_cmp_gt_i64_e32 vcc, v[6:7], v[2:3]
	v_not_b32_e32 v16, v13
	v_cndmask_b32_e32 v7, v3, v7, vcc
	v_cndmask_b32_e32 v6, v2, v6, vcc
	v_sub_co_u32_e32 v17, vcc, s16, v25
	v_not_b32_e32 v15, v14
	v_subb_co_u32_e64 v18, s[2:3], 0, 0, vcc
	v_add_co_u32_e32 v16, vcc, v17, v16
	v_addc_co_u32_e32 v15, vcc, v18, v15, vcc
	v_add_co_u32_e32 v19, vcc, v16, v6
	v_addc_co_u32_e32 v20, vcc, v15, v7, vcc
	v_and_b32_e32 v6, 24, v19
	v_mov_b32_e32 v7, 0
	v_cmp_ne_u64_e32 vcc, 24, v[6:7]
	v_mov_b32_e32 v16, v5
	v_mov_b32_e32 v18, v1
	;; [unrolled: 1-line block ×11, first 2 shown]
	s_and_saveexec_b64 s[10:11], vcc
	s_cbranch_execz .LBB126_17
; %bb.14:
	v_lshlrev_b64 v[15:16], 2, v[0:1]
	v_lshrrev_b32_e32 v6, 3, v19
	v_add_u32_e32 v6, 1, v6
	v_mov_b32_e32 v17, s13
	v_add_co_u32_e32 v21, vcc, s12, v15
	v_and_b32_e32 v7, 3, v6
	v_addc_co_u32_e32 v22, vcc, v17, v16, vcc
	v_sub_co_u32_e32 v23, vcc, 0, v7
	v_mov_b32_e32 v18, v1
	v_mov_b32_e32 v16, v5
	;; [unrolled: 1-line block ×3, first 2 shown]
	s_mov_b64 s[14:15], 0
	v_subb_co_u32_e64 v24, s[2:3], 0, 0, vcc
	s_movk_i32 s17, 0x200
	v_mov_b32_e32 v32, s7
	v_mov_b32_e32 v17, v0
	;; [unrolled: 1-line block ×10, first 2 shown]
.LBB126_15:                             ; =>This Inner Loop Header: Depth=1
	global_load_dword v49, v[21:22], off
	global_load_dwordx4 v[33:36], v[15:16], off offset:16
	global_load_dwordx4 v[37:40], v[15:16], off
	global_load_dwordx4 v[41:44], v[15:16], off offset:32
	global_load_dwordx4 v[45:48], v[15:16], off offset:48
	v_add_co_u32_e64 v17, s[2:3], 8, v17
	v_addc_co_u32_e64 v18, s[2:3], 0, v18, s[2:3]
	v_add_co_u32_e64 v21, s[2:3], 32, v21
	v_addc_co_u32_e64 v22, s[2:3], 0, v22, s[2:3]
	;; [unrolled: 2-line block ×3, first 2 shown]
	v_cmp_eq_u64_e64 s[2:3], 0, v[23:24]
	s_or_b64 s[14:15], s[2:3], s[14:15]
	s_waitcnt vmcnt(4)
	v_subrev_u32_e32 v49, s16, v49
	v_lshlrev_b32_e32 v49, 2, v49
	v_ashrrev_i32_e32 v50, 31, v49
	v_lshlrev_b64 v[49:50], 3, v[49:50]
	v_add_co_u32_e32 v57, vcc, s6, v49
	v_addc_co_u32_e32 v58, vcc, v32, v50, vcc
	global_load_dwordx4 v[49:52], v[57:58], off
	global_load_dwordx4 v[53:56], v[57:58], off offset:16
	v_add_co_u32_e32 v15, vcc, s17, v15
	v_addc_co_u32_e32 v16, vcc, 0, v16, vcc
	s_waitcnt vmcnt(1)
	v_fmac_f32_e32 v31, v37, v49
	v_fmac_f32_e32 v6, 0, v49
	;; [unrolled: 1-line block ×32, first 2 shown]
	s_waitcnt vmcnt(0)
	v_fmac_f32_e32 v31, v39, v53
	v_fmac_f32_e32 v6, 0, v53
	;; [unrolled: 1-line block ×32, first 2 shown]
	s_andn2_b64 exec, exec, s[14:15]
	s_cbranch_execnz .LBB126_15
; %bb.16:
	s_or_b64 exec, exec, s[14:15]
.LBB126_17:
	s_or_b64 exec, exec, s[10:11]
	v_cmp_lt_u64_e32 vcc, 23, v[19:20]
	s_and_saveexec_b64 s[2:3], vcc
	s_cbranch_execz .LBB126_21
; %bb.18:
	v_lshlrev_b64 v[19:20], 2, v[17:18]
	v_mov_b32_e32 v21, s13
	v_add_co_u32_e32 v19, vcc, s12, v19
	v_addc_co_u32_e32 v20, vcc, v21, v20, vcc
	v_add_co_u32_e32 v19, vcc, 64, v19
	v_addc_co_u32_e32 v20, vcc, 0, v20, vcc
	s_mov_b64 s[10:11], 0
	v_mov_b32_e32 v21, s7
	s_movk_i32 s14, 0x800
.LBB126_19:                             ; =>This Inner Loop Header: Depth=1
	global_load_dword v22, v[19:20], off offset:-64
	global_load_dwordx4 v[32:35], v[15:16], off offset:48
	global_load_dwordx4 v[36:39], v[15:16], off offset:32
	;; [unrolled: 1-line block ×3, first 2 shown]
	global_load_dwordx4 v[44:47], v[15:16], off
	s_waitcnt vmcnt(4)
	v_subrev_u32_e32 v22, s16, v22
	v_lshlrev_b32_e32 v22, 2, v22
	v_ashrrev_i32_e32 v23, 31, v22
	v_lshlrev_b64 v[22:23], 3, v[22:23]
	v_add_co_u32_e32 v22, vcc, s6, v22
	v_addc_co_u32_e32 v23, vcc, v21, v23, vcc
	global_load_dwordx4 v[48:51], v[22:23], off offset:16
	global_load_dwordx4 v[52:55], v[22:23], off
	s_waitcnt vmcnt(0)
	v_fmac_f32_e32 v31, v44, v52
	global_load_dword v22, v[19:20], off offset:-32
	v_fmac_f32_e32 v6, 0, v52
	v_fmac_f32_e32 v30, v40, v52
	;; [unrolled: 1-line block ×63, first 2 shown]
	global_load_dwordx4 v[32:35], v[15:16], off offset:560
	global_load_dwordx4 v[36:39], v[15:16], off offset:544
	;; [unrolled: 1-line block ×4, first 2 shown]
	s_waitcnt vmcnt(4)
	v_subrev_u32_e32 v22, s16, v22
	v_lshlrev_b32_e32 v22, 2, v22
	v_ashrrev_i32_e32 v23, 31, v22
	v_lshlrev_b64 v[22:23], 3, v[22:23]
	v_add_co_u32_e32 v22, vcc, s6, v22
	v_addc_co_u32_e32 v23, vcc, v21, v23, vcc
	global_load_dwordx4 v[48:51], v[22:23], off offset:16
	global_load_dwordx4 v[52:55], v[22:23], off
	s_waitcnt vmcnt(0)
	v_fmac_f32_e32 v31, v44, v52
	global_load_dword v22, v[19:20], off
	v_fmac_f32_e32 v6, 0, v52
	v_fmac_f32_e32 v30, v40, v52
	;; [unrolled: 1-line block ×63, first 2 shown]
	global_load_dwordx4 v[32:35], v[15:16], off offset:1072
	global_load_dwordx4 v[36:39], v[15:16], off offset:1056
	;; [unrolled: 1-line block ×4, first 2 shown]
	s_waitcnt vmcnt(4)
	v_subrev_u32_e32 v22, s16, v22
	v_lshlrev_b32_e32 v22, 2, v22
	v_ashrrev_i32_e32 v23, 31, v22
	v_lshlrev_b64 v[22:23], 3, v[22:23]
	v_add_co_u32_e32 v22, vcc, s6, v22
	v_addc_co_u32_e32 v23, vcc, v21, v23, vcc
	global_load_dwordx4 v[48:51], v[22:23], off offset:16
	global_load_dwordx4 v[52:55], v[22:23], off
	s_waitcnt vmcnt(0)
	v_fmac_f32_e32 v31, v44, v52
	global_load_dword v22, v[19:20], off offset:32
	v_fmac_f32_e32 v6, 0, v52
	v_fmac_f32_e32 v30, v40, v52
	;; [unrolled: 1-line block ×63, first 2 shown]
	global_load_dwordx4 v[32:35], v[15:16], off offset:1584
	global_load_dwordx4 v[36:39], v[15:16], off offset:1568
	;; [unrolled: 1-line block ×4, first 2 shown]
	s_waitcnt vmcnt(4)
	v_subrev_u32_e32 v22, s16, v22
	v_lshlrev_b32_e32 v22, 2, v22
	v_ashrrev_i32_e32 v23, 31, v22
	v_lshlrev_b64 v[22:23], 3, v[22:23]
	v_add_co_u32_e32 v22, vcc, s6, v22
	v_addc_co_u32_e32 v23, vcc, v21, v23, vcc
	global_load_dwordx4 v[48:51], v[22:23], off offset:16
	global_load_dwordx4 v[52:55], v[22:23], off
	v_add_co_u32_e32 v15, vcc, s14, v15
	v_addc_co_u32_e32 v16, vcc, 0, v16, vcc
	v_add_co_u32_e32 v17, vcc, 32, v17
	v_addc_co_u32_e32 v18, vcc, 0, v18, vcc
	;; [unrolled: 2-line block ×3, first 2 shown]
	v_cmp_ge_i64_e32 vcc, v[17:18], v[2:3]
	s_or_b64 s[10:11], vcc, s[10:11]
	s_waitcnt vmcnt(0)
	v_fmac_f32_e32 v31, v44, v52
	v_fmac_f32_e32 v6, 0, v52
	;; [unrolled: 1-line block ×64, first 2 shown]
	s_andn2_b64 exec, exec, s[10:11]
	s_cbranch_execnz .LBB126_19
; %bb.20:
	s_or_b64 exec, exec, s[10:11]
.LBB126_21:
	s_or_b64 exec, exec, s[2:3]
.LBB126_22:
	s_or_b64 exec, exec, s[8:9]
	s_cbranch_execz .LBB126_24
	s_branch .LBB126_35
.LBB126_23:
                                        ; implicit-def: $vgpr6
                                        ; implicit-def: $vgpr31
                                        ; implicit-def: $vgpr28
                                        ; implicit-def: $vgpr30
                                        ; implicit-def: $vgpr27
                                        ; implicit-def: $vgpr29
                                        ; implicit-def: $vgpr26
                                        ; implicit-def: $vgpr7
.LBB126_24:
	v_mov_b32_e32 v6, 0
	v_mov_b32_e32 v31, 0
	;; [unrolled: 1-line block ×8, first 2 shown]
	s_and_saveexec_b64 s[2:3], s[0:1]
	s_cbranch_execz .LBB126_34
; %bb.25:
	v_or_b32_e32 v6, 8, v25
	v_subrev_co_u32_e32 v6, vcc, s16, v6
	v_subb_co_u32_e64 v7, s[0:1], 0, 0, vcc
	v_add_co_u32_e32 v6, vcc, v6, v13
	v_addc_co_u32_e32 v7, vcc, v7, v14, vcc
	v_cmp_gt_i64_e32 vcc, v[6:7], v[2:3]
	v_not_b32_e32 v13, v13
	v_cndmask_b32_e32 v7, v3, v7, vcc
	v_cndmask_b32_e32 v6, v2, v6, vcc
	v_sub_co_u32_e32 v15, vcc, s16, v25
	v_not_b32_e32 v14, v14
	v_subb_co_u32_e64 v16, s[0:1], 0, 0, vcc
	v_add_co_u32_e32 v13, vcc, v15, v13
	v_addc_co_u32_e32 v14, vcc, v16, v14, vcc
	v_add_co_u32_e32 v13, vcc, v13, v6
	v_addc_co_u32_e32 v14, vcc, v14, v7, vcc
	v_and_b32_e32 v6, 24, v13
	v_mov_b32_e32 v7, 0
	v_cmp_ne_u64_e32 vcc, 24, v[6:7]
	v_mov_b32_e32 v26, v7
	v_mov_b32_e32 v29, v7
	;; [unrolled: 1-line block ×7, first 2 shown]
	s_and_saveexec_b64 s[8:9], vcc
	s_cbranch_execz .LBB126_29
; %bb.26:
	v_lshlrev_b64 v[15:16], 2, v[0:1]
	v_lshrrev_b32_e32 v6, 3, v13
	v_add_u32_e32 v6, 1, v6
	v_mov_b32_e32 v17, s13
	v_add_co_u32_e32 v15, vcc, s12, v15
	v_and_b32_e32 v7, 3, v6
	v_addc_co_u32_e32 v16, vcc, v17, v16, vcc
	v_sub_co_u32_e32 v17, vcc, 0, v7
	v_mov_b32_e32 v6, 0
	s_mov_b64 s[10:11], 0
	v_subb_co_u32_e64 v18, s[0:1], 0, 0, vcc
	s_movk_i32 s14, 0x200
	v_mov_b32_e32 v19, s7
	v_mov_b32_e32 v31, 0
	;; [unrolled: 1-line block ×8, first 2 shown]
.LBB126_27:                             ; =>This Inner Loop Header: Depth=1
	global_load_dword v24, v[15:16], off
	global_load_dwordx4 v[20:23], v[4:5], off offset:32
	global_load_dwordx4 v[32:35], v[4:5], off offset:16
	global_load_dwordx4 v[36:39], v[4:5], off
	v_add_co_u32_e64 v0, s[0:1], 8, v0
	v_addc_co_u32_e64 v1, s[0:1], 0, v1, s[0:1]
	v_add_co_u32_e64 v15, s[0:1], 32, v15
	v_addc_co_u32_e64 v16, s[0:1], 0, v16, s[0:1]
	;; [unrolled: 2-line block ×3, first 2 shown]
	v_cmp_eq_u64_e64 s[0:1], 0, v[17:18]
	s_or_b64 s[10:11], s[0:1], s[10:11]
	s_waitcnt vmcnt(3)
	v_subrev_u32_e32 v24, s16, v24
	v_lshlrev_b32_e32 v40, 2, v24
	v_ashrrev_i32_e32 v41, 31, v40
	v_lshlrev_b64 v[40:41], 3, v[40:41]
	v_add_co_u32_e32 v52, vcc, s6, v40
	v_addc_co_u32_e32 v53, vcc, v19, v41, vcc
	global_load_dwordx4 v[40:43], v[52:53], off
	global_load_dwordx4 v[44:47], v[52:53], off offset:16
	global_load_dwordx4 v[48:51], v[4:5], off offset:48
	v_add_co_u32_e32 v4, vcc, s14, v4
	v_addc_co_u32_e32 v5, vcc, 0, v5, vcc
	s_waitcnt vmcnt(2)
	v_fmac_f32_e32 v31, v36, v40
	v_fmac_f32_e32 v6, 0, v40
	;; [unrolled: 1-line block ×32, first 2 shown]
	s_waitcnt vmcnt(1)
	v_fmac_f32_e32 v31, v20, v44
	v_fmac_f32_e32 v6, 0, v44
	;; [unrolled: 1-line block ×16, first 2 shown]
	s_waitcnt vmcnt(0)
	v_fmac_f32_e32 v31, v48, v46
	v_fmac_f32_e32 v6, 0, v46
	;; [unrolled: 1-line block ×16, first 2 shown]
	s_andn2_b64 exec, exec, s[10:11]
	s_cbranch_execnz .LBB126_27
; %bb.28:
	s_or_b64 exec, exec, s[10:11]
.LBB126_29:
	s_or_b64 exec, exec, s[8:9]
	v_cmp_lt_u64_e32 vcc, 23, v[13:14]
	s_and_saveexec_b64 s[0:1], vcc
	s_cbranch_execz .LBB126_33
; %bb.30:
	v_lshlrev_b64 v[13:14], 2, v[0:1]
	v_mov_b32_e32 v15, s13
	v_add_co_u32_e32 v13, vcc, s12, v13
	v_addc_co_u32_e32 v14, vcc, v15, v14, vcc
	v_add_co_u32_e32 v13, vcc, 64, v13
	v_addc_co_u32_e32 v14, vcc, 0, v14, vcc
	s_mov_b64 s[8:9], 0
	v_mov_b32_e32 v15, s7
	s_movk_i32 s7, 0x800
.LBB126_31:                             ; =>This Inner Loop Header: Depth=1
	global_load_dword v16, v[13:14], off offset:-64
	s_waitcnt vmcnt(0)
	v_subrev_u32_e32 v16, s16, v16
	v_lshlrev_b32_e32 v40, 2, v16
	v_ashrrev_i32_e32 v41, 31, v40
	v_lshlrev_b64 v[40:41], 3, v[40:41]
	global_load_dwordx4 v[16:19], v[4:5], off offset:48
	global_load_dwordx4 v[20:23], v[4:5], off offset:32
	;; [unrolled: 1-line block ×3, first 2 shown]
	global_load_dwordx4 v[36:39], v[4:5], off
	v_add_co_u32_e32 v48, vcc, s6, v40
	v_addc_co_u32_e32 v49, vcc, v15, v41, vcc
	global_load_dwordx4 v[40:43], v[48:49], off offset:16
	global_load_dwordx4 v[44:47], v[48:49], off
	s_waitcnt vmcnt(0)
	v_fmac_f32_e32 v6, 0, v44
	v_fmac_f32_e32 v31, v36, v44
	;; [unrolled: 1-line block ×15, first 2 shown]
	global_load_dword v16, v[13:14], off offset:-32
	v_fmac_f32_e32 v30, v37, v44
	v_fmac_f32_e32 v28, 0, v44
	;; [unrolled: 1-line block ×49, first 2 shown]
	s_waitcnt vmcnt(0)
	v_subrev_u32_e32 v16, s16, v16
	v_lshlrev_b32_e32 v40, 2, v16
	v_ashrrev_i32_e32 v41, 31, v40
	v_lshlrev_b64 v[40:41], 3, v[40:41]
	global_load_dwordx4 v[16:19], v[4:5], off offset:560
	global_load_dwordx4 v[20:23], v[4:5], off offset:544
	;; [unrolled: 1-line block ×4, first 2 shown]
	v_add_co_u32_e32 v48, vcc, s6, v40
	v_addc_co_u32_e32 v49, vcc, v15, v41, vcc
	global_load_dwordx4 v[40:43], v[48:49], off offset:16
	global_load_dwordx4 v[44:47], v[48:49], off
	s_waitcnt vmcnt(0)
	v_fmac_f32_e32 v6, 0, v44
	v_fmac_f32_e32 v31, v36, v44
	;; [unrolled: 1-line block ×15, first 2 shown]
	global_load_dword v16, v[13:14], off
	v_fmac_f32_e32 v30, v37, v44
	v_fmac_f32_e32 v28, 0, v44
	;; [unrolled: 1-line block ×49, first 2 shown]
	s_waitcnt vmcnt(0)
	v_subrev_u32_e32 v16, s16, v16
	v_lshlrev_b32_e32 v40, 2, v16
	v_ashrrev_i32_e32 v41, 31, v40
	v_lshlrev_b64 v[40:41], 3, v[40:41]
	global_load_dwordx4 v[16:19], v[4:5], off offset:1072
	global_load_dwordx4 v[20:23], v[4:5], off offset:1056
	;; [unrolled: 1-line block ×4, first 2 shown]
	v_add_co_u32_e32 v48, vcc, s6, v40
	v_addc_co_u32_e32 v49, vcc, v15, v41, vcc
	global_load_dwordx4 v[40:43], v[48:49], off offset:16
	global_load_dwordx4 v[44:47], v[48:49], off
	s_waitcnt vmcnt(0)
	v_fmac_f32_e32 v6, 0, v44
	v_fmac_f32_e32 v31, v36, v44
	;; [unrolled: 1-line block ×15, first 2 shown]
	global_load_dword v16, v[13:14], off offset:32
	v_fmac_f32_e32 v30, v37, v44
	v_fmac_f32_e32 v28, 0, v44
	v_fmac_f32_e32 v29, v38, v44
	v_fmac_f32_e32 v27, 0, v44
	v_fmac_f32_e32 v7, v39, v44
	v_fmac_f32_e32 v26, 0, v44
	v_fmac_f32_e32 v30, 0x80000000, v45
	v_fmac_f32_e32 v28, v37, v45
	v_fmac_f32_e32 v29, 0x80000000, v45
	v_fmac_f32_e32 v27, v38, v45
	v_fmac_f32_e32 v7, 0x80000000, v45
	v_fmac_f32_e32 v26, v39, v45
	v_fmac_f32_e32 v30, v33, v46
	v_fmac_f32_e32 v28, 0, v46
	v_fmac_f32_e32 v29, v34, v46
	v_fmac_f32_e32 v27, 0, v46
	v_fmac_f32_e32 v7, v35, v46
	v_fmac_f32_e32 v26, 0, v46
	v_fmac_f32_e32 v30, 0x80000000, v47
	v_fmac_f32_e32 v28, v33, v47
	v_fmac_f32_e32 v29, 0x80000000, v47
	v_fmac_f32_e32 v27, v34, v47
	v_fmac_f32_e32 v7, 0x80000000, v47
	v_fmac_f32_e32 v26, v35, v47
	v_fmac_f32_e32 v30, v21, v40
	v_fmac_f32_e32 v28, 0, v40
	v_fmac_f32_e32 v29, v22, v40
	v_fmac_f32_e32 v27, 0, v40
	v_fmac_f32_e32 v7, v23, v40
	v_fmac_f32_e32 v26, 0, v40
	v_fmac_f32_e32 v30, 0x80000000, v41
	v_fmac_f32_e32 v28, v21, v41
	v_fmac_f32_e32 v29, 0x80000000, v41
	v_fmac_f32_e32 v27, v22, v41
	v_fmac_f32_e32 v7, 0x80000000, v41
	v_fmac_f32_e32 v26, v23, v41
	v_fmac_f32_e32 v30, v17, v42
	v_fmac_f32_e32 v28, 0, v42
	v_fmac_f32_e32 v29, v18, v42
	v_fmac_f32_e32 v27, 0, v42
	v_fmac_f32_e32 v7, v19, v42
	v_fmac_f32_e32 v26, 0, v42
	v_fmac_f32_e32 v31, 0x80000000, v43
	v_fmac_f32_e32 v30, 0x80000000, v43
	v_fmac_f32_e32 v28, v17, v43
	v_fmac_f32_e32 v29, 0x80000000, v43
	v_fmac_f32_e32 v27, v18, v43
	v_fmac_f32_e32 v7, 0x80000000, v43
	v_fmac_f32_e32 v26, v19, v43
	s_waitcnt vmcnt(0)
	v_subrev_u32_e32 v16, s16, v16
	v_lshlrev_b32_e32 v40, 2, v16
	v_ashrrev_i32_e32 v41, 31, v40
	v_lshlrev_b64 v[40:41], 3, v[40:41]
	global_load_dwordx4 v[16:19], v[4:5], off offset:1584
	global_load_dwordx4 v[20:23], v[4:5], off offset:1568
	;; [unrolled: 1-line block ×4, first 2 shown]
	v_add_co_u32_e32 v48, vcc, s6, v40
	v_addc_co_u32_e32 v49, vcc, v15, v41, vcc
	global_load_dwordx4 v[40:43], v[48:49], off offset:16
	global_load_dwordx4 v[44:47], v[48:49], off
	v_add_co_u32_e32 v4, vcc, s7, v4
	v_addc_co_u32_e32 v5, vcc, 0, v5, vcc
	v_add_co_u32_e32 v0, vcc, 32, v0
	v_addc_co_u32_e32 v1, vcc, 0, v1, vcc
	;; [unrolled: 2-line block ×3, first 2 shown]
	v_cmp_ge_i64_e32 vcc, v[0:1], v[2:3]
	s_or_b64 s[8:9], vcc, s[8:9]
	s_waitcnt vmcnt(0)
	v_fmac_f32_e32 v31, v36, v44
	v_fmac_f32_e32 v6, 0, v44
	;; [unrolled: 1-line block ×64, first 2 shown]
	s_andn2_b64 exec, exec, s[8:9]
	s_cbranch_execnz .LBB126_31
; %bb.32:
	s_or_b64 exec, exec, s[8:9]
.LBB126_33:
	s_or_b64 exec, exec, s[0:1]
.LBB126_34:
	s_or_b64 exec, exec, s[2:3]
.LBB126_35:
	v_mov_b32_dpp v2, v6 row_shr:1 row_mask:0xf bank_mask:0xf
	v_mov_b32_dpp v0, v31 row_shr:1 row_mask:0xf bank_mask:0xf
	v_add_f32_e32 v2, v6, v2
	v_mov_b32_dpp v4, v30 row_shr:1 row_mask:0xf bank_mask:0xf
	v_mov_b32_dpp v6, v28 row_shr:1 row_mask:0xf bank_mask:0xf
	;; [unrolled: 1-line block ×6, first 2 shown]
	v_add_f32_e32 v0, v31, v0
	v_add_f32_e32 v4, v30, v4
	;; [unrolled: 1-line block ×7, first 2 shown]
	v_mov_b32_dpp v1, v0 row_shr:2 row_mask:0xf bank_mask:0xf
	v_mov_b32_dpp v3, v2 row_shr:2 row_mask:0xf bank_mask:0xf
	;; [unrolled: 1-line block ×8, first 2 shown]
	v_add_f32_e32 v0, v0, v1
	v_add_f32_e32 v2, v2, v3
	;; [unrolled: 1-line block ×8, first 2 shown]
	v_mov_b32_dpp v1, v0 row_shr:4 row_mask:0xf bank_mask:0xe
	v_mov_b32_dpp v3, v2 row_shr:4 row_mask:0xf bank_mask:0xe
	;; [unrolled: 1-line block ×8, first 2 shown]
	v_cmp_eq_u32_e32 vcc, 7, v25
	s_and_b64 exec, exec, vcc
	s_cbranch_execz .LBB126_8
; %bb.36:
	s_load_dwordx2 s[2:3], s[4:5], 0x50
	v_add_f32_e32 v21, v0, v1
	v_add_f32_e32 v0, v2, v3
	;; [unrolled: 1-line block ×8, first 2 shown]
	v_cmp_eq_f32_e32 vcc, 0, v8
	v_cmp_eq_f32_e64 s[0:1], 0, v9
	v_mul_f32_e64 v4, v0, -v11
	v_mul_f32_e32 v5, v10, v0
	v_mul_f32_e64 v6, v1, -v11
	v_mul_f32_e32 v7, v10, v1
	;; [unrolled: 2-line block ×4, first 2 shown]
	s_and_b64 s[0:1], vcc, s[0:1]
	v_fmac_f32_e32 v4, v10, v21
	v_fmac_f32_e32 v5, v11, v21
	v_lshlrev_b32_e32 v12, 2, v12
	v_fmac_f32_e32 v6, v10, v22
	v_fmac_f32_e32 v7, v11, v22
	;; [unrolled: 1-line block ×6, first 2 shown]
	s_and_saveexec_b64 s[4:5], s[0:1]
	s_xor_b64 s[0:1], exec, s[4:5]
	s_cbranch_execz .LBB126_38
; %bb.37:
	v_ashrrev_i32_e32 v13, 31, v12
	v_lshlrev_b64 v[8:9], 3, v[12:13]
	s_waitcnt lgkmcnt(0)
	v_mov_b32_e32 v10, s3
	v_add_co_u32_e32 v8, vcc, s2, v8
	v_addc_co_u32_e32 v9, vcc, v10, v9, vcc
	global_store_dwordx4 v[8:9], v[4:7], off
	global_store_dwordx4 v[8:9], v[0:3], off offset:16
                                        ; implicit-def: $vgpr8_vgpr9
                                        ; implicit-def: $vgpr4
                                        ; implicit-def: $vgpr12
                                        ; implicit-def: $vgpr0
.LBB126_38:
	s_andn2_saveexec_b64 s[0:1], s[0:1]
	s_cbranch_execz .LBB126_8
; %bb.39:
	v_ashrrev_i32_e32 v13, 31, v12
	v_lshlrev_b64 v[10:11], 3, v[12:13]
	s_waitcnt lgkmcnt(0)
	v_mov_b32_e32 v12, s3
	v_add_co_u32_e32 v18, vcc, s2, v10
	v_addc_co_u32_e32 v19, vcc, v12, v11, vcc
	global_load_dwordx4 v[10:13], v[18:19], off
	global_load_dwordx4 v[14:17], v[18:19], off offset:16
	s_waitcnt vmcnt(1)
	v_fmac_f32_e32 v4, v8, v10
	v_fmac_f32_e32 v5, v9, v10
	;; [unrolled: 1-line block ×4, first 2 shown]
	s_waitcnt vmcnt(0)
	v_fmac_f32_e32 v0, v8, v14
	v_fmac_f32_e32 v1, v9, v14
	;; [unrolled: 1-line block ×4, first 2 shown]
	v_fma_f32 v4, -v9, v11, v4
	v_fmac_f32_e32 v5, v8, v11
	v_fma_f32 v6, -v9, v13, v6
	v_fmac_f32_e32 v7, v8, v13
	;; [unrolled: 2-line block ×4, first 2 shown]
	global_store_dwordx4 v[18:19], v[4:7], off
	global_store_dwordx4 v[18:19], v[0:3], off offset:16
	s_endpgm
	.section	.rodata,"a",@progbits
	.p2align	6, 0x0
	.amdhsa_kernel _ZN9rocsparseL18bsrxmvn_4x4_kernelILj128ELj8E21rocsparse_complex_numIfElifS2_S2_EEvT3_20rocsparse_direction_NS_24const_host_device_scalarIT1_EES3_PKS3_PKT2_SC_S9_PKT4_PKT5_S7_PT6_21rocsparse_index_base_b
		.amdhsa_group_segment_fixed_size 0
		.amdhsa_private_segment_fixed_size 0
		.amdhsa_kernarg_size 96
		.amdhsa_user_sgpr_count 6
		.amdhsa_user_sgpr_private_segment_buffer 1
		.amdhsa_user_sgpr_dispatch_ptr 0
		.amdhsa_user_sgpr_queue_ptr 0
		.amdhsa_user_sgpr_kernarg_segment_ptr 1
		.amdhsa_user_sgpr_dispatch_id 0
		.amdhsa_user_sgpr_flat_scratch_init 0
		.amdhsa_user_sgpr_private_segment_size 0
		.amdhsa_uses_dynamic_stack 0
		.amdhsa_system_sgpr_private_segment_wavefront_offset 0
		.amdhsa_system_sgpr_workgroup_id_x 1
		.amdhsa_system_sgpr_workgroup_id_y 0
		.amdhsa_system_sgpr_workgroup_id_z 0
		.amdhsa_system_sgpr_workgroup_info 0
		.amdhsa_system_vgpr_workitem_id 0
		.amdhsa_next_free_vgpr 59
		.amdhsa_next_free_sgpr 18
		.amdhsa_reserve_vcc 1
		.amdhsa_reserve_flat_scratch 0
		.amdhsa_float_round_mode_32 0
		.amdhsa_float_round_mode_16_64 0
		.amdhsa_float_denorm_mode_32 3
		.amdhsa_float_denorm_mode_16_64 3
		.amdhsa_dx10_clamp 1
		.amdhsa_ieee_mode 1
		.amdhsa_fp16_overflow 0
		.amdhsa_exception_fp_ieee_invalid_op 0
		.amdhsa_exception_fp_denorm_src 0
		.amdhsa_exception_fp_ieee_div_zero 0
		.amdhsa_exception_fp_ieee_overflow 0
		.amdhsa_exception_fp_ieee_underflow 0
		.amdhsa_exception_fp_ieee_inexact 0
		.amdhsa_exception_int_div_zero 0
	.end_amdhsa_kernel
	.section	.text._ZN9rocsparseL18bsrxmvn_4x4_kernelILj128ELj8E21rocsparse_complex_numIfElifS2_S2_EEvT3_20rocsparse_direction_NS_24const_host_device_scalarIT1_EES3_PKS3_PKT2_SC_S9_PKT4_PKT5_S7_PT6_21rocsparse_index_base_b,"axG",@progbits,_ZN9rocsparseL18bsrxmvn_4x4_kernelILj128ELj8E21rocsparse_complex_numIfElifS2_S2_EEvT3_20rocsparse_direction_NS_24const_host_device_scalarIT1_EES3_PKS3_PKT2_SC_S9_PKT4_PKT5_S7_PT6_21rocsparse_index_base_b,comdat
.Lfunc_end126:
	.size	_ZN9rocsparseL18bsrxmvn_4x4_kernelILj128ELj8E21rocsparse_complex_numIfElifS2_S2_EEvT3_20rocsparse_direction_NS_24const_host_device_scalarIT1_EES3_PKS3_PKT2_SC_S9_PKT4_PKT5_S7_PT6_21rocsparse_index_base_b, .Lfunc_end126-_ZN9rocsparseL18bsrxmvn_4x4_kernelILj128ELj8E21rocsparse_complex_numIfElifS2_S2_EEvT3_20rocsparse_direction_NS_24const_host_device_scalarIT1_EES3_PKS3_PKT2_SC_S9_PKT4_PKT5_S7_PT6_21rocsparse_index_base_b
                                        ; -- End function
	.set _ZN9rocsparseL18bsrxmvn_4x4_kernelILj128ELj8E21rocsparse_complex_numIfElifS2_S2_EEvT3_20rocsparse_direction_NS_24const_host_device_scalarIT1_EES3_PKS3_PKT2_SC_S9_PKT4_PKT5_S7_PT6_21rocsparse_index_base_b.num_vgpr, 59
	.set _ZN9rocsparseL18bsrxmvn_4x4_kernelILj128ELj8E21rocsparse_complex_numIfElifS2_S2_EEvT3_20rocsparse_direction_NS_24const_host_device_scalarIT1_EES3_PKS3_PKT2_SC_S9_PKT4_PKT5_S7_PT6_21rocsparse_index_base_b.num_agpr, 0
	.set _ZN9rocsparseL18bsrxmvn_4x4_kernelILj128ELj8E21rocsparse_complex_numIfElifS2_S2_EEvT3_20rocsparse_direction_NS_24const_host_device_scalarIT1_EES3_PKS3_PKT2_SC_S9_PKT4_PKT5_S7_PT6_21rocsparse_index_base_b.numbered_sgpr, 18
	.set _ZN9rocsparseL18bsrxmvn_4x4_kernelILj128ELj8E21rocsparse_complex_numIfElifS2_S2_EEvT3_20rocsparse_direction_NS_24const_host_device_scalarIT1_EES3_PKS3_PKT2_SC_S9_PKT4_PKT5_S7_PT6_21rocsparse_index_base_b.num_named_barrier, 0
	.set _ZN9rocsparseL18bsrxmvn_4x4_kernelILj128ELj8E21rocsparse_complex_numIfElifS2_S2_EEvT3_20rocsparse_direction_NS_24const_host_device_scalarIT1_EES3_PKS3_PKT2_SC_S9_PKT4_PKT5_S7_PT6_21rocsparse_index_base_b.private_seg_size, 0
	.set _ZN9rocsparseL18bsrxmvn_4x4_kernelILj128ELj8E21rocsparse_complex_numIfElifS2_S2_EEvT3_20rocsparse_direction_NS_24const_host_device_scalarIT1_EES3_PKS3_PKT2_SC_S9_PKT4_PKT5_S7_PT6_21rocsparse_index_base_b.uses_vcc, 1
	.set _ZN9rocsparseL18bsrxmvn_4x4_kernelILj128ELj8E21rocsparse_complex_numIfElifS2_S2_EEvT3_20rocsparse_direction_NS_24const_host_device_scalarIT1_EES3_PKS3_PKT2_SC_S9_PKT4_PKT5_S7_PT6_21rocsparse_index_base_b.uses_flat_scratch, 0
	.set _ZN9rocsparseL18bsrxmvn_4x4_kernelILj128ELj8E21rocsparse_complex_numIfElifS2_S2_EEvT3_20rocsparse_direction_NS_24const_host_device_scalarIT1_EES3_PKS3_PKT2_SC_S9_PKT4_PKT5_S7_PT6_21rocsparse_index_base_b.has_dyn_sized_stack, 0
	.set _ZN9rocsparseL18bsrxmvn_4x4_kernelILj128ELj8E21rocsparse_complex_numIfElifS2_S2_EEvT3_20rocsparse_direction_NS_24const_host_device_scalarIT1_EES3_PKS3_PKT2_SC_S9_PKT4_PKT5_S7_PT6_21rocsparse_index_base_b.has_recursion, 0
	.set _ZN9rocsparseL18bsrxmvn_4x4_kernelILj128ELj8E21rocsparse_complex_numIfElifS2_S2_EEvT3_20rocsparse_direction_NS_24const_host_device_scalarIT1_EES3_PKS3_PKT2_SC_S9_PKT4_PKT5_S7_PT6_21rocsparse_index_base_b.has_indirect_call, 0
	.section	.AMDGPU.csdata,"",@progbits
; Kernel info:
; codeLenInByte = 6172
; TotalNumSgprs: 22
; NumVgprs: 59
; ScratchSize: 0
; MemoryBound: 0
; FloatMode: 240
; IeeeMode: 1
; LDSByteSize: 0 bytes/workgroup (compile time only)
; SGPRBlocks: 2
; VGPRBlocks: 14
; NumSGPRsForWavesPerEU: 22
; NumVGPRsForWavesPerEU: 59
; Occupancy: 4
; WaveLimiterHint : 1
; COMPUTE_PGM_RSRC2:SCRATCH_EN: 0
; COMPUTE_PGM_RSRC2:USER_SGPR: 6
; COMPUTE_PGM_RSRC2:TRAP_HANDLER: 0
; COMPUTE_PGM_RSRC2:TGID_X_EN: 1
; COMPUTE_PGM_RSRC2:TGID_Y_EN: 0
; COMPUTE_PGM_RSRC2:TGID_Z_EN: 0
; COMPUTE_PGM_RSRC2:TIDIG_COMP_CNT: 0
	.section	.text._ZN9rocsparseL18bsrxmvn_4x4_kernelILj128ELj16E21rocsparse_complex_numIfElifS2_S2_EEvT3_20rocsparse_direction_NS_24const_host_device_scalarIT1_EES3_PKS3_PKT2_SC_S9_PKT4_PKT5_S7_PT6_21rocsparse_index_base_b,"axG",@progbits,_ZN9rocsparseL18bsrxmvn_4x4_kernelILj128ELj16E21rocsparse_complex_numIfElifS2_S2_EEvT3_20rocsparse_direction_NS_24const_host_device_scalarIT1_EES3_PKS3_PKT2_SC_S9_PKT4_PKT5_S7_PT6_21rocsparse_index_base_b,comdat
	.globl	_ZN9rocsparseL18bsrxmvn_4x4_kernelILj128ELj16E21rocsparse_complex_numIfElifS2_S2_EEvT3_20rocsparse_direction_NS_24const_host_device_scalarIT1_EES3_PKS3_PKT2_SC_S9_PKT4_PKT5_S7_PT6_21rocsparse_index_base_b ; -- Begin function _ZN9rocsparseL18bsrxmvn_4x4_kernelILj128ELj16E21rocsparse_complex_numIfElifS2_S2_EEvT3_20rocsparse_direction_NS_24const_host_device_scalarIT1_EES3_PKS3_PKT2_SC_S9_PKT4_PKT5_S7_PT6_21rocsparse_index_base_b
	.p2align	8
	.type	_ZN9rocsparseL18bsrxmvn_4x4_kernelILj128ELj16E21rocsparse_complex_numIfElifS2_S2_EEvT3_20rocsparse_direction_NS_24const_host_device_scalarIT1_EES3_PKS3_PKT2_SC_S9_PKT4_PKT5_S7_PT6_21rocsparse_index_base_b,@function
_ZN9rocsparseL18bsrxmvn_4x4_kernelILj128ELj16E21rocsparse_complex_numIfElifS2_S2_EEvT3_20rocsparse_direction_NS_24const_host_device_scalarIT1_EES3_PKS3_PKT2_SC_S9_PKT4_PKT5_S7_PT6_21rocsparse_index_base_b: ; @_ZN9rocsparseL18bsrxmvn_4x4_kernelILj128ELj16E21rocsparse_complex_numIfElifS2_S2_EEvT3_20rocsparse_direction_NS_24const_host_device_scalarIT1_EES3_PKS3_PKT2_SC_S9_PKT4_PKT5_S7_PT6_21rocsparse_index_base_b
; %bb.0:
	s_load_dwordx2 s[0:1], s[4:5], 0x8
	s_load_dwordx2 s[16:17], s[4:5], 0x58
	s_add_u32 s7, s4, 8
	s_addc_u32 s8, s5, 0
	s_add_u32 s9, s4, 0x48
	s_load_dwordx2 s[2:3], s[4:5], 0x48
	s_addc_u32 s10, s5, 0
	s_waitcnt lgkmcnt(0)
	s_bitcmp1_b32 s17, 0
	s_cselect_b32 s1, s8, s1
	s_cselect_b32 s0, s7, s0
	v_mov_b32_e32 v1, s0
	v_mov_b32_e32 v2, s1
	flat_load_dwordx2 v[10:11], v[1:2]
	s_cselect_b32 s0, s10, s3
	s_cselect_b32 s1, s9, s2
	v_mov_b32_e32 v1, s1
	v_mov_b32_e32 v2, s0
	flat_load_dwordx2 v[8:9], v[1:2]
	s_waitcnt vmcnt(0) lgkmcnt(0)
	v_cmp_eq_f32_e32 vcc, 0, v10
	v_cmp_eq_f32_e64 s[0:1], 0, v11
	s_and_b64 s[8:9], vcc, s[0:1]
	s_mov_b64 s[0:1], -1
	s_and_saveexec_b64 s[2:3], s[8:9]
; %bb.1:
	v_cmp_neq_f32_e32 vcc, 1.0, v8
	v_cmp_neq_f32_e64 s[0:1], 0, v9
	s_or_b64 s[0:1], vcc, s[0:1]
	s_orn2_b64 s[0:1], s[0:1], exec
; %bb.2:
	s_or_b64 exec, exec, s[2:3]
	s_and_saveexec_b64 s[2:3], s[0:1]
	s_cbranch_execz .LBB127_8
; %bb.3:
	s_load_dwordx2 s[8:9], s[4:5], 0x18
	s_load_dwordx2 s[0:1], s[4:5], 0x0
	v_lshrrev_b32_e32 v1, 4, v0
	v_lshl_or_b32 v12, s6, 3, v1
	s_mov_b64 s[2:3], 0
	s_waitcnt lgkmcnt(0)
	s_cmp_lg_u64 s[8:9], 0
	s_cbranch_scc0 .LBB127_9
; %bb.4:
	s_load_dword s6, s[4:5], 0x10
                                        ; implicit-def: $vgpr1
	s_waitcnt lgkmcnt(0)
	v_cmp_gt_i32_e32 vcc, s6, v12
	s_and_saveexec_b64 s[6:7], vcc
	s_xor_b64 s[6:7], exec, s[6:7]
	s_cbranch_execz .LBB127_6
; %bb.5:
	v_ashrrev_i32_e32 v13, 31, v12
	v_lshlrev_b64 v[1:2], 2, v[12:13]
	v_mov_b32_e32 v3, s9
	v_add_co_u32_e32 v1, vcc, s8, v1
	v_addc_co_u32_e32 v2, vcc, v3, v2, vcc
	global_load_dword v1, v[1:2], off
	s_mov_b64 s[2:3], exec
	s_waitcnt vmcnt(0)
	v_subrev_u32_e32 v1, s16, v1
.LBB127_6:
	s_or_b64 exec, exec, s[6:7]
	s_branch .LBB127_10
.LBB127_7:
	v_cmp_gt_i32_e32 vcc, s0, v12
	s_andn2_b64 s[2:3], s[2:3], exec
	s_and_b64 s[6:7], vcc, exec
	s_or_b64 s[2:3], s[2:3], s[6:7]
	s_and_b64 exec, exec, s[2:3]
	s_cbranch_execnz .LBB127_11
.LBB127_8:
	s_endpgm
.LBB127_9:
                                        ; implicit-def: $vgpr1
	s_cbranch_execnz .LBB127_7
.LBB127_10:
	v_mov_b32_e32 v12, v1
	s_and_b64 exec, exec, s[2:3]
	s_cbranch_execz .LBB127_8
.LBB127_11:
	s_load_dwordx8 s[8:15], s[4:5], 0x20
	v_ashrrev_i32_e32 v13, 31, v12
	v_lshlrev_b64 v[1:2], 3, v[12:13]
	v_and_b32_e32 v25, 15, v0
	s_load_dwordx2 s[6:7], s[4:5], 0x40
	s_waitcnt lgkmcnt(0)
	v_mov_b32_e32 v4, s9
	v_add_co_u32_e32 v3, vcc, s8, v1
	v_addc_co_u32_e32 v4, vcc, v4, v2, vcc
	global_load_dwordx2 v[13:14], v[3:4], off
	v_add_co_u32_e32 v3, vcc, 8, v3
	v_addc_co_u32_e32 v4, vcc, 0, v4, vcc
	v_mov_b32_e32 v5, s11
	v_add_co_u32_e32 v1, vcc, s10, v1
	s_cmp_eq_u64 s[10:11], 0
	v_addc_co_u32_e32 v2, vcc, v5, v2, vcc
	s_cselect_b64 vcc, -1, 0
	v_cndmask_b32_e32 v2, v2, v4, vcc
	v_cndmask_b32_e32 v1, v1, v3, vcc
	global_load_dwordx2 v[2:3], v[1:2], off
	v_mov_b32_e32 v7, s15
	s_cmp_eq_u32 s1, 1
	v_mov_b32_e32 v6, 0
	s_waitcnt vmcnt(1)
	v_subrev_co_u32_e32 v0, vcc, s16, v13
	v_subbrev_co_u32_e32 v1, vcc, 0, v14, vcc
	v_add_co_u32_e32 v0, vcc, v0, v25
	v_addc_co_u32_e32 v1, vcc, 0, v1, vcc
	v_lshlrev_b64 v[4:5], 6, v[0:1]
	s_waitcnt vmcnt(0)
	v_subrev_co_u32_e32 v2, vcc, s16, v2
	v_subbrev_co_u32_e32 v3, vcc, 0, v3, vcc
	v_cmp_lt_i64_e64 s[0:1], v[0:1], v[2:3]
	v_add_co_u32_e32 v4, vcc, s14, v4
	v_addc_co_u32_e32 v5, vcc, v7, v5, vcc
	s_cbranch_scc1 .LBB127_23
; %bb.12:
	v_mov_b32_e32 v31, 0
	v_mov_b32_e32 v28, 0
	;; [unrolled: 1-line block ×7, first 2 shown]
	s_and_saveexec_b64 s[8:9], s[0:1]
	s_cbranch_execz .LBB127_22
; %bb.13:
	v_or_b32_e32 v6, 16, v25
	v_subrev_co_u32_e32 v6, vcc, s16, v6
	v_subb_co_u32_e64 v7, s[2:3], 0, 0, vcc
	v_add_co_u32_e32 v6, vcc, v6, v13
	v_addc_co_u32_e32 v7, vcc, v7, v14, vcc
	v_cmp_gt_i64_e32 vcc, v[6:7], v[2:3]
	v_not_b32_e32 v16, v13
	v_cndmask_b32_e32 v7, v3, v7, vcc
	v_cndmask_b32_e32 v6, v2, v6, vcc
	v_sub_co_u32_e32 v17, vcc, s16, v25
	v_not_b32_e32 v15, v14
	v_subb_co_u32_e64 v18, s[2:3], 0, 0, vcc
	v_add_co_u32_e32 v16, vcc, v17, v16
	v_addc_co_u32_e32 v15, vcc, v18, v15, vcc
	v_add_co_u32_e32 v19, vcc, v16, v6
	v_addc_co_u32_e32 v20, vcc, v15, v7, vcc
	v_and_b32_e32 v6, 48, v19
	v_mov_b32_e32 v7, 0
	v_cmp_ne_u64_e32 vcc, 48, v[6:7]
	v_mov_b32_e32 v16, v5
	v_mov_b32_e32 v18, v1
	;; [unrolled: 1-line block ×11, first 2 shown]
	s_and_saveexec_b64 s[10:11], vcc
	s_cbranch_execz .LBB127_17
; %bb.14:
	v_lshlrev_b64 v[15:16], 2, v[0:1]
	v_lshrrev_b32_e32 v6, 4, v19
	v_add_u32_e32 v6, 1, v6
	v_mov_b32_e32 v17, s13
	v_add_co_u32_e32 v21, vcc, s12, v15
	v_and_b32_e32 v7, 3, v6
	v_addc_co_u32_e32 v22, vcc, v17, v16, vcc
	v_sub_co_u32_e32 v23, vcc, 0, v7
	v_mov_b32_e32 v18, v1
	v_mov_b32_e32 v16, v5
	;; [unrolled: 1-line block ×3, first 2 shown]
	s_mov_b64 s[14:15], 0
	v_subb_co_u32_e64 v24, s[2:3], 0, 0, vcc
	s_movk_i32 s17, 0x400
	v_mov_b32_e32 v32, s7
	v_mov_b32_e32 v17, v0
	;; [unrolled: 1-line block ×10, first 2 shown]
.LBB127_15:                             ; =>This Inner Loop Header: Depth=1
	global_load_dword v49, v[21:22], off
	global_load_dwordx4 v[33:36], v[15:16], off offset:16
	global_load_dwordx4 v[37:40], v[15:16], off
	global_load_dwordx4 v[41:44], v[15:16], off offset:32
	global_load_dwordx4 v[45:48], v[15:16], off offset:48
	v_add_co_u32_e64 v17, s[2:3], 16, v17
	v_addc_co_u32_e64 v18, s[2:3], 0, v18, s[2:3]
	v_add_co_u32_e64 v21, s[2:3], 64, v21
	v_addc_co_u32_e64 v22, s[2:3], 0, v22, s[2:3]
	;; [unrolled: 2-line block ×3, first 2 shown]
	v_cmp_eq_u64_e64 s[2:3], 0, v[23:24]
	s_or_b64 s[14:15], s[2:3], s[14:15]
	s_waitcnt vmcnt(4)
	v_subrev_u32_e32 v49, s16, v49
	v_lshlrev_b32_e32 v49, 2, v49
	v_ashrrev_i32_e32 v50, 31, v49
	v_lshlrev_b64 v[49:50], 3, v[49:50]
	v_add_co_u32_e32 v57, vcc, s6, v49
	v_addc_co_u32_e32 v58, vcc, v32, v50, vcc
	global_load_dwordx4 v[49:52], v[57:58], off
	global_load_dwordx4 v[53:56], v[57:58], off offset:16
	v_add_co_u32_e32 v15, vcc, s17, v15
	v_addc_co_u32_e32 v16, vcc, 0, v16, vcc
	s_waitcnt vmcnt(1)
	v_fmac_f32_e32 v31, v37, v49
	v_fmac_f32_e32 v6, 0, v49
	;; [unrolled: 1-line block ×32, first 2 shown]
	s_waitcnt vmcnt(0)
	v_fmac_f32_e32 v31, v39, v53
	v_fmac_f32_e32 v6, 0, v53
	;; [unrolled: 1-line block ×32, first 2 shown]
	s_andn2_b64 exec, exec, s[14:15]
	s_cbranch_execnz .LBB127_15
; %bb.16:
	s_or_b64 exec, exec, s[14:15]
.LBB127_17:
	s_or_b64 exec, exec, s[10:11]
	v_cmp_lt_u64_e32 vcc, 47, v[19:20]
	s_and_saveexec_b64 s[2:3], vcc
	s_cbranch_execz .LBB127_21
; %bb.18:
	v_lshlrev_b64 v[19:20], 2, v[17:18]
	v_mov_b32_e32 v21, s13
	v_add_co_u32_e32 v19, vcc, s12, v19
	v_addc_co_u32_e32 v20, vcc, v21, v20, vcc
	v_add_co_u32_e32 v19, vcc, 0x80, v19
	v_addc_co_u32_e32 v20, vcc, 0, v20, vcc
	s_mov_b64 s[10:11], 0
	v_mov_b32_e32 v21, s7
	s_movk_i32 s14, 0x1000
.LBB127_19:                             ; =>This Inner Loop Header: Depth=1
	global_load_dword v22, v[19:20], off offset:-128
	global_load_dwordx4 v[32:35], v[15:16], off offset:48
	global_load_dwordx4 v[36:39], v[15:16], off offset:32
	;; [unrolled: 1-line block ×3, first 2 shown]
	global_load_dwordx4 v[44:47], v[15:16], off
	s_waitcnt vmcnt(4)
	v_subrev_u32_e32 v22, s16, v22
	v_lshlrev_b32_e32 v22, 2, v22
	v_ashrrev_i32_e32 v23, 31, v22
	v_lshlrev_b64 v[22:23], 3, v[22:23]
	v_add_co_u32_e32 v22, vcc, s6, v22
	v_addc_co_u32_e32 v23, vcc, v21, v23, vcc
	global_load_dwordx4 v[48:51], v[22:23], off offset:16
	global_load_dwordx4 v[52:55], v[22:23], off
	s_waitcnt vmcnt(0)
	v_fmac_f32_e32 v31, v44, v52
	global_load_dword v22, v[19:20], off offset:-64
	v_fmac_f32_e32 v6, 0, v52
	v_fmac_f32_e32 v30, v40, v52
	;; [unrolled: 1-line block ×63, first 2 shown]
	global_load_dwordx4 v[32:35], v[15:16], off offset:1072
	global_load_dwordx4 v[36:39], v[15:16], off offset:1056
	;; [unrolled: 1-line block ×4, first 2 shown]
	s_waitcnt vmcnt(4)
	v_subrev_u32_e32 v22, s16, v22
	v_lshlrev_b32_e32 v22, 2, v22
	v_ashrrev_i32_e32 v23, 31, v22
	v_lshlrev_b64 v[22:23], 3, v[22:23]
	v_add_co_u32_e32 v22, vcc, s6, v22
	v_addc_co_u32_e32 v23, vcc, v21, v23, vcc
	global_load_dwordx4 v[48:51], v[22:23], off offset:16
	global_load_dwordx4 v[52:55], v[22:23], off
	s_waitcnt vmcnt(0)
	v_fmac_f32_e32 v31, v44, v52
	global_load_dword v22, v[19:20], off
	v_fmac_f32_e32 v6, 0, v52
	v_fmac_f32_e32 v30, v40, v52
	;; [unrolled: 1-line block ×63, first 2 shown]
	global_load_dwordx4 v[32:35], v[15:16], off offset:2096
	global_load_dwordx4 v[36:39], v[15:16], off offset:2080
	;; [unrolled: 1-line block ×4, first 2 shown]
	s_waitcnt vmcnt(4)
	v_subrev_u32_e32 v22, s16, v22
	v_lshlrev_b32_e32 v22, 2, v22
	v_ashrrev_i32_e32 v23, 31, v22
	v_lshlrev_b64 v[22:23], 3, v[22:23]
	v_add_co_u32_e32 v22, vcc, s6, v22
	v_addc_co_u32_e32 v23, vcc, v21, v23, vcc
	global_load_dwordx4 v[48:51], v[22:23], off offset:16
	global_load_dwordx4 v[52:55], v[22:23], off
	s_waitcnt vmcnt(0)
	v_fmac_f32_e32 v31, v44, v52
	global_load_dword v22, v[19:20], off offset:64
	v_fmac_f32_e32 v6, 0, v52
	v_fmac_f32_e32 v30, v40, v52
	;; [unrolled: 1-line block ×63, first 2 shown]
	global_load_dwordx4 v[32:35], v[15:16], off offset:3120
	global_load_dwordx4 v[36:39], v[15:16], off offset:3104
	;; [unrolled: 1-line block ×4, first 2 shown]
	s_waitcnt vmcnt(4)
	v_subrev_u32_e32 v22, s16, v22
	v_lshlrev_b32_e32 v22, 2, v22
	v_ashrrev_i32_e32 v23, 31, v22
	v_lshlrev_b64 v[22:23], 3, v[22:23]
	v_add_co_u32_e32 v22, vcc, s6, v22
	v_addc_co_u32_e32 v23, vcc, v21, v23, vcc
	global_load_dwordx4 v[48:51], v[22:23], off offset:16
	global_load_dwordx4 v[52:55], v[22:23], off
	v_add_co_u32_e32 v15, vcc, s14, v15
	v_addc_co_u32_e32 v16, vcc, 0, v16, vcc
	v_add_co_u32_e32 v17, vcc, 64, v17
	v_addc_co_u32_e32 v18, vcc, 0, v18, vcc
	;; [unrolled: 2-line block ×3, first 2 shown]
	v_cmp_ge_i64_e32 vcc, v[17:18], v[2:3]
	s_or_b64 s[10:11], vcc, s[10:11]
	s_waitcnt vmcnt(0)
	v_fmac_f32_e32 v31, v44, v52
	v_fmac_f32_e32 v6, 0, v52
	;; [unrolled: 1-line block ×64, first 2 shown]
	s_andn2_b64 exec, exec, s[10:11]
	s_cbranch_execnz .LBB127_19
; %bb.20:
	s_or_b64 exec, exec, s[10:11]
.LBB127_21:
	s_or_b64 exec, exec, s[2:3]
.LBB127_22:
	s_or_b64 exec, exec, s[8:9]
	s_cbranch_execz .LBB127_24
	s_branch .LBB127_35
.LBB127_23:
                                        ; implicit-def: $vgpr6
                                        ; implicit-def: $vgpr31
                                        ; implicit-def: $vgpr28
                                        ; implicit-def: $vgpr30
                                        ; implicit-def: $vgpr27
                                        ; implicit-def: $vgpr29
                                        ; implicit-def: $vgpr26
                                        ; implicit-def: $vgpr7
.LBB127_24:
	v_mov_b32_e32 v6, 0
	v_mov_b32_e32 v31, 0
	;; [unrolled: 1-line block ×8, first 2 shown]
	s_and_saveexec_b64 s[2:3], s[0:1]
	s_cbranch_execz .LBB127_34
; %bb.25:
	v_or_b32_e32 v6, 16, v25
	v_subrev_co_u32_e32 v6, vcc, s16, v6
	v_subb_co_u32_e64 v7, s[0:1], 0, 0, vcc
	v_add_co_u32_e32 v6, vcc, v6, v13
	v_addc_co_u32_e32 v7, vcc, v7, v14, vcc
	v_cmp_gt_i64_e32 vcc, v[6:7], v[2:3]
	v_not_b32_e32 v13, v13
	v_cndmask_b32_e32 v7, v3, v7, vcc
	v_cndmask_b32_e32 v6, v2, v6, vcc
	v_sub_co_u32_e32 v15, vcc, s16, v25
	v_not_b32_e32 v14, v14
	v_subb_co_u32_e64 v16, s[0:1], 0, 0, vcc
	v_add_co_u32_e32 v13, vcc, v15, v13
	v_addc_co_u32_e32 v14, vcc, v16, v14, vcc
	v_add_co_u32_e32 v13, vcc, v13, v6
	v_addc_co_u32_e32 v14, vcc, v14, v7, vcc
	v_and_b32_e32 v6, 48, v13
	v_mov_b32_e32 v7, 0
	v_cmp_ne_u64_e32 vcc, 48, v[6:7]
	v_mov_b32_e32 v26, v7
	v_mov_b32_e32 v29, v7
	;; [unrolled: 1-line block ×7, first 2 shown]
	s_and_saveexec_b64 s[8:9], vcc
	s_cbranch_execz .LBB127_29
; %bb.26:
	v_lshlrev_b64 v[15:16], 2, v[0:1]
	v_lshrrev_b32_e32 v6, 4, v13
	v_add_u32_e32 v6, 1, v6
	v_mov_b32_e32 v17, s13
	v_add_co_u32_e32 v15, vcc, s12, v15
	v_and_b32_e32 v7, 3, v6
	v_addc_co_u32_e32 v16, vcc, v17, v16, vcc
	v_sub_co_u32_e32 v17, vcc, 0, v7
	v_mov_b32_e32 v6, 0
	s_mov_b64 s[10:11], 0
	v_subb_co_u32_e64 v18, s[0:1], 0, 0, vcc
	s_movk_i32 s14, 0x400
	v_mov_b32_e32 v19, s7
	v_mov_b32_e32 v31, 0
	;; [unrolled: 1-line block ×8, first 2 shown]
.LBB127_27:                             ; =>This Inner Loop Header: Depth=1
	global_load_dword v24, v[15:16], off
	global_load_dwordx4 v[20:23], v[4:5], off offset:32
	global_load_dwordx4 v[32:35], v[4:5], off offset:16
	global_load_dwordx4 v[36:39], v[4:5], off
	v_add_co_u32_e64 v0, s[0:1], 16, v0
	v_addc_co_u32_e64 v1, s[0:1], 0, v1, s[0:1]
	v_add_co_u32_e64 v15, s[0:1], 64, v15
	v_addc_co_u32_e64 v16, s[0:1], 0, v16, s[0:1]
	;; [unrolled: 2-line block ×3, first 2 shown]
	v_cmp_eq_u64_e64 s[0:1], 0, v[17:18]
	s_or_b64 s[10:11], s[0:1], s[10:11]
	s_waitcnt vmcnt(3)
	v_subrev_u32_e32 v24, s16, v24
	v_lshlrev_b32_e32 v40, 2, v24
	v_ashrrev_i32_e32 v41, 31, v40
	v_lshlrev_b64 v[40:41], 3, v[40:41]
	v_add_co_u32_e32 v52, vcc, s6, v40
	v_addc_co_u32_e32 v53, vcc, v19, v41, vcc
	global_load_dwordx4 v[40:43], v[52:53], off
	global_load_dwordx4 v[44:47], v[52:53], off offset:16
	global_load_dwordx4 v[48:51], v[4:5], off offset:48
	v_add_co_u32_e32 v4, vcc, s14, v4
	v_addc_co_u32_e32 v5, vcc, 0, v5, vcc
	s_waitcnt vmcnt(2)
	v_fmac_f32_e32 v31, v36, v40
	v_fmac_f32_e32 v6, 0, v40
	;; [unrolled: 1-line block ×32, first 2 shown]
	s_waitcnt vmcnt(1)
	v_fmac_f32_e32 v31, v20, v44
	v_fmac_f32_e32 v6, 0, v44
	;; [unrolled: 1-line block ×16, first 2 shown]
	s_waitcnt vmcnt(0)
	v_fmac_f32_e32 v31, v48, v46
	v_fmac_f32_e32 v6, 0, v46
	;; [unrolled: 1-line block ×16, first 2 shown]
	s_andn2_b64 exec, exec, s[10:11]
	s_cbranch_execnz .LBB127_27
; %bb.28:
	s_or_b64 exec, exec, s[10:11]
.LBB127_29:
	s_or_b64 exec, exec, s[8:9]
	v_cmp_lt_u64_e32 vcc, 47, v[13:14]
	s_and_saveexec_b64 s[0:1], vcc
	s_cbranch_execz .LBB127_33
; %bb.30:
	v_lshlrev_b64 v[13:14], 2, v[0:1]
	v_mov_b32_e32 v15, s13
	v_add_co_u32_e32 v13, vcc, s12, v13
	v_addc_co_u32_e32 v14, vcc, v15, v14, vcc
	v_add_co_u32_e32 v13, vcc, 0x80, v13
	v_addc_co_u32_e32 v14, vcc, 0, v14, vcc
	s_mov_b64 s[8:9], 0
	v_mov_b32_e32 v15, s7
	s_movk_i32 s7, 0x1000
.LBB127_31:                             ; =>This Inner Loop Header: Depth=1
	global_load_dword v16, v[13:14], off offset:-128
	s_waitcnt vmcnt(0)
	v_subrev_u32_e32 v16, s16, v16
	v_lshlrev_b32_e32 v40, 2, v16
	v_ashrrev_i32_e32 v41, 31, v40
	v_lshlrev_b64 v[40:41], 3, v[40:41]
	global_load_dwordx4 v[16:19], v[4:5], off offset:48
	global_load_dwordx4 v[20:23], v[4:5], off offset:32
	;; [unrolled: 1-line block ×3, first 2 shown]
	global_load_dwordx4 v[36:39], v[4:5], off
	v_add_co_u32_e32 v48, vcc, s6, v40
	v_addc_co_u32_e32 v49, vcc, v15, v41, vcc
	global_load_dwordx4 v[40:43], v[48:49], off offset:16
	global_load_dwordx4 v[44:47], v[48:49], off
	s_waitcnt vmcnt(0)
	v_fmac_f32_e32 v6, 0, v44
	v_fmac_f32_e32 v31, v36, v44
	;; [unrolled: 1-line block ×15, first 2 shown]
	global_load_dword v16, v[13:14], off offset:-64
	v_fmac_f32_e32 v30, v37, v44
	v_fmac_f32_e32 v28, 0, v44
	;; [unrolled: 1-line block ×49, first 2 shown]
	s_waitcnt vmcnt(0)
	v_subrev_u32_e32 v16, s16, v16
	v_lshlrev_b32_e32 v40, 2, v16
	v_ashrrev_i32_e32 v41, 31, v40
	v_lshlrev_b64 v[40:41], 3, v[40:41]
	global_load_dwordx4 v[16:19], v[4:5], off offset:1072
	global_load_dwordx4 v[20:23], v[4:5], off offset:1056
	;; [unrolled: 1-line block ×4, first 2 shown]
	v_add_co_u32_e32 v48, vcc, s6, v40
	v_addc_co_u32_e32 v49, vcc, v15, v41, vcc
	global_load_dwordx4 v[40:43], v[48:49], off offset:16
	global_load_dwordx4 v[44:47], v[48:49], off
	s_waitcnt vmcnt(0)
	v_fmac_f32_e32 v6, 0, v44
	v_fmac_f32_e32 v31, v36, v44
	;; [unrolled: 1-line block ×15, first 2 shown]
	global_load_dword v16, v[13:14], off
	v_fmac_f32_e32 v30, v37, v44
	v_fmac_f32_e32 v28, 0, v44
	;; [unrolled: 1-line block ×49, first 2 shown]
	s_waitcnt vmcnt(0)
	v_subrev_u32_e32 v16, s16, v16
	v_lshlrev_b32_e32 v40, 2, v16
	v_ashrrev_i32_e32 v41, 31, v40
	v_lshlrev_b64 v[40:41], 3, v[40:41]
	global_load_dwordx4 v[16:19], v[4:5], off offset:2096
	global_load_dwordx4 v[20:23], v[4:5], off offset:2080
	;; [unrolled: 1-line block ×4, first 2 shown]
	v_add_co_u32_e32 v48, vcc, s6, v40
	v_addc_co_u32_e32 v49, vcc, v15, v41, vcc
	global_load_dwordx4 v[40:43], v[48:49], off offset:16
	global_load_dwordx4 v[44:47], v[48:49], off
	s_waitcnt vmcnt(0)
	v_fmac_f32_e32 v6, 0, v44
	v_fmac_f32_e32 v31, v36, v44
	;; [unrolled: 1-line block ×15, first 2 shown]
	global_load_dword v16, v[13:14], off offset:64
	v_fmac_f32_e32 v30, v37, v44
	v_fmac_f32_e32 v28, 0, v44
	;; [unrolled: 1-line block ×49, first 2 shown]
	s_waitcnt vmcnt(0)
	v_subrev_u32_e32 v16, s16, v16
	v_lshlrev_b32_e32 v40, 2, v16
	v_ashrrev_i32_e32 v41, 31, v40
	v_lshlrev_b64 v[40:41], 3, v[40:41]
	global_load_dwordx4 v[16:19], v[4:5], off offset:3120
	global_load_dwordx4 v[20:23], v[4:5], off offset:3104
	;; [unrolled: 1-line block ×4, first 2 shown]
	v_add_co_u32_e32 v48, vcc, s6, v40
	v_addc_co_u32_e32 v49, vcc, v15, v41, vcc
	global_load_dwordx4 v[40:43], v[48:49], off offset:16
	global_load_dwordx4 v[44:47], v[48:49], off
	v_add_co_u32_e32 v4, vcc, s7, v4
	v_addc_co_u32_e32 v5, vcc, 0, v5, vcc
	v_add_co_u32_e32 v0, vcc, 64, v0
	v_addc_co_u32_e32 v1, vcc, 0, v1, vcc
	v_add_co_u32_e32 v13, vcc, 0x100, v13
	v_addc_co_u32_e32 v14, vcc, 0, v14, vcc
	v_cmp_ge_i64_e32 vcc, v[0:1], v[2:3]
	s_or_b64 s[8:9], vcc, s[8:9]
	s_waitcnt vmcnt(0)
	v_fmac_f32_e32 v31, v36, v44
	v_fmac_f32_e32 v6, 0, v44
	v_fmac_f32_e32 v30, v37, v44
	v_fmac_f32_e32 v28, 0, v44
	v_fmac_f32_e32 v29, v38, v44
	v_fmac_f32_e32 v27, 0, v44
	v_fmac_f32_e32 v7, v39, v44
	v_fmac_f32_e32 v26, 0, v44
	v_fmac_f32_e32 v31, 0x80000000, v45
	v_fmac_f32_e32 v6, v36, v45
	v_fmac_f32_e32 v30, 0x80000000, v45
	v_fmac_f32_e32 v28, v37, v45
	v_fmac_f32_e32 v29, 0x80000000, v45
	v_fmac_f32_e32 v27, v38, v45
	v_fmac_f32_e32 v7, 0x80000000, v45
	v_fmac_f32_e32 v26, v39, v45
	v_fmac_f32_e32 v31, v32, v46
	v_fmac_f32_e32 v6, 0, v46
	v_fmac_f32_e32 v30, v33, v46
	v_fmac_f32_e32 v28, 0, v46
	v_fmac_f32_e32 v29, v34, v46
	v_fmac_f32_e32 v27, 0, v46
	v_fmac_f32_e32 v7, v35, v46
	v_fmac_f32_e32 v26, 0, v46
	v_fmac_f32_e32 v31, 0x80000000, v47
	v_fmac_f32_e32 v6, v32, v47
	v_fmac_f32_e32 v30, 0x80000000, v47
	v_fmac_f32_e32 v28, v33, v47
	v_fmac_f32_e32 v29, 0x80000000, v47
	v_fmac_f32_e32 v27, v34, v47
	v_fmac_f32_e32 v7, 0x80000000, v47
	v_fmac_f32_e32 v26, v35, v47
	v_fmac_f32_e32 v31, v20, v40
	v_fmac_f32_e32 v6, 0, v40
	v_fmac_f32_e32 v30, v21, v40
	v_fmac_f32_e32 v28, 0, v40
	v_fmac_f32_e32 v29, v22, v40
	v_fmac_f32_e32 v27, 0, v40
	v_fmac_f32_e32 v7, v23, v40
	v_fmac_f32_e32 v26, 0, v40
	v_fmac_f32_e32 v31, 0x80000000, v41
	v_fmac_f32_e32 v6, v20, v41
	v_fmac_f32_e32 v30, 0x80000000, v41
	v_fmac_f32_e32 v28, v21, v41
	v_fmac_f32_e32 v29, 0x80000000, v41
	v_fmac_f32_e32 v27, v22, v41
	v_fmac_f32_e32 v7, 0x80000000, v41
	v_fmac_f32_e32 v26, v23, v41
	v_fmac_f32_e32 v31, v16, v42
	v_fmac_f32_e32 v6, 0, v42
	v_fmac_f32_e32 v30, v17, v42
	v_fmac_f32_e32 v28, 0, v42
	v_fmac_f32_e32 v29, v18, v42
	v_fmac_f32_e32 v27, 0, v42
	v_fmac_f32_e32 v7, v19, v42
	v_fmac_f32_e32 v26, 0, v42
	v_fmac_f32_e32 v31, 0x80000000, v43
	v_fmac_f32_e32 v6, v16, v43
	v_fmac_f32_e32 v30, 0x80000000, v43
	v_fmac_f32_e32 v28, v17, v43
	v_fmac_f32_e32 v29, 0x80000000, v43
	v_fmac_f32_e32 v27, v18, v43
	v_fmac_f32_e32 v7, 0x80000000, v43
	v_fmac_f32_e32 v26, v19, v43
	s_andn2_b64 exec, exec, s[8:9]
	s_cbranch_execnz .LBB127_31
; %bb.32:
	s_or_b64 exec, exec, s[8:9]
.LBB127_33:
	s_or_b64 exec, exec, s[0:1]
.LBB127_34:
	s_or_b64 exec, exec, s[2:3]
.LBB127_35:
	v_mov_b32_dpp v2, v6 row_shr:1 row_mask:0xf bank_mask:0xf
	v_mov_b32_dpp v0, v31 row_shr:1 row_mask:0xf bank_mask:0xf
	v_add_f32_e32 v2, v6, v2
	v_mov_b32_dpp v4, v30 row_shr:1 row_mask:0xf bank_mask:0xf
	v_mov_b32_dpp v6, v28 row_shr:1 row_mask:0xf bank_mask:0xf
	;; [unrolled: 1-line block ×6, first 2 shown]
	v_add_f32_e32 v0, v31, v0
	v_add_f32_e32 v4, v30, v4
	;; [unrolled: 1-line block ×7, first 2 shown]
	v_mov_b32_dpp v1, v0 row_shr:2 row_mask:0xf bank_mask:0xf
	v_mov_b32_dpp v3, v2 row_shr:2 row_mask:0xf bank_mask:0xf
	;; [unrolled: 1-line block ×8, first 2 shown]
	v_add_f32_e32 v0, v0, v1
	v_add_f32_e32 v2, v2, v3
	;; [unrolled: 1-line block ×8, first 2 shown]
	v_mov_b32_dpp v1, v0 row_shr:4 row_mask:0xf bank_mask:0xe
	v_mov_b32_dpp v3, v2 row_shr:4 row_mask:0xf bank_mask:0xe
	;; [unrolled: 1-line block ×8, first 2 shown]
	v_add_f32_e32 v0, v0, v1
	v_add_f32_e32 v2, v2, v3
	;; [unrolled: 1-line block ×8, first 2 shown]
	v_mov_b32_dpp v1, v0 row_shr:8 row_mask:0xf bank_mask:0xc
	v_mov_b32_dpp v3, v2 row_shr:8 row_mask:0xf bank_mask:0xc
	v_mov_b32_dpp v5, v4 row_shr:8 row_mask:0xf bank_mask:0xc
	v_mov_b32_dpp v13, v6 row_shr:8 row_mask:0xf bank_mask:0xc
	v_mov_b32_dpp v15, v14 row_shr:8 row_mask:0xf bank_mask:0xc
	v_mov_b32_dpp v17, v16 row_shr:8 row_mask:0xf bank_mask:0xc
	v_mov_b32_dpp v18, v7 row_shr:8 row_mask:0xf bank_mask:0xc
	v_mov_b32_dpp v20, v19 row_shr:8 row_mask:0xf bank_mask:0xc
	v_cmp_eq_u32_e32 vcc, 15, v25
	s_and_b64 exec, exec, vcc
	s_cbranch_execz .LBB127_8
; %bb.36:
	s_load_dwordx2 s[2:3], s[4:5], 0x50
	v_add_f32_e32 v21, v0, v1
	v_add_f32_e32 v0, v2, v3
	;; [unrolled: 1-line block ×8, first 2 shown]
	v_cmp_eq_f32_e32 vcc, 0, v8
	v_cmp_eq_f32_e64 s[0:1], 0, v9
	v_mul_f32_e64 v4, v0, -v11
	v_mul_f32_e32 v5, v10, v0
	v_mul_f32_e64 v6, v1, -v11
	v_mul_f32_e32 v7, v10, v1
	v_mul_f32_e64 v0, v2, -v11
	v_mul_f32_e32 v1, v10, v2
	v_mul_f32_e64 v2, v3, -v11
	v_mul_f32_e32 v3, v10, v3
	s_and_b64 s[0:1], vcc, s[0:1]
	v_fmac_f32_e32 v4, v10, v21
	v_fmac_f32_e32 v5, v11, v21
	v_lshlrev_b32_e32 v12, 2, v12
	v_fmac_f32_e32 v6, v10, v22
	v_fmac_f32_e32 v7, v11, v22
	;; [unrolled: 1-line block ×6, first 2 shown]
	s_and_saveexec_b64 s[4:5], s[0:1]
	s_xor_b64 s[0:1], exec, s[4:5]
	s_cbranch_execz .LBB127_38
; %bb.37:
	v_ashrrev_i32_e32 v13, 31, v12
	v_lshlrev_b64 v[8:9], 3, v[12:13]
	s_waitcnt lgkmcnt(0)
	v_mov_b32_e32 v10, s3
	v_add_co_u32_e32 v8, vcc, s2, v8
	v_addc_co_u32_e32 v9, vcc, v10, v9, vcc
	global_store_dwordx4 v[8:9], v[4:7], off
	global_store_dwordx4 v[8:9], v[0:3], off offset:16
                                        ; implicit-def: $vgpr8_vgpr9
                                        ; implicit-def: $vgpr4
                                        ; implicit-def: $vgpr12
                                        ; implicit-def: $vgpr0
.LBB127_38:
	s_andn2_saveexec_b64 s[0:1], s[0:1]
	s_cbranch_execz .LBB127_8
; %bb.39:
	v_ashrrev_i32_e32 v13, 31, v12
	v_lshlrev_b64 v[10:11], 3, v[12:13]
	s_waitcnt lgkmcnt(0)
	v_mov_b32_e32 v12, s3
	v_add_co_u32_e32 v18, vcc, s2, v10
	v_addc_co_u32_e32 v19, vcc, v12, v11, vcc
	global_load_dwordx4 v[10:13], v[18:19], off
	global_load_dwordx4 v[14:17], v[18:19], off offset:16
	s_waitcnt vmcnt(1)
	v_fmac_f32_e32 v4, v8, v10
	v_fmac_f32_e32 v5, v9, v10
	;; [unrolled: 1-line block ×4, first 2 shown]
	s_waitcnt vmcnt(0)
	v_fmac_f32_e32 v0, v8, v14
	v_fmac_f32_e32 v1, v9, v14
	;; [unrolled: 1-line block ×4, first 2 shown]
	v_fma_f32 v4, -v9, v11, v4
	v_fmac_f32_e32 v5, v8, v11
	v_fma_f32 v6, -v9, v13, v6
	v_fmac_f32_e32 v7, v8, v13
	;; [unrolled: 2-line block ×4, first 2 shown]
	global_store_dwordx4 v[18:19], v[4:7], off
	global_store_dwordx4 v[18:19], v[0:3], off offset:16
	s_endpgm
	.section	.rodata,"a",@progbits
	.p2align	6, 0x0
	.amdhsa_kernel _ZN9rocsparseL18bsrxmvn_4x4_kernelILj128ELj16E21rocsparse_complex_numIfElifS2_S2_EEvT3_20rocsparse_direction_NS_24const_host_device_scalarIT1_EES3_PKS3_PKT2_SC_S9_PKT4_PKT5_S7_PT6_21rocsparse_index_base_b
		.amdhsa_group_segment_fixed_size 0
		.amdhsa_private_segment_fixed_size 0
		.amdhsa_kernarg_size 96
		.amdhsa_user_sgpr_count 6
		.amdhsa_user_sgpr_private_segment_buffer 1
		.amdhsa_user_sgpr_dispatch_ptr 0
		.amdhsa_user_sgpr_queue_ptr 0
		.amdhsa_user_sgpr_kernarg_segment_ptr 1
		.amdhsa_user_sgpr_dispatch_id 0
		.amdhsa_user_sgpr_flat_scratch_init 0
		.amdhsa_user_sgpr_private_segment_size 0
		.amdhsa_uses_dynamic_stack 0
		.amdhsa_system_sgpr_private_segment_wavefront_offset 0
		.amdhsa_system_sgpr_workgroup_id_x 1
		.amdhsa_system_sgpr_workgroup_id_y 0
		.amdhsa_system_sgpr_workgroup_id_z 0
		.amdhsa_system_sgpr_workgroup_info 0
		.amdhsa_system_vgpr_workitem_id 0
		.amdhsa_next_free_vgpr 59
		.amdhsa_next_free_sgpr 18
		.amdhsa_reserve_vcc 1
		.amdhsa_reserve_flat_scratch 0
		.amdhsa_float_round_mode_32 0
		.amdhsa_float_round_mode_16_64 0
		.amdhsa_float_denorm_mode_32 3
		.amdhsa_float_denorm_mode_16_64 3
		.amdhsa_dx10_clamp 1
		.amdhsa_ieee_mode 1
		.amdhsa_fp16_overflow 0
		.amdhsa_exception_fp_ieee_invalid_op 0
		.amdhsa_exception_fp_denorm_src 0
		.amdhsa_exception_fp_ieee_div_zero 0
		.amdhsa_exception_fp_ieee_overflow 0
		.amdhsa_exception_fp_ieee_underflow 0
		.amdhsa_exception_fp_ieee_inexact 0
		.amdhsa_exception_int_div_zero 0
	.end_amdhsa_kernel
	.section	.text._ZN9rocsparseL18bsrxmvn_4x4_kernelILj128ELj16E21rocsparse_complex_numIfElifS2_S2_EEvT3_20rocsparse_direction_NS_24const_host_device_scalarIT1_EES3_PKS3_PKT2_SC_S9_PKT4_PKT5_S7_PT6_21rocsparse_index_base_b,"axG",@progbits,_ZN9rocsparseL18bsrxmvn_4x4_kernelILj128ELj16E21rocsparse_complex_numIfElifS2_S2_EEvT3_20rocsparse_direction_NS_24const_host_device_scalarIT1_EES3_PKS3_PKT2_SC_S9_PKT4_PKT5_S7_PT6_21rocsparse_index_base_b,comdat
.Lfunc_end127:
	.size	_ZN9rocsparseL18bsrxmvn_4x4_kernelILj128ELj16E21rocsparse_complex_numIfElifS2_S2_EEvT3_20rocsparse_direction_NS_24const_host_device_scalarIT1_EES3_PKS3_PKT2_SC_S9_PKT4_PKT5_S7_PT6_21rocsparse_index_base_b, .Lfunc_end127-_ZN9rocsparseL18bsrxmvn_4x4_kernelILj128ELj16E21rocsparse_complex_numIfElifS2_S2_EEvT3_20rocsparse_direction_NS_24const_host_device_scalarIT1_EES3_PKS3_PKT2_SC_S9_PKT4_PKT5_S7_PT6_21rocsparse_index_base_b
                                        ; -- End function
	.set _ZN9rocsparseL18bsrxmvn_4x4_kernelILj128ELj16E21rocsparse_complex_numIfElifS2_S2_EEvT3_20rocsparse_direction_NS_24const_host_device_scalarIT1_EES3_PKS3_PKT2_SC_S9_PKT4_PKT5_S7_PT6_21rocsparse_index_base_b.num_vgpr, 59
	.set _ZN9rocsparseL18bsrxmvn_4x4_kernelILj128ELj16E21rocsparse_complex_numIfElifS2_S2_EEvT3_20rocsparse_direction_NS_24const_host_device_scalarIT1_EES3_PKS3_PKT2_SC_S9_PKT4_PKT5_S7_PT6_21rocsparse_index_base_b.num_agpr, 0
	.set _ZN9rocsparseL18bsrxmvn_4x4_kernelILj128ELj16E21rocsparse_complex_numIfElifS2_S2_EEvT3_20rocsparse_direction_NS_24const_host_device_scalarIT1_EES3_PKS3_PKT2_SC_S9_PKT4_PKT5_S7_PT6_21rocsparse_index_base_b.numbered_sgpr, 18
	.set _ZN9rocsparseL18bsrxmvn_4x4_kernelILj128ELj16E21rocsparse_complex_numIfElifS2_S2_EEvT3_20rocsparse_direction_NS_24const_host_device_scalarIT1_EES3_PKS3_PKT2_SC_S9_PKT4_PKT5_S7_PT6_21rocsparse_index_base_b.num_named_barrier, 0
	.set _ZN9rocsparseL18bsrxmvn_4x4_kernelILj128ELj16E21rocsparse_complex_numIfElifS2_S2_EEvT3_20rocsparse_direction_NS_24const_host_device_scalarIT1_EES3_PKS3_PKT2_SC_S9_PKT4_PKT5_S7_PT6_21rocsparse_index_base_b.private_seg_size, 0
	.set _ZN9rocsparseL18bsrxmvn_4x4_kernelILj128ELj16E21rocsparse_complex_numIfElifS2_S2_EEvT3_20rocsparse_direction_NS_24const_host_device_scalarIT1_EES3_PKS3_PKT2_SC_S9_PKT4_PKT5_S7_PT6_21rocsparse_index_base_b.uses_vcc, 1
	.set _ZN9rocsparseL18bsrxmvn_4x4_kernelILj128ELj16E21rocsparse_complex_numIfElifS2_S2_EEvT3_20rocsparse_direction_NS_24const_host_device_scalarIT1_EES3_PKS3_PKT2_SC_S9_PKT4_PKT5_S7_PT6_21rocsparse_index_base_b.uses_flat_scratch, 0
	.set _ZN9rocsparseL18bsrxmvn_4x4_kernelILj128ELj16E21rocsparse_complex_numIfElifS2_S2_EEvT3_20rocsparse_direction_NS_24const_host_device_scalarIT1_EES3_PKS3_PKT2_SC_S9_PKT4_PKT5_S7_PT6_21rocsparse_index_base_b.has_dyn_sized_stack, 0
	.set _ZN9rocsparseL18bsrxmvn_4x4_kernelILj128ELj16E21rocsparse_complex_numIfElifS2_S2_EEvT3_20rocsparse_direction_NS_24const_host_device_scalarIT1_EES3_PKS3_PKT2_SC_S9_PKT4_PKT5_S7_PT6_21rocsparse_index_base_b.has_recursion, 0
	.set _ZN9rocsparseL18bsrxmvn_4x4_kernelILj128ELj16E21rocsparse_complex_numIfElifS2_S2_EEvT3_20rocsparse_direction_NS_24const_host_device_scalarIT1_EES3_PKS3_PKT2_SC_S9_PKT4_PKT5_S7_PT6_21rocsparse_index_base_b.has_indirect_call, 0
	.section	.AMDGPU.csdata,"",@progbits
; Kernel info:
; codeLenInByte = 6276
; TotalNumSgprs: 22
; NumVgprs: 59
; ScratchSize: 0
; MemoryBound: 0
; FloatMode: 240
; IeeeMode: 1
; LDSByteSize: 0 bytes/workgroup (compile time only)
; SGPRBlocks: 2
; VGPRBlocks: 14
; NumSGPRsForWavesPerEU: 22
; NumVGPRsForWavesPerEU: 59
; Occupancy: 4
; WaveLimiterHint : 1
; COMPUTE_PGM_RSRC2:SCRATCH_EN: 0
; COMPUTE_PGM_RSRC2:USER_SGPR: 6
; COMPUTE_PGM_RSRC2:TRAP_HANDLER: 0
; COMPUTE_PGM_RSRC2:TGID_X_EN: 1
; COMPUTE_PGM_RSRC2:TGID_Y_EN: 0
; COMPUTE_PGM_RSRC2:TGID_Z_EN: 0
; COMPUTE_PGM_RSRC2:TIDIG_COMP_CNT: 0
	.section	.text._ZN9rocsparseL18bsrxmvn_4x4_kernelILj128ELj32E21rocsparse_complex_numIfElifS2_S2_EEvT3_20rocsparse_direction_NS_24const_host_device_scalarIT1_EES3_PKS3_PKT2_SC_S9_PKT4_PKT5_S7_PT6_21rocsparse_index_base_b,"axG",@progbits,_ZN9rocsparseL18bsrxmvn_4x4_kernelILj128ELj32E21rocsparse_complex_numIfElifS2_S2_EEvT3_20rocsparse_direction_NS_24const_host_device_scalarIT1_EES3_PKS3_PKT2_SC_S9_PKT4_PKT5_S7_PT6_21rocsparse_index_base_b,comdat
	.globl	_ZN9rocsparseL18bsrxmvn_4x4_kernelILj128ELj32E21rocsparse_complex_numIfElifS2_S2_EEvT3_20rocsparse_direction_NS_24const_host_device_scalarIT1_EES3_PKS3_PKT2_SC_S9_PKT4_PKT5_S7_PT6_21rocsparse_index_base_b ; -- Begin function _ZN9rocsparseL18bsrxmvn_4x4_kernelILj128ELj32E21rocsparse_complex_numIfElifS2_S2_EEvT3_20rocsparse_direction_NS_24const_host_device_scalarIT1_EES3_PKS3_PKT2_SC_S9_PKT4_PKT5_S7_PT6_21rocsparse_index_base_b
	.p2align	8
	.type	_ZN9rocsparseL18bsrxmvn_4x4_kernelILj128ELj32E21rocsparse_complex_numIfElifS2_S2_EEvT3_20rocsparse_direction_NS_24const_host_device_scalarIT1_EES3_PKS3_PKT2_SC_S9_PKT4_PKT5_S7_PT6_21rocsparse_index_base_b,@function
_ZN9rocsparseL18bsrxmvn_4x4_kernelILj128ELj32E21rocsparse_complex_numIfElifS2_S2_EEvT3_20rocsparse_direction_NS_24const_host_device_scalarIT1_EES3_PKS3_PKT2_SC_S9_PKT4_PKT5_S7_PT6_21rocsparse_index_base_b: ; @_ZN9rocsparseL18bsrxmvn_4x4_kernelILj128ELj32E21rocsparse_complex_numIfElifS2_S2_EEvT3_20rocsparse_direction_NS_24const_host_device_scalarIT1_EES3_PKS3_PKT2_SC_S9_PKT4_PKT5_S7_PT6_21rocsparse_index_base_b
; %bb.0:
	s_load_dwordx2 s[0:1], s[4:5], 0x8
	s_load_dwordx2 s[16:17], s[4:5], 0x58
	s_add_u32 s7, s4, 8
	s_addc_u32 s8, s5, 0
	s_add_u32 s9, s4, 0x48
	s_load_dwordx2 s[2:3], s[4:5], 0x48
	s_addc_u32 s10, s5, 0
	s_waitcnt lgkmcnt(0)
	s_bitcmp1_b32 s17, 0
	s_cselect_b32 s1, s8, s1
	s_cselect_b32 s0, s7, s0
	v_mov_b32_e32 v1, s0
	v_mov_b32_e32 v2, s1
	flat_load_dwordx2 v[10:11], v[1:2]
	s_cselect_b32 s0, s10, s3
	s_cselect_b32 s1, s9, s2
	v_mov_b32_e32 v1, s1
	v_mov_b32_e32 v2, s0
	flat_load_dwordx2 v[8:9], v[1:2]
	s_waitcnt vmcnt(0) lgkmcnt(0)
	v_cmp_eq_f32_e32 vcc, 0, v10
	v_cmp_eq_f32_e64 s[0:1], 0, v11
	s_and_b64 s[8:9], vcc, s[0:1]
	s_mov_b64 s[0:1], -1
	s_and_saveexec_b64 s[2:3], s[8:9]
; %bb.1:
	v_cmp_neq_f32_e32 vcc, 1.0, v8
	v_cmp_neq_f32_e64 s[0:1], 0, v9
	s_or_b64 s[0:1], vcc, s[0:1]
	s_orn2_b64 s[0:1], s[0:1], exec
; %bb.2:
	s_or_b64 exec, exec, s[2:3]
	s_and_saveexec_b64 s[2:3], s[0:1]
	s_cbranch_execz .LBB128_8
; %bb.3:
	s_load_dwordx2 s[8:9], s[4:5], 0x18
	s_load_dwordx2 s[0:1], s[4:5], 0x0
	v_lshrrev_b32_e32 v1, 5, v0
	v_lshl_or_b32 v12, s6, 2, v1
	s_mov_b64 s[2:3], 0
	s_waitcnt lgkmcnt(0)
	s_cmp_lg_u64 s[8:9], 0
	s_cbranch_scc0 .LBB128_9
; %bb.4:
	s_load_dword s6, s[4:5], 0x10
                                        ; implicit-def: $vgpr1
	s_waitcnt lgkmcnt(0)
	v_cmp_gt_i32_e32 vcc, s6, v12
	s_and_saveexec_b64 s[6:7], vcc
	s_xor_b64 s[6:7], exec, s[6:7]
	s_cbranch_execz .LBB128_6
; %bb.5:
	v_ashrrev_i32_e32 v13, 31, v12
	v_lshlrev_b64 v[1:2], 2, v[12:13]
	v_mov_b32_e32 v3, s9
	v_add_co_u32_e32 v1, vcc, s8, v1
	v_addc_co_u32_e32 v2, vcc, v3, v2, vcc
	global_load_dword v1, v[1:2], off
	s_mov_b64 s[2:3], exec
	s_waitcnt vmcnt(0)
	v_subrev_u32_e32 v1, s16, v1
.LBB128_6:
	s_or_b64 exec, exec, s[6:7]
	s_branch .LBB128_10
.LBB128_7:
	v_cmp_gt_i32_e32 vcc, s0, v12
	s_andn2_b64 s[2:3], s[2:3], exec
	s_and_b64 s[6:7], vcc, exec
	s_or_b64 s[2:3], s[2:3], s[6:7]
	s_and_b64 exec, exec, s[2:3]
	s_cbranch_execnz .LBB128_11
.LBB128_8:
	s_endpgm
.LBB128_9:
                                        ; implicit-def: $vgpr1
	s_cbranch_execnz .LBB128_7
.LBB128_10:
	v_mov_b32_e32 v12, v1
	s_and_b64 exec, exec, s[2:3]
	s_cbranch_execz .LBB128_8
.LBB128_11:
	s_load_dwordx8 s[8:15], s[4:5], 0x20
	v_ashrrev_i32_e32 v13, 31, v12
	v_lshlrev_b64 v[1:2], 3, v[12:13]
	v_and_b32_e32 v25, 31, v0
	s_load_dwordx2 s[6:7], s[4:5], 0x40
	s_waitcnt lgkmcnt(0)
	v_mov_b32_e32 v4, s9
	v_add_co_u32_e32 v3, vcc, s8, v1
	v_addc_co_u32_e32 v4, vcc, v4, v2, vcc
	global_load_dwordx2 v[13:14], v[3:4], off
	v_add_co_u32_e32 v3, vcc, 8, v3
	v_addc_co_u32_e32 v4, vcc, 0, v4, vcc
	v_mov_b32_e32 v5, s11
	v_add_co_u32_e32 v1, vcc, s10, v1
	s_cmp_eq_u64 s[10:11], 0
	v_addc_co_u32_e32 v2, vcc, v5, v2, vcc
	s_cselect_b64 vcc, -1, 0
	v_cndmask_b32_e32 v2, v2, v4, vcc
	v_cndmask_b32_e32 v1, v1, v3, vcc
	global_load_dwordx2 v[2:3], v[1:2], off
	v_mov_b32_e32 v7, s15
	s_cmp_eq_u32 s1, 1
	v_mov_b32_e32 v6, 0
	s_waitcnt vmcnt(1)
	v_subrev_co_u32_e32 v0, vcc, s16, v13
	v_subbrev_co_u32_e32 v1, vcc, 0, v14, vcc
	v_add_co_u32_e32 v0, vcc, v0, v25
	v_addc_co_u32_e32 v1, vcc, 0, v1, vcc
	v_lshlrev_b64 v[4:5], 6, v[0:1]
	s_waitcnt vmcnt(0)
	v_subrev_co_u32_e32 v2, vcc, s16, v2
	v_subbrev_co_u32_e32 v3, vcc, 0, v3, vcc
	v_cmp_lt_i64_e64 s[0:1], v[0:1], v[2:3]
	v_add_co_u32_e32 v4, vcc, s14, v4
	v_addc_co_u32_e32 v5, vcc, v7, v5, vcc
	s_cbranch_scc1 .LBB128_23
; %bb.12:
	v_mov_b32_e32 v31, 0
	v_mov_b32_e32 v28, 0
	;; [unrolled: 1-line block ×7, first 2 shown]
	s_and_saveexec_b64 s[8:9], s[0:1]
	s_cbranch_execz .LBB128_22
; %bb.13:
	v_or_b32_e32 v6, 32, v25
	v_subrev_co_u32_e32 v6, vcc, s16, v6
	v_subb_co_u32_e64 v7, s[2:3], 0, 0, vcc
	v_add_co_u32_e32 v6, vcc, v6, v13
	v_addc_co_u32_e32 v7, vcc, v7, v14, vcc
	v_cmp_gt_i64_e32 vcc, v[6:7], v[2:3]
	v_not_b32_e32 v16, v13
	v_cndmask_b32_e32 v7, v3, v7, vcc
	v_cndmask_b32_e32 v6, v2, v6, vcc
	v_sub_co_u32_e32 v17, vcc, s16, v25
	v_not_b32_e32 v15, v14
	v_subb_co_u32_e64 v18, s[2:3], 0, 0, vcc
	v_add_co_u32_e32 v16, vcc, v17, v16
	v_addc_co_u32_e32 v15, vcc, v18, v15, vcc
	v_add_co_u32_e32 v19, vcc, v16, v6
	v_addc_co_u32_e32 v20, vcc, v15, v7, vcc
	v_and_b32_e32 v6, 0x60, v19
	v_mov_b32_e32 v7, 0
	s_mov_b64 s[2:3], 0x60
	v_cmp_ne_u64_e32 vcc, s[2:3], v[6:7]
	v_mov_b32_e32 v16, v5
	v_mov_b32_e32 v18, v1
	;; [unrolled: 1-line block ×11, first 2 shown]
	s_and_saveexec_b64 s[10:11], vcc
	s_cbranch_execz .LBB128_17
; %bb.14:
	v_lshlrev_b64 v[15:16], 2, v[0:1]
	v_lshrrev_b32_e32 v6, 5, v19
	v_add_u32_e32 v6, 1, v6
	v_mov_b32_e32 v17, s13
	v_add_co_u32_e32 v21, vcc, s12, v15
	v_and_b32_e32 v7, 3, v6
	v_addc_co_u32_e32 v22, vcc, v17, v16, vcc
	v_sub_co_u32_e32 v23, vcc, 0, v7
	v_mov_b32_e32 v18, v1
	v_mov_b32_e32 v16, v5
	;; [unrolled: 1-line block ×3, first 2 shown]
	s_mov_b64 s[14:15], 0
	v_subb_co_u32_e64 v24, s[2:3], 0, 0, vcc
	s_movk_i32 s17, 0x800
	v_mov_b32_e32 v32, s7
	v_mov_b32_e32 v17, v0
	;; [unrolled: 1-line block ×10, first 2 shown]
.LBB128_15:                             ; =>This Inner Loop Header: Depth=1
	global_load_dword v49, v[21:22], off
	global_load_dwordx4 v[33:36], v[15:16], off offset:16
	global_load_dwordx4 v[37:40], v[15:16], off
	global_load_dwordx4 v[41:44], v[15:16], off offset:32
	global_load_dwordx4 v[45:48], v[15:16], off offset:48
	s_waitcnt vmcnt(4)
	v_subrev_u32_e32 v49, s16, v49
	v_lshlrev_b32_e32 v49, 2, v49
	v_ashrrev_i32_e32 v50, 31, v49
	v_lshlrev_b64 v[49:50], 3, v[49:50]
	v_add_co_u32_e32 v57, vcc, s6, v49
	v_addc_co_u32_e32 v58, vcc, v32, v50, vcc
	global_load_dwordx4 v[49:52], v[57:58], off
	global_load_dwordx4 v[53:56], v[57:58], off offset:16
	v_add_co_u32_e32 v15, vcc, s17, v15
	s_mov_b64 s[2:3], vcc
	v_add_co_u32_e32 v17, vcc, 32, v17
	v_addc_co_u32_e32 v18, vcc, 0, v18, vcc
	v_add_co_u32_e32 v23, vcc, 1, v23
	v_addc_co_u32_e32 v24, vcc, 0, v24, vcc
	v_addc_co_u32_e64 v16, s[2:3], 0, v16, s[2:3]
	v_cmp_eq_u64_e64 s[2:3], 0, v[23:24]
	v_add_co_u32_e32 v21, vcc, 0x80, v21
	v_addc_co_u32_e32 v22, vcc, 0, v22, vcc
	s_or_b64 s[14:15], s[2:3], s[14:15]
	s_waitcnt vmcnt(1)
	v_fmac_f32_e32 v31, v37, v49
	v_fmac_f32_e32 v6, 0, v49
	;; [unrolled: 1-line block ×32, first 2 shown]
	s_waitcnt vmcnt(0)
	v_fmac_f32_e32 v31, v39, v53
	v_fmac_f32_e32 v6, 0, v53
	;; [unrolled: 1-line block ×32, first 2 shown]
	s_andn2_b64 exec, exec, s[14:15]
	s_cbranch_execnz .LBB128_15
; %bb.16:
	s_or_b64 exec, exec, s[14:15]
.LBB128_17:
	s_or_b64 exec, exec, s[10:11]
	s_mov_b64 s[2:3], 0x5f
	v_cmp_lt_u64_e32 vcc, s[2:3], v[19:20]
	s_and_saveexec_b64 s[10:11], vcc
	s_cbranch_execz .LBB128_21
; %bb.18:
	v_lshlrev_b64 v[19:20], 2, v[17:18]
	v_mov_b32_e32 v21, s13
	v_add_co_u32_e32 v19, vcc, s12, v19
	v_addc_co_u32_e32 v20, vcc, v21, v20, vcc
	v_add_co_u32_e32 v19, vcc, 0x100, v19
	v_addc_co_u32_e32 v20, vcc, 0, v20, vcc
	s_mov_b64 s[14:15], 0
	v_mov_b32_e32 v23, s7
	s_movk_i32 s17, 0x1000
.LBB128_19:                             ; =>This Inner Loop Header: Depth=1
	global_load_dword v21, v[19:20], off offset:-256
	global_load_dwordx4 v[32:35], v[15:16], off offset:48
	global_load_dwordx4 v[36:39], v[15:16], off offset:32
	;; [unrolled: 1-line block ×3, first 2 shown]
	global_load_dwordx4 v[44:47], v[15:16], off
	s_waitcnt vmcnt(4)
	v_subrev_u32_e32 v21, s16, v21
	v_lshlrev_b32_e32 v21, 2, v21
	v_ashrrev_i32_e32 v22, 31, v21
	v_lshlrev_b64 v[21:22], 3, v[21:22]
	v_add_co_u32_e32 v21, vcc, s6, v21
	v_addc_co_u32_e32 v22, vcc, v23, v22, vcc
	global_load_dwordx4 v[48:51], v[21:22], off offset:16
	global_load_dwordx4 v[52:55], v[21:22], off
	s_waitcnt vmcnt(0)
	v_fmac_f32_e32 v31, v44, v52
	global_load_dword v21, v[19:20], off offset:-128
	v_fmac_f32_e32 v6, 0, v52
	v_fmac_f32_e32 v30, v40, v52
	;; [unrolled: 1-line block ×63, first 2 shown]
	global_load_dwordx4 v[32:35], v[15:16], off offset:2096
	global_load_dwordx4 v[36:39], v[15:16], off offset:2080
	;; [unrolled: 1-line block ×4, first 2 shown]
	s_waitcnt vmcnt(4)
	v_subrev_u32_e32 v21, s16, v21
	v_lshlrev_b32_e32 v21, 2, v21
	v_ashrrev_i32_e32 v22, 31, v21
	v_lshlrev_b64 v[21:22], 3, v[21:22]
	v_add_co_u32_e32 v21, vcc, s6, v21
	v_addc_co_u32_e32 v22, vcc, v23, v22, vcc
	global_load_dwordx4 v[48:51], v[21:22], off offset:16
	global_load_dwordx4 v[52:55], v[21:22], off
	global_load_dword v24, v[19:20], off
	v_add_co_u32_e32 v21, vcc, s17, v15
	v_addc_co_u32_e32 v22, vcc, 0, v16, vcc
	s_waitcnt vmcnt(1)
	v_fmac_f32_e32 v31, v44, v52
	v_fmac_f32_e32 v6, 0, v52
	;; [unrolled: 1-line block ×32, first 2 shown]
	s_waitcnt vmcnt(0)
	v_subrev_u32_e32 v24, s16, v24
	v_fmac_f32_e32 v31, v46, v48
	v_fmac_f32_e32 v6, 0, v48
	;; [unrolled: 1-line block ×8, first 2 shown]
	v_lshlrev_b32_e32 v48, 2, v24
	v_fmac_f32_e32 v31, 0x80000000, v49
	v_fmac_f32_e32 v6, v46, v49
	;; [unrolled: 1-line block ×8, first 2 shown]
	v_ashrrev_i32_e32 v49, 31, v48
	v_lshlrev_b64 v[48:49], 3, v[48:49]
	v_fmac_f32_e32 v31, v47, v50
	v_add_co_u32_e32 v56, vcc, s6, v48
	v_fmac_f32_e32 v6, 0, v50
	v_fmac_f32_e32 v30, v43, v50
	;; [unrolled: 1-line block ×7, first 2 shown]
	v_addc_co_u32_e32 v57, vcc, v23, v49, vcc
	v_fmac_f32_e32 v31, 0x80000000, v51
	v_fmac_f32_e32 v6, v47, v51
	;; [unrolled: 1-line block ×8, first 2 shown]
	global_load_dwordx4 v[32:35], v[21:22], off
	global_load_dwordx4 v[36:39], v[21:22], off offset:48
	global_load_dwordx4 v[40:43], v[21:22], off offset:32
	;; [unrolled: 1-line block ×4, first 2 shown]
	global_load_dwordx4 v[52:55], v[56:57], off
	global_load_dword v24, v[19:20], off offset:128
	s_waitcnt vmcnt(1)
	v_fmac_f32_e32 v6, 0, v52
	v_fmac_f32_e32 v28, 0, v52
	v_fmac_f32_e32 v27, 0, v52
	v_fmac_f32_e32 v26, 0, v52
	v_fmac_f32_e32 v31, v32, v52
	v_fmac_f32_e32 v6, v32, v53
	v_fmac_f32_e32 v30, v44, v52
	v_fmac_f32_e32 v28, v44, v53
	v_fmac_f32_e32 v29, v40, v52
	v_fmac_f32_e32 v27, v40, v53
	v_fmac_f32_e32 v7, v36, v52
	v_fmac_f32_e32 v26, v36, v53
	v_fmac_f32_e32 v31, 0x80000000, v53
	v_fmac_f32_e32 v6, 0, v54
	v_fmac_f32_e32 v30, 0x80000000, v53
	v_fmac_f32_e32 v28, 0, v54
	v_fmac_f32_e32 v29, 0x80000000, v53
	v_fmac_f32_e32 v27, 0, v54
	v_fmac_f32_e32 v7, 0x80000000, v53
	v_fmac_f32_e32 v26, 0, v54
	v_fmac_f32_e32 v31, v33, v54
	v_fmac_f32_e32 v6, v33, v55
	v_fmac_f32_e32 v30, v45, v54
	v_fmac_f32_e32 v28, v45, v55
	v_fmac_f32_e32 v29, v41, v54
	v_fmac_f32_e32 v27, v41, v55
	v_fmac_f32_e32 v7, v37, v54
	v_fmac_f32_e32 v26, v37, v55
	v_fmac_f32_e32 v31, 0x80000000, v55
	v_fmac_f32_e32 v6, 0, v48
	v_fmac_f32_e32 v30, 0x80000000, v55
	v_fmac_f32_e32 v28, 0, v48
	v_fmac_f32_e32 v29, 0x80000000, v55
	v_fmac_f32_e32 v27, 0, v48
	v_fmac_f32_e32 v7, 0x80000000, v55
	v_fmac_f32_e32 v26, 0, v48
	s_waitcnt vmcnt(0)
	v_subrev_u32_e32 v24, s16, v24
	v_fmac_f32_e32 v31, v34, v48
	v_fmac_f32_e32 v6, v34, v49
	;; [unrolled: 1-line block ×8, first 2 shown]
	v_lshlrev_b32_e32 v48, 2, v24
	v_fmac_f32_e32 v31, 0x80000000, v49
	v_fmac_f32_e32 v6, 0, v50
	;; [unrolled: 1-line block ×8, first 2 shown]
	v_ashrrev_i32_e32 v49, 31, v48
	v_fmac_f32_e32 v31, v35, v50
	v_fmac_f32_e32 v6, v35, v51
	;; [unrolled: 1-line block ×8, first 2 shown]
	global_load_dwordx4 v[32:35], v[21:22], off offset:2096
	global_load_dwordx4 v[36:39], v[21:22], off offset:2080
	;; [unrolled: 1-line block ×4, first 2 shown]
	v_lshlrev_b64 v[21:22], 3, v[48:49]
	v_fmac_f32_e32 v31, 0x80000000, v51
	v_add_co_u32_e32 v21, vcc, s6, v21
	v_addc_co_u32_e32 v22, vcc, v23, v22, vcc
	v_fmac_f32_e32 v30, 0x80000000, v51
	v_fmac_f32_e32 v29, 0x80000000, v51
	v_fmac_f32_e32 v7, 0x80000000, v51
	global_load_dwordx4 v[48:51], v[21:22], off offset:16
	global_load_dwordx4 v[52:55], v[21:22], off
	v_add_co_u32_e32 v17, vcc, 0x80, v17
	v_addc_co_u32_e32 v18, vcc, 0, v18, vcc
	v_add_co_u32_e32 v19, vcc, 0x200, v19
	v_addc_co_u32_e32 v20, vcc, 0, v20, vcc
	v_cmp_ge_i64_e64 s[2:3], v[17:18], v[2:3]
	v_add_co_u32_e32 v15, vcc, 0x2000, v15
	v_addc_co_u32_e32 v16, vcc, 0, v16, vcc
	s_or_b64 s[14:15], s[2:3], s[14:15]
	s_waitcnt vmcnt(0)
	v_fmac_f32_e32 v31, v44, v52
	v_fmac_f32_e32 v6, 0, v52
	v_fmac_f32_e32 v30, v40, v52
	v_fmac_f32_e32 v28, 0, v52
	v_fmac_f32_e32 v29, v36, v52
	v_fmac_f32_e32 v27, 0, v52
	v_fmac_f32_e32 v7, v32, v52
	v_fmac_f32_e32 v26, 0, v52
	v_fmac_f32_e32 v31, 0x80000000, v53
	v_fmac_f32_e32 v6, v44, v53
	v_fmac_f32_e32 v30, 0x80000000, v53
	v_fmac_f32_e32 v28, v40, v53
	v_fmac_f32_e32 v29, 0x80000000, v53
	v_fmac_f32_e32 v27, v36, v53
	v_fmac_f32_e32 v7, 0x80000000, v53
	v_fmac_f32_e32 v26, v32, v53
	v_fmac_f32_e32 v31, v45, v54
	v_fmac_f32_e32 v6, 0, v54
	v_fmac_f32_e32 v30, v41, v54
	v_fmac_f32_e32 v28, 0, v54
	v_fmac_f32_e32 v29, v37, v54
	v_fmac_f32_e32 v27, 0, v54
	v_fmac_f32_e32 v7, v33, v54
	v_fmac_f32_e32 v26, 0, v54
	v_fmac_f32_e32 v31, 0x80000000, v55
	v_fmac_f32_e32 v6, v45, v55
	v_fmac_f32_e32 v30, 0x80000000, v55
	v_fmac_f32_e32 v28, v41, v55
	v_fmac_f32_e32 v29, 0x80000000, v55
	v_fmac_f32_e32 v27, v37, v55
	v_fmac_f32_e32 v7, 0x80000000, v55
	v_fmac_f32_e32 v26, v33, v55
	v_fmac_f32_e32 v31, v46, v48
	v_fmac_f32_e32 v6, 0, v48
	v_fmac_f32_e32 v30, v42, v48
	v_fmac_f32_e32 v28, 0, v48
	v_fmac_f32_e32 v29, v38, v48
	v_fmac_f32_e32 v27, 0, v48
	v_fmac_f32_e32 v7, v34, v48
	v_fmac_f32_e32 v26, 0, v48
	v_fmac_f32_e32 v31, 0x80000000, v49
	v_fmac_f32_e32 v6, v46, v49
	v_fmac_f32_e32 v30, 0x80000000, v49
	v_fmac_f32_e32 v28, v42, v49
	v_fmac_f32_e32 v29, 0x80000000, v49
	v_fmac_f32_e32 v27, v38, v49
	v_fmac_f32_e32 v7, 0x80000000, v49
	v_fmac_f32_e32 v26, v34, v49
	v_fmac_f32_e32 v31, v47, v50
	v_fmac_f32_e32 v6, 0, v50
	v_fmac_f32_e32 v30, v43, v50
	v_fmac_f32_e32 v28, 0, v50
	v_fmac_f32_e32 v29, v39, v50
	v_fmac_f32_e32 v27, 0, v50
	v_fmac_f32_e32 v7, v35, v50
	v_fmac_f32_e32 v26, 0, v50
	v_fmac_f32_e32 v31, 0x80000000, v51
	v_fmac_f32_e32 v6, v47, v51
	v_fmac_f32_e32 v30, 0x80000000, v51
	v_fmac_f32_e32 v28, v43, v51
	v_fmac_f32_e32 v29, 0x80000000, v51
	v_fmac_f32_e32 v27, v39, v51
	v_fmac_f32_e32 v7, 0x80000000, v51
	v_fmac_f32_e32 v26, v35, v51
	s_andn2_b64 exec, exec, s[14:15]
	s_cbranch_execnz .LBB128_19
; %bb.20:
	s_or_b64 exec, exec, s[14:15]
.LBB128_21:
	s_or_b64 exec, exec, s[10:11]
.LBB128_22:
	s_or_b64 exec, exec, s[8:9]
	s_cbranch_execz .LBB128_24
	s_branch .LBB128_35
.LBB128_23:
                                        ; implicit-def: $vgpr6
                                        ; implicit-def: $vgpr31
                                        ; implicit-def: $vgpr28
                                        ; implicit-def: $vgpr30
                                        ; implicit-def: $vgpr27
                                        ; implicit-def: $vgpr29
                                        ; implicit-def: $vgpr26
                                        ; implicit-def: $vgpr7
.LBB128_24:
	v_mov_b32_e32 v6, 0
	v_mov_b32_e32 v31, 0
	;; [unrolled: 1-line block ×8, first 2 shown]
	s_and_saveexec_b64 s[2:3], s[0:1]
	s_cbranch_execz .LBB128_34
; %bb.25:
	v_or_b32_e32 v6, 32, v25
	v_subrev_co_u32_e32 v6, vcc, s16, v6
	v_subb_co_u32_e64 v7, s[0:1], 0, 0, vcc
	v_add_co_u32_e32 v6, vcc, v6, v13
	v_addc_co_u32_e32 v7, vcc, v7, v14, vcc
	v_cmp_gt_i64_e32 vcc, v[6:7], v[2:3]
	v_not_b32_e32 v13, v13
	v_cndmask_b32_e32 v7, v3, v7, vcc
	v_cndmask_b32_e32 v6, v2, v6, vcc
	v_sub_co_u32_e32 v15, vcc, s16, v25
	v_not_b32_e32 v14, v14
	v_subb_co_u32_e64 v16, s[0:1], 0, 0, vcc
	v_add_co_u32_e32 v13, vcc, v15, v13
	v_addc_co_u32_e32 v14, vcc, v16, v14, vcc
	v_add_co_u32_e32 v13, vcc, v13, v6
	v_addc_co_u32_e32 v14, vcc, v14, v7, vcc
	v_and_b32_e32 v6, 0x60, v13
	v_mov_b32_e32 v7, 0
	s_mov_b64 s[0:1], 0x60
	v_cmp_ne_u64_e32 vcc, s[0:1], v[6:7]
	v_mov_b32_e32 v26, v7
	v_mov_b32_e32 v29, v7
	;; [unrolled: 1-line block ×7, first 2 shown]
	s_and_saveexec_b64 s[8:9], vcc
	s_cbranch_execz .LBB128_29
; %bb.26:
	v_lshlrev_b64 v[15:16], 2, v[0:1]
	v_lshrrev_b32_e32 v6, 5, v13
	v_add_u32_e32 v6, 1, v6
	v_mov_b32_e32 v17, s13
	v_add_co_u32_e32 v15, vcc, s12, v15
	v_and_b32_e32 v7, 3, v6
	v_addc_co_u32_e32 v16, vcc, v17, v16, vcc
	v_sub_co_u32_e32 v17, vcc, 0, v7
	v_mov_b32_e32 v6, 0
	s_mov_b64 s[10:11], 0
	v_subb_co_u32_e64 v18, s[0:1], 0, 0, vcc
	s_movk_i32 s14, 0x800
	v_mov_b32_e32 v19, s7
	v_mov_b32_e32 v31, 0
	;; [unrolled: 1-line block ×8, first 2 shown]
.LBB128_27:                             ; =>This Inner Loop Header: Depth=1
	global_load_dword v24, v[15:16], off
	global_load_dwordx4 v[20:23], v[4:5], off offset:32
	global_load_dwordx4 v[32:35], v[4:5], off offset:16
	global_load_dwordx4 v[36:39], v[4:5], off
	v_add_co_u32_e64 v0, s[0:1], 32, v0
	v_addc_co_u32_e64 v1, s[0:1], 0, v1, s[0:1]
	v_add_co_u32_e64 v17, s[0:1], 1, v17
	v_addc_co_u32_e64 v18, s[0:1], 0, v18, s[0:1]
	v_cmp_eq_u64_e64 s[0:1], 0, v[17:18]
	s_or_b64 s[10:11], s[0:1], s[10:11]
	s_waitcnt vmcnt(3)
	v_subrev_u32_e32 v24, s16, v24
	v_lshlrev_b32_e32 v40, 2, v24
	v_ashrrev_i32_e32 v41, 31, v40
	v_lshlrev_b64 v[40:41], 3, v[40:41]
	v_add_co_u32_e32 v52, vcc, s6, v40
	v_addc_co_u32_e32 v53, vcc, v19, v41, vcc
	global_load_dwordx4 v[40:43], v[52:53], off
	global_load_dwordx4 v[44:47], v[52:53], off offset:16
	global_load_dwordx4 v[48:51], v[4:5], off offset:48
	v_add_co_u32_e32 v4, vcc, s14, v4
	v_addc_co_u32_e32 v5, vcc, 0, v5, vcc
	v_add_co_u32_e32 v15, vcc, 0x80, v15
	v_addc_co_u32_e32 v16, vcc, 0, v16, vcc
	s_waitcnt vmcnt(2)
	v_fmac_f32_e32 v31, v36, v40
	v_fmac_f32_e32 v6, 0, v40
	;; [unrolled: 1-line block ×32, first 2 shown]
	s_waitcnt vmcnt(1)
	v_fmac_f32_e32 v31, v20, v44
	v_fmac_f32_e32 v6, 0, v44
	;; [unrolled: 1-line block ×16, first 2 shown]
	s_waitcnt vmcnt(0)
	v_fmac_f32_e32 v31, v48, v46
	v_fmac_f32_e32 v6, 0, v46
	;; [unrolled: 1-line block ×16, first 2 shown]
	s_andn2_b64 exec, exec, s[10:11]
	s_cbranch_execnz .LBB128_27
; %bb.28:
	s_or_b64 exec, exec, s[10:11]
.LBB128_29:
	s_or_b64 exec, exec, s[8:9]
	s_mov_b64 s[0:1], 0x5f
	v_cmp_lt_u64_e32 vcc, s[0:1], v[13:14]
	s_and_saveexec_b64 s[8:9], vcc
	s_cbranch_execz .LBB128_33
; %bb.30:
	v_lshlrev_b64 v[13:14], 2, v[0:1]
	v_mov_b32_e32 v15, s13
	v_add_co_u32_e32 v13, vcc, s12, v13
	v_addc_co_u32_e32 v14, vcc, v15, v14, vcc
	v_add_co_u32_e32 v13, vcc, 0x100, v13
	v_addc_co_u32_e32 v14, vcc, 0, v14, vcc
	s_mov_b64 s[10:11], 0
	v_mov_b32_e32 v17, s7
	s_movk_i32 s7, 0x1000
.LBB128_31:                             ; =>This Inner Loop Header: Depth=1
	global_load_dword v15, v[13:14], off offset:-256
	global_load_dwordx4 v[18:21], v[4:5], off offset:48
	global_load_dwordx4 v[32:35], v[4:5], off offset:32
	;; [unrolled: 1-line block ×3, first 2 shown]
	global_load_dwordx4 v[40:43], v[4:5], off
	s_waitcnt vmcnt(4)
	v_subrev_u32_e32 v15, s16, v15
	v_lshlrev_b32_e32 v15, 2, v15
	v_ashrrev_i32_e32 v16, 31, v15
	v_lshlrev_b64 v[15:16], 3, v[15:16]
	v_add_co_u32_e32 v15, vcc, s6, v15
	v_addc_co_u32_e32 v16, vcc, v17, v16, vcc
	global_load_dwordx4 v[44:47], v[15:16], off offset:16
	global_load_dwordx4 v[48:51], v[15:16], off
	s_waitcnt vmcnt(0)
	v_fmac_f32_e32 v31, v40, v48
	global_load_dword v15, v[13:14], off offset:-128
	v_fmac_f32_e32 v6, 0, v48
	v_fmac_f32_e32 v30, v41, v48
	;; [unrolled: 1-line block ×63, first 2 shown]
	global_load_dwordx4 v[18:21], v[4:5], off offset:2096
	global_load_dwordx4 v[32:35], v[4:5], off offset:2080
	;; [unrolled: 1-line block ×4, first 2 shown]
	s_waitcnt vmcnt(4)
	v_subrev_u32_e32 v15, s16, v15
	v_lshlrev_b32_e32 v15, 2, v15
	v_ashrrev_i32_e32 v16, 31, v15
	v_lshlrev_b64 v[15:16], 3, v[15:16]
	v_add_co_u32_e32 v15, vcc, s6, v15
	v_addc_co_u32_e32 v16, vcc, v17, v16, vcc
	global_load_dwordx4 v[44:47], v[15:16], off offset:16
	global_load_dwordx4 v[48:51], v[15:16], off
	v_add_co_u32_e32 v15, vcc, s7, v4
	v_addc_co_u32_e32 v16, vcc, 0, v5, vcc
	s_waitcnt vmcnt(0)
	v_fmac_f32_e32 v6, 0, v48
	v_fmac_f32_e32 v31, v40, v48
	;; [unrolled: 1-line block ×15, first 2 shown]
	global_load_dword v18, v[13:14], off
	v_fmac_f32_e32 v30, v41, v48
	v_fmac_f32_e32 v28, 0, v48
	;; [unrolled: 1-line block ×49, first 2 shown]
	s_waitcnt vmcnt(0)
	v_subrev_u32_e32 v18, s16, v18
	v_lshlrev_b32_e32 v22, 2, v18
	v_ashrrev_i32_e32 v23, 31, v22
	v_lshlrev_b64 v[22:23], 3, v[22:23]
	global_load_dwordx4 v[18:21], v[15:16], off
	global_load_dwordx4 v[32:35], v[15:16], off offset:48
	global_load_dwordx4 v[36:39], v[15:16], off offset:32
	;; [unrolled: 1-line block ×3, first 2 shown]
	v_add_co_u32_e32 v22, vcc, s6, v22
	v_addc_co_u32_e32 v23, vcc, v17, v23, vcc
	global_load_dwordx4 v[44:47], v[22:23], off offset:16
	global_load_dwordx4 v[48:51], v[22:23], off
	s_waitcnt vmcnt(0)
	v_fmac_f32_e32 v6, 0, v48
	v_fmac_f32_e32 v31, v18, v48
	v_fmac_f32_e32 v6, v18, v49
	global_load_dword v18, v[13:14], off offset:128
	v_fmac_f32_e32 v28, 0, v48
	v_fmac_f32_e32 v27, 0, v48
	;; [unrolled: 1-line block ×61, first 2 shown]
	s_waitcnt vmcnt(0)
	v_subrev_u32_e32 v18, s16, v18
	v_lshlrev_b32_e32 v22, 2, v18
	v_ashrrev_i32_e32 v23, 31, v22
	global_load_dwordx4 v[18:21], v[15:16], off offset:2096
	global_load_dwordx4 v[32:35], v[15:16], off offset:2080
	;; [unrolled: 1-line block ×4, first 2 shown]
	v_lshlrev_b64 v[15:16], 3, v[22:23]
	v_add_co_u32_e32 v15, vcc, s6, v15
	v_addc_co_u32_e32 v16, vcc, v17, v16, vcc
	global_load_dwordx4 v[44:47], v[15:16], off offset:16
	global_load_dwordx4 v[48:51], v[15:16], off
	v_add_co_u32_e32 v0, vcc, 0x80, v0
	v_addc_co_u32_e32 v1, vcc, 0, v1, vcc
	v_add_co_u32_e32 v13, vcc, 0x200, v13
	v_addc_co_u32_e32 v14, vcc, 0, v14, vcc
	v_cmp_ge_i64_e64 s[0:1], v[0:1], v[2:3]
	v_add_co_u32_e32 v4, vcc, 0x2000, v4
	v_addc_co_u32_e32 v5, vcc, 0, v5, vcc
	s_or_b64 s[10:11], s[0:1], s[10:11]
	s_waitcnt vmcnt(0)
	v_fmac_f32_e32 v31, v40, v48
	v_fmac_f32_e32 v6, 0, v48
	;; [unrolled: 1-line block ×64, first 2 shown]
	s_andn2_b64 exec, exec, s[10:11]
	s_cbranch_execnz .LBB128_31
; %bb.32:
	s_or_b64 exec, exec, s[10:11]
.LBB128_33:
	s_or_b64 exec, exec, s[8:9]
.LBB128_34:
	s_or_b64 exec, exec, s[2:3]
.LBB128_35:
	v_mov_b32_dpp v2, v6 row_shr:1 row_mask:0xf bank_mask:0xf
	v_mov_b32_dpp v0, v31 row_shr:1 row_mask:0xf bank_mask:0xf
	v_add_f32_e32 v2, v6, v2
	v_mov_b32_dpp v4, v30 row_shr:1 row_mask:0xf bank_mask:0xf
	v_mov_b32_dpp v6, v28 row_shr:1 row_mask:0xf bank_mask:0xf
	;; [unrolled: 1-line block ×6, first 2 shown]
	v_add_f32_e32 v0, v31, v0
	v_add_f32_e32 v4, v30, v4
	v_add_f32_e32 v6, v28, v6
	v_add_f32_e32 v14, v29, v14
	v_add_f32_e32 v16, v27, v16
	v_add_f32_e32 v7, v7, v18
	v_add_f32_e32 v19, v26, v19
	v_mov_b32_dpp v1, v0 row_shr:2 row_mask:0xf bank_mask:0xf
	v_mov_b32_dpp v3, v2 row_shr:2 row_mask:0xf bank_mask:0xf
	v_mov_b32_dpp v5, v4 row_shr:2 row_mask:0xf bank_mask:0xf
	v_mov_b32_dpp v13, v6 row_shr:2 row_mask:0xf bank_mask:0xf
	v_mov_b32_dpp v15, v14 row_shr:2 row_mask:0xf bank_mask:0xf
	v_mov_b32_dpp v17, v16 row_shr:2 row_mask:0xf bank_mask:0xf
	v_mov_b32_dpp v18, v7 row_shr:2 row_mask:0xf bank_mask:0xf
	v_mov_b32_dpp v20, v19 row_shr:2 row_mask:0xf bank_mask:0xf
	v_add_f32_e32 v0, v0, v1
	v_add_f32_e32 v2, v2, v3
	v_add_f32_e32 v4, v4, v5
	v_add_f32_e32 v6, v6, v13
	v_add_f32_e32 v14, v14, v15
	v_add_f32_e32 v16, v16, v17
	v_add_f32_e32 v7, v7, v18
	v_add_f32_e32 v19, v19, v20
	v_mov_b32_dpp v1, v0 row_shr:4 row_mask:0xf bank_mask:0xe
	v_mov_b32_dpp v3, v2 row_shr:4 row_mask:0xf bank_mask:0xe
	v_mov_b32_dpp v5, v4 row_shr:4 row_mask:0xf bank_mask:0xe
	v_mov_b32_dpp v13, v6 row_shr:4 row_mask:0xf bank_mask:0xe
	v_mov_b32_dpp v15, v14 row_shr:4 row_mask:0xf bank_mask:0xe
	v_mov_b32_dpp v17, v16 row_shr:4 row_mask:0xf bank_mask:0xe
	v_mov_b32_dpp v18, v7 row_shr:4 row_mask:0xf bank_mask:0xe
	v_mov_b32_dpp v20, v19 row_shr:4 row_mask:0xf bank_mask:0xe
	v_add_f32_e32 v0, v0, v1
	;; [unrolled: 16-line block ×3, first 2 shown]
	v_add_f32_e32 v2, v2, v3
	v_add_f32_e32 v4, v4, v5
	;; [unrolled: 1-line block ×7, first 2 shown]
	v_mov_b32_dpp v1, v0 row_bcast:15 row_mask:0xa bank_mask:0xf
	v_mov_b32_dpp v3, v2 row_bcast:15 row_mask:0xa bank_mask:0xf
	;; [unrolled: 1-line block ×8, first 2 shown]
	v_cmp_eq_u32_e32 vcc, 31, v25
	s_and_b64 exec, exec, vcc
	s_cbranch_execz .LBB128_8
; %bb.36:
	s_load_dwordx2 s[2:3], s[4:5], 0x50
	v_add_f32_e32 v21, v0, v1
	v_add_f32_e32 v0, v2, v3
	;; [unrolled: 1-line block ×8, first 2 shown]
	v_cmp_eq_f32_e32 vcc, 0, v8
	v_cmp_eq_f32_e64 s[0:1], 0, v9
	v_mul_f32_e64 v4, v0, -v11
	v_mul_f32_e32 v5, v10, v0
	v_mul_f32_e64 v6, v1, -v11
	v_mul_f32_e32 v7, v10, v1
	;; [unrolled: 2-line block ×4, first 2 shown]
	s_and_b64 s[0:1], vcc, s[0:1]
	v_fmac_f32_e32 v4, v10, v21
	v_fmac_f32_e32 v5, v11, v21
	v_lshlrev_b32_e32 v12, 2, v12
	v_fmac_f32_e32 v6, v10, v22
	v_fmac_f32_e32 v7, v11, v22
	v_fmac_f32_e32 v0, v10, v13
	v_fmac_f32_e32 v1, v11, v13
	v_fmac_f32_e32 v2, v10, v14
	v_fmac_f32_e32 v3, v11, v14
	s_and_saveexec_b64 s[4:5], s[0:1]
	s_xor_b64 s[0:1], exec, s[4:5]
	s_cbranch_execz .LBB128_38
; %bb.37:
	v_ashrrev_i32_e32 v13, 31, v12
	v_lshlrev_b64 v[8:9], 3, v[12:13]
	s_waitcnt lgkmcnt(0)
	v_mov_b32_e32 v10, s3
	v_add_co_u32_e32 v8, vcc, s2, v8
	v_addc_co_u32_e32 v9, vcc, v10, v9, vcc
	global_store_dwordx4 v[8:9], v[4:7], off
	global_store_dwordx4 v[8:9], v[0:3], off offset:16
                                        ; implicit-def: $vgpr8_vgpr9
                                        ; implicit-def: $vgpr4
                                        ; implicit-def: $vgpr12
                                        ; implicit-def: $vgpr0
.LBB128_38:
	s_andn2_saveexec_b64 s[0:1], s[0:1]
	s_cbranch_execz .LBB128_8
; %bb.39:
	v_ashrrev_i32_e32 v13, 31, v12
	v_lshlrev_b64 v[10:11], 3, v[12:13]
	s_waitcnt lgkmcnt(0)
	v_mov_b32_e32 v12, s3
	v_add_co_u32_e32 v18, vcc, s2, v10
	v_addc_co_u32_e32 v19, vcc, v12, v11, vcc
	global_load_dwordx4 v[10:13], v[18:19], off
	global_load_dwordx4 v[14:17], v[18:19], off offset:16
	s_waitcnt vmcnt(1)
	v_fmac_f32_e32 v4, v8, v10
	v_fmac_f32_e32 v5, v9, v10
	;; [unrolled: 1-line block ×4, first 2 shown]
	s_waitcnt vmcnt(0)
	v_fmac_f32_e32 v0, v8, v14
	v_fmac_f32_e32 v1, v9, v14
	;; [unrolled: 1-line block ×4, first 2 shown]
	v_fma_f32 v4, -v9, v11, v4
	v_fmac_f32_e32 v5, v8, v11
	v_fma_f32 v6, -v9, v13, v6
	v_fmac_f32_e32 v7, v8, v13
	;; [unrolled: 2-line block ×4, first 2 shown]
	global_store_dwordx4 v[18:19], v[4:7], off
	global_store_dwordx4 v[18:19], v[0:3], off offset:16
	s_endpgm
	.section	.rodata,"a",@progbits
	.p2align	6, 0x0
	.amdhsa_kernel _ZN9rocsparseL18bsrxmvn_4x4_kernelILj128ELj32E21rocsparse_complex_numIfElifS2_S2_EEvT3_20rocsparse_direction_NS_24const_host_device_scalarIT1_EES3_PKS3_PKT2_SC_S9_PKT4_PKT5_S7_PT6_21rocsparse_index_base_b
		.amdhsa_group_segment_fixed_size 0
		.amdhsa_private_segment_fixed_size 0
		.amdhsa_kernarg_size 96
		.amdhsa_user_sgpr_count 6
		.amdhsa_user_sgpr_private_segment_buffer 1
		.amdhsa_user_sgpr_dispatch_ptr 0
		.amdhsa_user_sgpr_queue_ptr 0
		.amdhsa_user_sgpr_kernarg_segment_ptr 1
		.amdhsa_user_sgpr_dispatch_id 0
		.amdhsa_user_sgpr_flat_scratch_init 0
		.amdhsa_user_sgpr_private_segment_size 0
		.amdhsa_uses_dynamic_stack 0
		.amdhsa_system_sgpr_private_segment_wavefront_offset 0
		.amdhsa_system_sgpr_workgroup_id_x 1
		.amdhsa_system_sgpr_workgroup_id_y 0
		.amdhsa_system_sgpr_workgroup_id_z 0
		.amdhsa_system_sgpr_workgroup_info 0
		.amdhsa_system_vgpr_workitem_id 0
		.amdhsa_next_free_vgpr 59
		.amdhsa_next_free_sgpr 18
		.amdhsa_reserve_vcc 1
		.amdhsa_reserve_flat_scratch 0
		.amdhsa_float_round_mode_32 0
		.amdhsa_float_round_mode_16_64 0
		.amdhsa_float_denorm_mode_32 3
		.amdhsa_float_denorm_mode_16_64 3
		.amdhsa_dx10_clamp 1
		.amdhsa_ieee_mode 1
		.amdhsa_fp16_overflow 0
		.amdhsa_exception_fp_ieee_invalid_op 0
		.amdhsa_exception_fp_denorm_src 0
		.amdhsa_exception_fp_ieee_div_zero 0
		.amdhsa_exception_fp_ieee_overflow 0
		.amdhsa_exception_fp_ieee_underflow 0
		.amdhsa_exception_fp_ieee_inexact 0
		.amdhsa_exception_int_div_zero 0
	.end_amdhsa_kernel
	.section	.text._ZN9rocsparseL18bsrxmvn_4x4_kernelILj128ELj32E21rocsparse_complex_numIfElifS2_S2_EEvT3_20rocsparse_direction_NS_24const_host_device_scalarIT1_EES3_PKS3_PKT2_SC_S9_PKT4_PKT5_S7_PT6_21rocsparse_index_base_b,"axG",@progbits,_ZN9rocsparseL18bsrxmvn_4x4_kernelILj128ELj32E21rocsparse_complex_numIfElifS2_S2_EEvT3_20rocsparse_direction_NS_24const_host_device_scalarIT1_EES3_PKS3_PKT2_SC_S9_PKT4_PKT5_S7_PT6_21rocsparse_index_base_b,comdat
.Lfunc_end128:
	.size	_ZN9rocsparseL18bsrxmvn_4x4_kernelILj128ELj32E21rocsparse_complex_numIfElifS2_S2_EEvT3_20rocsparse_direction_NS_24const_host_device_scalarIT1_EES3_PKS3_PKT2_SC_S9_PKT4_PKT5_S7_PT6_21rocsparse_index_base_b, .Lfunc_end128-_ZN9rocsparseL18bsrxmvn_4x4_kernelILj128ELj32E21rocsparse_complex_numIfElifS2_S2_EEvT3_20rocsparse_direction_NS_24const_host_device_scalarIT1_EES3_PKS3_PKT2_SC_S9_PKT4_PKT5_S7_PT6_21rocsparse_index_base_b
                                        ; -- End function
	.set _ZN9rocsparseL18bsrxmvn_4x4_kernelILj128ELj32E21rocsparse_complex_numIfElifS2_S2_EEvT3_20rocsparse_direction_NS_24const_host_device_scalarIT1_EES3_PKS3_PKT2_SC_S9_PKT4_PKT5_S7_PT6_21rocsparse_index_base_b.num_vgpr, 59
	.set _ZN9rocsparseL18bsrxmvn_4x4_kernelILj128ELj32E21rocsparse_complex_numIfElifS2_S2_EEvT3_20rocsparse_direction_NS_24const_host_device_scalarIT1_EES3_PKS3_PKT2_SC_S9_PKT4_PKT5_S7_PT6_21rocsparse_index_base_b.num_agpr, 0
	.set _ZN9rocsparseL18bsrxmvn_4x4_kernelILj128ELj32E21rocsparse_complex_numIfElifS2_S2_EEvT3_20rocsparse_direction_NS_24const_host_device_scalarIT1_EES3_PKS3_PKT2_SC_S9_PKT4_PKT5_S7_PT6_21rocsparse_index_base_b.numbered_sgpr, 18
	.set _ZN9rocsparseL18bsrxmvn_4x4_kernelILj128ELj32E21rocsparse_complex_numIfElifS2_S2_EEvT3_20rocsparse_direction_NS_24const_host_device_scalarIT1_EES3_PKS3_PKT2_SC_S9_PKT4_PKT5_S7_PT6_21rocsparse_index_base_b.num_named_barrier, 0
	.set _ZN9rocsparseL18bsrxmvn_4x4_kernelILj128ELj32E21rocsparse_complex_numIfElifS2_S2_EEvT3_20rocsparse_direction_NS_24const_host_device_scalarIT1_EES3_PKS3_PKT2_SC_S9_PKT4_PKT5_S7_PT6_21rocsparse_index_base_b.private_seg_size, 0
	.set _ZN9rocsparseL18bsrxmvn_4x4_kernelILj128ELj32E21rocsparse_complex_numIfElifS2_S2_EEvT3_20rocsparse_direction_NS_24const_host_device_scalarIT1_EES3_PKS3_PKT2_SC_S9_PKT4_PKT5_S7_PT6_21rocsparse_index_base_b.uses_vcc, 1
	.set _ZN9rocsparseL18bsrxmvn_4x4_kernelILj128ELj32E21rocsparse_complex_numIfElifS2_S2_EEvT3_20rocsparse_direction_NS_24const_host_device_scalarIT1_EES3_PKS3_PKT2_SC_S9_PKT4_PKT5_S7_PT6_21rocsparse_index_base_b.uses_flat_scratch, 0
	.set _ZN9rocsparseL18bsrxmvn_4x4_kernelILj128ELj32E21rocsparse_complex_numIfElifS2_S2_EEvT3_20rocsparse_direction_NS_24const_host_device_scalarIT1_EES3_PKS3_PKT2_SC_S9_PKT4_PKT5_S7_PT6_21rocsparse_index_base_b.has_dyn_sized_stack, 0
	.set _ZN9rocsparseL18bsrxmvn_4x4_kernelILj128ELj32E21rocsparse_complex_numIfElifS2_S2_EEvT3_20rocsparse_direction_NS_24const_host_device_scalarIT1_EES3_PKS3_PKT2_SC_S9_PKT4_PKT5_S7_PT6_21rocsparse_index_base_b.has_recursion, 0
	.set _ZN9rocsparseL18bsrxmvn_4x4_kernelILj128ELj32E21rocsparse_complex_numIfElifS2_S2_EEvT3_20rocsparse_direction_NS_24const_host_device_scalarIT1_EES3_PKS3_PKT2_SC_S9_PKT4_PKT5_S7_PT6_21rocsparse_index_base_b.has_indirect_call, 0
	.section	.AMDGPU.csdata,"",@progbits
; Kernel info:
; codeLenInByte = 6436
; TotalNumSgprs: 22
; NumVgprs: 59
; ScratchSize: 0
; MemoryBound: 0
; FloatMode: 240
; IeeeMode: 1
; LDSByteSize: 0 bytes/workgroup (compile time only)
; SGPRBlocks: 2
; VGPRBlocks: 14
; NumSGPRsForWavesPerEU: 22
; NumVGPRsForWavesPerEU: 59
; Occupancy: 4
; WaveLimiterHint : 1
; COMPUTE_PGM_RSRC2:SCRATCH_EN: 0
; COMPUTE_PGM_RSRC2:USER_SGPR: 6
; COMPUTE_PGM_RSRC2:TRAP_HANDLER: 0
; COMPUTE_PGM_RSRC2:TGID_X_EN: 1
; COMPUTE_PGM_RSRC2:TGID_Y_EN: 0
; COMPUTE_PGM_RSRC2:TGID_Z_EN: 0
; COMPUTE_PGM_RSRC2:TIDIG_COMP_CNT: 0
	.section	.text._ZN9rocsparseL18bsrxmvn_4x4_kernelILj128ELj64E21rocsparse_complex_numIfElifS2_S2_EEvT3_20rocsparse_direction_NS_24const_host_device_scalarIT1_EES3_PKS3_PKT2_SC_S9_PKT4_PKT5_S7_PT6_21rocsparse_index_base_b,"axG",@progbits,_ZN9rocsparseL18bsrxmvn_4x4_kernelILj128ELj64E21rocsparse_complex_numIfElifS2_S2_EEvT3_20rocsparse_direction_NS_24const_host_device_scalarIT1_EES3_PKS3_PKT2_SC_S9_PKT4_PKT5_S7_PT6_21rocsparse_index_base_b,comdat
	.globl	_ZN9rocsparseL18bsrxmvn_4x4_kernelILj128ELj64E21rocsparse_complex_numIfElifS2_S2_EEvT3_20rocsparse_direction_NS_24const_host_device_scalarIT1_EES3_PKS3_PKT2_SC_S9_PKT4_PKT5_S7_PT6_21rocsparse_index_base_b ; -- Begin function _ZN9rocsparseL18bsrxmvn_4x4_kernelILj128ELj64E21rocsparse_complex_numIfElifS2_S2_EEvT3_20rocsparse_direction_NS_24const_host_device_scalarIT1_EES3_PKS3_PKT2_SC_S9_PKT4_PKT5_S7_PT6_21rocsparse_index_base_b
	.p2align	8
	.type	_ZN9rocsparseL18bsrxmvn_4x4_kernelILj128ELj64E21rocsparse_complex_numIfElifS2_S2_EEvT3_20rocsparse_direction_NS_24const_host_device_scalarIT1_EES3_PKS3_PKT2_SC_S9_PKT4_PKT5_S7_PT6_21rocsparse_index_base_b,@function
_ZN9rocsparseL18bsrxmvn_4x4_kernelILj128ELj64E21rocsparse_complex_numIfElifS2_S2_EEvT3_20rocsparse_direction_NS_24const_host_device_scalarIT1_EES3_PKS3_PKT2_SC_S9_PKT4_PKT5_S7_PT6_21rocsparse_index_base_b: ; @_ZN9rocsparseL18bsrxmvn_4x4_kernelILj128ELj64E21rocsparse_complex_numIfElifS2_S2_EEvT3_20rocsparse_direction_NS_24const_host_device_scalarIT1_EES3_PKS3_PKT2_SC_S9_PKT4_PKT5_S7_PT6_21rocsparse_index_base_b
; %bb.0:
	s_load_dwordx2 s[0:1], s[4:5], 0x8
	s_load_dwordx2 s[16:17], s[4:5], 0x58
	s_add_u32 s7, s4, 8
	s_addc_u32 s8, s5, 0
	s_add_u32 s9, s4, 0x48
	s_load_dwordx2 s[2:3], s[4:5], 0x48
	s_addc_u32 s10, s5, 0
	s_waitcnt lgkmcnt(0)
	s_bitcmp1_b32 s17, 0
	s_cselect_b32 s1, s8, s1
	s_cselect_b32 s0, s7, s0
	v_mov_b32_e32 v1, s0
	v_mov_b32_e32 v2, s1
	flat_load_dwordx2 v[10:11], v[1:2]
	s_cselect_b32 s0, s10, s3
	s_cselect_b32 s1, s9, s2
	v_mov_b32_e32 v1, s1
	v_mov_b32_e32 v2, s0
	flat_load_dwordx2 v[8:9], v[1:2]
	s_waitcnt vmcnt(0) lgkmcnt(0)
	v_cmp_eq_f32_e32 vcc, 0, v10
	v_cmp_eq_f32_e64 s[0:1], 0, v11
	s_and_b64 s[8:9], vcc, s[0:1]
	s_mov_b64 s[0:1], -1
	s_and_saveexec_b64 s[2:3], s[8:9]
; %bb.1:
	v_cmp_neq_f32_e32 vcc, 1.0, v8
	v_cmp_neq_f32_e64 s[0:1], 0, v9
	s_or_b64 s[0:1], vcc, s[0:1]
	s_orn2_b64 s[0:1], s[0:1], exec
; %bb.2:
	s_or_b64 exec, exec, s[2:3]
	s_and_saveexec_b64 s[2:3], s[0:1]
	s_cbranch_execz .LBB129_8
; %bb.3:
	s_load_dwordx2 s[8:9], s[4:5], 0x18
	s_load_dwordx2 s[0:1], s[4:5], 0x0
	v_lshrrev_b32_e32 v1, 6, v0
	v_lshl_or_b32 v12, s6, 1, v1
	s_mov_b64 s[2:3], 0
	s_waitcnt lgkmcnt(0)
	s_cmp_lg_u64 s[8:9], 0
	s_cbranch_scc0 .LBB129_9
; %bb.4:
	s_load_dword s6, s[4:5], 0x10
                                        ; implicit-def: $vgpr1
	s_waitcnt lgkmcnt(0)
	v_cmp_gt_i32_e32 vcc, s6, v12
	s_and_saveexec_b64 s[6:7], vcc
	s_xor_b64 s[6:7], exec, s[6:7]
	s_cbranch_execz .LBB129_6
; %bb.5:
	v_ashrrev_i32_e32 v13, 31, v12
	v_lshlrev_b64 v[1:2], 2, v[12:13]
	v_mov_b32_e32 v3, s9
	v_add_co_u32_e32 v1, vcc, s8, v1
	v_addc_co_u32_e32 v2, vcc, v3, v2, vcc
	global_load_dword v1, v[1:2], off
	s_mov_b64 s[2:3], exec
	s_waitcnt vmcnt(0)
	v_subrev_u32_e32 v1, s16, v1
.LBB129_6:
	s_or_b64 exec, exec, s[6:7]
	s_branch .LBB129_10
.LBB129_7:
	v_cmp_gt_i32_e32 vcc, s0, v12
	s_andn2_b64 s[2:3], s[2:3], exec
	s_and_b64 s[6:7], vcc, exec
	s_or_b64 s[2:3], s[2:3], s[6:7]
	s_and_b64 exec, exec, s[2:3]
	s_cbranch_execnz .LBB129_11
.LBB129_8:
	s_endpgm
.LBB129_9:
                                        ; implicit-def: $vgpr1
	s_cbranch_execnz .LBB129_7
.LBB129_10:
	v_mov_b32_e32 v12, v1
	s_and_b64 exec, exec, s[2:3]
	s_cbranch_execz .LBB129_8
.LBB129_11:
	s_load_dwordx8 s[8:15], s[4:5], 0x20
	v_ashrrev_i32_e32 v13, 31, v12
	v_lshlrev_b64 v[1:2], 3, v[12:13]
	v_and_b32_e32 v25, 63, v0
	s_load_dwordx2 s[6:7], s[4:5], 0x40
	s_waitcnt lgkmcnt(0)
	v_mov_b32_e32 v4, s9
	v_add_co_u32_e32 v3, vcc, s8, v1
	v_addc_co_u32_e32 v4, vcc, v4, v2, vcc
	global_load_dwordx2 v[13:14], v[3:4], off
	v_add_co_u32_e32 v3, vcc, 8, v3
	v_addc_co_u32_e32 v4, vcc, 0, v4, vcc
	v_mov_b32_e32 v5, s11
	v_add_co_u32_e32 v1, vcc, s10, v1
	s_cmp_eq_u64 s[10:11], 0
	v_addc_co_u32_e32 v2, vcc, v5, v2, vcc
	s_cselect_b64 vcc, -1, 0
	v_cndmask_b32_e32 v2, v2, v4, vcc
	v_cndmask_b32_e32 v1, v1, v3, vcc
	global_load_dwordx2 v[2:3], v[1:2], off
	v_mov_b32_e32 v7, s15
	s_cmp_eq_u32 s1, 1
	v_mov_b32_e32 v6, 0
	s_waitcnt vmcnt(1)
	v_subrev_co_u32_e32 v0, vcc, s16, v13
	v_subbrev_co_u32_e32 v1, vcc, 0, v14, vcc
	v_add_co_u32_e32 v0, vcc, v0, v25
	v_addc_co_u32_e32 v1, vcc, 0, v1, vcc
	v_lshlrev_b64 v[4:5], 6, v[0:1]
	s_waitcnt vmcnt(0)
	v_subrev_co_u32_e32 v2, vcc, s16, v2
	v_subbrev_co_u32_e32 v3, vcc, 0, v3, vcc
	v_cmp_lt_i64_e64 s[0:1], v[0:1], v[2:3]
	v_add_co_u32_e32 v4, vcc, s14, v4
	v_addc_co_u32_e32 v5, vcc, v7, v5, vcc
	s_cbranch_scc1 .LBB129_23
; %bb.12:
	v_mov_b32_e32 v31, 0
	v_mov_b32_e32 v29, 0
	;; [unrolled: 1-line block ×7, first 2 shown]
	s_and_saveexec_b64 s[8:9], s[0:1]
	s_cbranch_execz .LBB129_22
; %bb.13:
	v_or_b32_e32 v6, 64, v25
	v_subrev_co_u32_e32 v6, vcc, s16, v6
	v_subb_co_u32_e64 v7, s[2:3], 0, 0, vcc
	v_add_co_u32_e32 v6, vcc, v6, v13
	v_addc_co_u32_e32 v7, vcc, v7, v14, vcc
	v_cmp_gt_i64_e32 vcc, v[6:7], v[2:3]
	v_not_b32_e32 v16, v13
	v_cndmask_b32_e32 v7, v3, v7, vcc
	v_cndmask_b32_e32 v6, v2, v6, vcc
	v_sub_co_u32_e32 v17, vcc, s16, v25
	v_not_b32_e32 v15, v14
	v_subb_co_u32_e64 v18, s[2:3], 0, 0, vcc
	v_add_co_u32_e32 v16, vcc, v17, v16
	v_addc_co_u32_e32 v15, vcc, v18, v15, vcc
	v_add_co_u32_e32 v19, vcc, v16, v6
	v_addc_co_u32_e32 v20, vcc, v15, v7, vcc
	v_and_b32_e32 v6, 0xc0, v19
	v_mov_b32_e32 v7, 0
	s_mov_b64 s[2:3], 0xc0
	v_cmp_ne_u64_e32 vcc, s[2:3], v[6:7]
	v_mov_b32_e32 v16, v5
	v_mov_b32_e32 v18, v1
	;; [unrolled: 1-line block ×11, first 2 shown]
	s_and_saveexec_b64 s[10:11], vcc
	s_cbranch_execz .LBB129_17
; %bb.14:
	v_lshlrev_b64 v[15:16], 2, v[0:1]
	v_lshrrev_b32_e32 v6, 6, v19
	v_add_u32_e32 v6, 1, v6
	v_mov_b32_e32 v17, s13
	v_add_co_u32_e32 v21, vcc, s12, v15
	v_and_b32_e32 v7, 3, v6
	v_addc_co_u32_e32 v22, vcc, v17, v16, vcc
	v_sub_co_u32_e32 v23, vcc, 0, v7
	v_mov_b32_e32 v18, v1
	v_mov_b32_e32 v16, v5
	v_mov_b32_e32 v6, 0
	s_mov_b64 s[14:15], 0
	v_subb_co_u32_e64 v24, s[2:3], 0, 0, vcc
	s_movk_i32 s17, 0x1000
	v_mov_b32_e32 v32, s7
	v_mov_b32_e32 v17, v0
	;; [unrolled: 1-line block ×10, first 2 shown]
.LBB129_15:                             ; =>This Inner Loop Header: Depth=1
	global_load_dword v49, v[21:22], off
	global_load_dwordx4 v[33:36], v[15:16], off offset:16
	global_load_dwordx4 v[37:40], v[15:16], off
	global_load_dwordx4 v[41:44], v[15:16], off offset:32
	global_load_dwordx4 v[45:48], v[15:16], off offset:48
	s_waitcnt vmcnt(4)
	v_subrev_u32_e32 v49, s16, v49
	v_lshlrev_b32_e32 v49, 2, v49
	v_ashrrev_i32_e32 v50, 31, v49
	v_lshlrev_b64 v[49:50], 3, v[49:50]
	v_add_co_u32_e32 v57, vcc, s6, v49
	v_addc_co_u32_e32 v58, vcc, v32, v50, vcc
	global_load_dwordx4 v[49:52], v[57:58], off
	global_load_dwordx4 v[53:56], v[57:58], off offset:16
	v_add_co_u32_e32 v15, vcc, s17, v15
	s_mov_b64 s[2:3], vcc
	v_add_co_u32_e32 v17, vcc, 64, v17
	v_addc_co_u32_e32 v18, vcc, 0, v18, vcc
	v_add_co_u32_e32 v23, vcc, 1, v23
	v_addc_co_u32_e32 v24, vcc, 0, v24, vcc
	v_addc_co_u32_e64 v16, s[2:3], 0, v16, s[2:3]
	v_cmp_eq_u64_e64 s[2:3], 0, v[23:24]
	v_add_co_u32_e32 v21, vcc, 0x100, v21
	v_addc_co_u32_e32 v22, vcc, 0, v22, vcc
	s_or_b64 s[14:15], s[2:3], s[14:15]
	s_waitcnt vmcnt(1)
	v_fmac_f32_e32 v31, v37, v49
	v_fmac_f32_e32 v6, 0, v49
	;; [unrolled: 1-line block ×32, first 2 shown]
	s_waitcnt vmcnt(0)
	v_fmac_f32_e32 v31, v39, v53
	v_fmac_f32_e32 v6, 0, v53
	;; [unrolled: 1-line block ×32, first 2 shown]
	s_andn2_b64 exec, exec, s[14:15]
	s_cbranch_execnz .LBB129_15
; %bb.16:
	s_or_b64 exec, exec, s[14:15]
.LBB129_17:
	s_or_b64 exec, exec, s[10:11]
	s_mov_b64 s[2:3], 0xbf
	v_cmp_lt_u64_e32 vcc, s[2:3], v[19:20]
	s_and_saveexec_b64 s[10:11], vcc
	s_cbranch_execz .LBB129_21
; %bb.18:
	v_lshlrev_b64 v[19:20], 2, v[17:18]
	v_mov_b32_e32 v21, s13
	v_add_co_u32_e32 v19, vcc, s12, v19
	v_addc_co_u32_e32 v20, vcc, v21, v20, vcc
	v_add_co_u32_e32 v19, vcc, 0x200, v19
	v_addc_co_u32_e32 v20, vcc, 0, v20, vcc
	s_mov_b64 s[14:15], 0
	v_mov_b32_e32 v21, s7
	s_movk_i32 s17, 0x1000
	s_movk_i32 s18, 0x2000
	;; [unrolled: 1-line block ×3, first 2 shown]
.LBB129_19:                             ; =>This Inner Loop Header: Depth=1
	global_load_dword v22, v[19:20], off offset:-512
	global_load_dwordx4 v[32:35], v[15:16], off offset:48
	global_load_dwordx4 v[36:39], v[15:16], off offset:32
	;; [unrolled: 1-line block ×3, first 2 shown]
	global_load_dwordx4 v[44:47], v[15:16], off
	s_waitcnt vmcnt(4)
	v_subrev_u32_e32 v22, s16, v22
	v_lshlrev_b32_e32 v22, 2, v22
	v_ashrrev_i32_e32 v23, 31, v22
	v_lshlrev_b64 v[22:23], 3, v[22:23]
	v_add_co_u32_e32 v22, vcc, s6, v22
	v_addc_co_u32_e32 v23, vcc, v21, v23, vcc
	global_load_dwordx4 v[48:51], v[22:23], off offset:16
	global_load_dwordx4 v[52:55], v[22:23], off
	global_load_dword v24, v[19:20], off offset:-256
	v_add_co_u32_e32 v22, vcc, s17, v15
	v_addc_co_u32_e32 v23, vcc, 0, v16, vcc
	v_add_co_u32_e32 v56, vcc, s18, v15
	v_addc_co_u32_e32 v57, vcc, 0, v16, vcc
	s_waitcnt vmcnt(1)
	v_fmac_f32_e32 v6, 0, v52
	v_fmac_f32_e32 v29, 0, v52
	;; [unrolled: 1-line block ×36, first 2 shown]
	s_waitcnt vmcnt(0)
	v_subrev_u32_e32 v24, s16, v24
	v_fmac_f32_e32 v31, v46, v48
	v_fmac_f32_e32 v6, v46, v49
	;; [unrolled: 1-line block ×8, first 2 shown]
	v_lshlrev_b32_e32 v48, 2, v24
	v_fmac_f32_e32 v31, 0x80000000, v49
	v_fmac_f32_e32 v6, 0, v50
	;; [unrolled: 1-line block ×8, first 2 shown]
	v_ashrrev_i32_e32 v49, 31, v48
	v_fmac_f32_e32 v31, v47, v50
	v_fmac_f32_e32 v6, v47, v51
	;; [unrolled: 1-line block ×8, first 2 shown]
	global_load_dwordx4 v[32:35], v[56:57], off offset:-4096
	global_load_dwordx4 v[36:39], v[22:23], off offset:48
	global_load_dwordx4 v[40:43], v[22:23], off offset:32
	;; [unrolled: 1-line block ×3, first 2 shown]
	v_lshlrev_b64 v[22:23], 3, v[48:49]
	v_fmac_f32_e32 v31, 0x80000000, v51
	v_add_co_u32_e32 v22, vcc, s6, v22
	v_addc_co_u32_e32 v23, vcc, v21, v23, vcc
	v_fmac_f32_e32 v30, 0x80000000, v51
	v_fmac_f32_e32 v28, 0x80000000, v51
	;; [unrolled: 1-line block ×3, first 2 shown]
	global_load_dwordx4 v[48:51], v[22:23], off offset:16
	global_load_dwordx4 v[52:55], v[22:23], off
	s_waitcnt vmcnt(0)
	v_fmac_f32_e32 v31, v32, v52
	global_load_dword v22, v[19:20], off
	v_fmac_f32_e32 v6, 0, v52
	v_fmac_f32_e32 v30, v44, v52
	;; [unrolled: 1-line block ×63, first 2 shown]
	global_load_dwordx4 v[32:35], v[56:57], off
	global_load_dwordx4 v[36:39], v[56:57], off offset:48
	global_load_dwordx4 v[40:43], v[56:57], off offset:32
	;; [unrolled: 1-line block ×3, first 2 shown]
	s_waitcnt vmcnt(4)
	v_subrev_u32_e32 v22, s16, v22
	v_lshlrev_b32_e32 v22, 2, v22
	v_ashrrev_i32_e32 v23, 31, v22
	v_lshlrev_b64 v[22:23], 3, v[22:23]
	v_add_co_u32_e32 v22, vcc, s6, v22
	v_addc_co_u32_e32 v23, vcc, v21, v23, vcc
	global_load_dwordx4 v[48:51], v[22:23], off offset:16
	global_load_dwordx4 v[52:55], v[22:23], off
	v_add_co_u32_e32 v23, vcc, s19, v15
	global_load_dword v22, v[19:20], off offset:256
	v_addc_co_u32_e32 v24, vcc, 0, v16, vcc
	s_waitcnt vmcnt(1)
	v_fmac_f32_e32 v6, 0, v52
	v_fmac_f32_e32 v29, 0, v52
	;; [unrolled: 1-line block ×44, first 2 shown]
	s_waitcnt vmcnt(0)
	v_subrev_u32_e32 v22, s16, v22
	v_fmac_f32_e32 v31, 0x80000000, v49
	v_fmac_f32_e32 v6, 0, v50
	;; [unrolled: 1-line block ×8, first 2 shown]
	v_lshlrev_b32_e32 v22, 2, v22
	v_fmac_f32_e32 v31, v35, v50
	v_fmac_f32_e32 v6, v35, v51
	;; [unrolled: 1-line block ×8, first 2 shown]
	global_load_dwordx4 v[32:35], v[23:24], off
	global_load_dwordx4 v[36:39], v[23:24], off offset:48
	global_load_dwordx4 v[40:43], v[23:24], off offset:32
	;; [unrolled: 1-line block ×3, first 2 shown]
	v_ashrrev_i32_e32 v23, 31, v22
	v_lshlrev_b64 v[22:23], 3, v[22:23]
	v_fmac_f32_e32 v31, 0x80000000, v51
	v_add_co_u32_e32 v22, vcc, s6, v22
	v_addc_co_u32_e32 v23, vcc, v21, v23, vcc
	v_fmac_f32_e32 v30, 0x80000000, v51
	v_fmac_f32_e32 v28, 0x80000000, v51
	;; [unrolled: 1-line block ×3, first 2 shown]
	global_load_dwordx4 v[48:51], v[22:23], off offset:16
	global_load_dwordx4 v[52:55], v[22:23], off
	v_add_co_u32_e32 v17, vcc, 0x100, v17
	v_addc_co_u32_e32 v18, vcc, 0, v18, vcc
	v_add_co_u32_e32 v19, vcc, 0x400, v19
	v_addc_co_u32_e32 v20, vcc, 0, v20, vcc
	v_cmp_ge_i64_e64 s[2:3], v[17:18], v[2:3]
	v_add_co_u32_e32 v15, vcc, 0x4000, v15
	v_addc_co_u32_e32 v16, vcc, 0, v16, vcc
	s_or_b64 s[14:15], s[2:3], s[14:15]
	s_waitcnt vmcnt(0)
	v_fmac_f32_e32 v31, v32, v52
	v_fmac_f32_e32 v6, 0, v52
	;; [unrolled: 1-line block ×64, first 2 shown]
	s_andn2_b64 exec, exec, s[14:15]
	s_cbranch_execnz .LBB129_19
; %bb.20:
	s_or_b64 exec, exec, s[14:15]
.LBB129_21:
	s_or_b64 exec, exec, s[10:11]
.LBB129_22:
	s_or_b64 exec, exec, s[8:9]
	s_cbranch_execz .LBB129_24
	s_branch .LBB129_35
.LBB129_23:
                                        ; implicit-def: $vgpr6
                                        ; implicit-def: $vgpr31
                                        ; implicit-def: $vgpr29
                                        ; implicit-def: $vgpr30
                                        ; implicit-def: $vgpr27
                                        ; implicit-def: $vgpr28
                                        ; implicit-def: $vgpr26
                                        ; implicit-def: $vgpr7
.LBB129_24:
	v_mov_b32_e32 v6, 0
	v_mov_b32_e32 v31, 0
	;; [unrolled: 1-line block ×8, first 2 shown]
	s_and_saveexec_b64 s[2:3], s[0:1]
	s_cbranch_execz .LBB129_34
; %bb.25:
	v_or_b32_e32 v6, 64, v25
	v_subrev_co_u32_e32 v6, vcc, s16, v6
	v_subb_co_u32_e64 v7, s[0:1], 0, 0, vcc
	v_add_co_u32_e32 v6, vcc, v6, v13
	v_addc_co_u32_e32 v7, vcc, v7, v14, vcc
	v_cmp_gt_i64_e32 vcc, v[6:7], v[2:3]
	v_not_b32_e32 v13, v13
	v_cndmask_b32_e32 v7, v3, v7, vcc
	v_cndmask_b32_e32 v6, v2, v6, vcc
	v_sub_co_u32_e32 v15, vcc, s16, v25
	v_not_b32_e32 v14, v14
	v_subb_co_u32_e64 v16, s[0:1], 0, 0, vcc
	v_add_co_u32_e32 v13, vcc, v15, v13
	v_addc_co_u32_e32 v14, vcc, v16, v14, vcc
	v_add_co_u32_e32 v13, vcc, v13, v6
	v_addc_co_u32_e32 v14, vcc, v14, v7, vcc
	v_and_b32_e32 v6, 0xc0, v13
	v_mov_b32_e32 v7, 0
	s_mov_b64 s[0:1], 0xc0
	v_cmp_ne_u64_e32 vcc, s[0:1], v[6:7]
	v_mov_b32_e32 v26, v7
	v_mov_b32_e32 v28, v7
	;; [unrolled: 1-line block ×7, first 2 shown]
	s_and_saveexec_b64 s[8:9], vcc
	s_cbranch_execz .LBB129_29
; %bb.26:
	v_lshlrev_b64 v[15:16], 2, v[0:1]
	v_lshrrev_b32_e32 v6, 6, v13
	v_add_u32_e32 v6, 1, v6
	v_mov_b32_e32 v17, s13
	v_add_co_u32_e32 v15, vcc, s12, v15
	v_and_b32_e32 v7, 3, v6
	v_addc_co_u32_e32 v16, vcc, v17, v16, vcc
	v_sub_co_u32_e32 v17, vcc, 0, v7
	v_mov_b32_e32 v6, 0
	s_mov_b64 s[10:11], 0
	v_subb_co_u32_e64 v18, s[0:1], 0, 0, vcc
	s_movk_i32 s14, 0x1000
	v_mov_b32_e32 v19, s7
	v_mov_b32_e32 v31, 0
	;; [unrolled: 1-line block ×8, first 2 shown]
.LBB129_27:                             ; =>This Inner Loop Header: Depth=1
	global_load_dword v24, v[15:16], off
	global_load_dwordx4 v[20:23], v[4:5], off offset:32
	global_load_dwordx4 v[32:35], v[4:5], off offset:16
	global_load_dwordx4 v[36:39], v[4:5], off
	v_add_co_u32_e64 v0, s[0:1], 64, v0
	v_addc_co_u32_e64 v1, s[0:1], 0, v1, s[0:1]
	v_add_co_u32_e64 v17, s[0:1], 1, v17
	v_addc_co_u32_e64 v18, s[0:1], 0, v18, s[0:1]
	v_cmp_eq_u64_e64 s[0:1], 0, v[17:18]
	s_or_b64 s[10:11], s[0:1], s[10:11]
	s_waitcnt vmcnt(3)
	v_subrev_u32_e32 v24, s16, v24
	v_lshlrev_b32_e32 v40, 2, v24
	v_ashrrev_i32_e32 v41, 31, v40
	v_lshlrev_b64 v[40:41], 3, v[40:41]
	v_add_co_u32_e32 v52, vcc, s6, v40
	v_addc_co_u32_e32 v53, vcc, v19, v41, vcc
	global_load_dwordx4 v[40:43], v[52:53], off
	global_load_dwordx4 v[44:47], v[52:53], off offset:16
	global_load_dwordx4 v[48:51], v[4:5], off offset:48
	v_add_co_u32_e32 v4, vcc, s14, v4
	v_addc_co_u32_e32 v5, vcc, 0, v5, vcc
	v_add_co_u32_e32 v15, vcc, 0x100, v15
	v_addc_co_u32_e32 v16, vcc, 0, v16, vcc
	s_waitcnt vmcnt(2)
	v_fmac_f32_e32 v31, v36, v40
	v_fmac_f32_e32 v6, 0, v40
	;; [unrolled: 1-line block ×32, first 2 shown]
	s_waitcnt vmcnt(1)
	v_fmac_f32_e32 v31, v20, v44
	v_fmac_f32_e32 v6, 0, v44
	;; [unrolled: 1-line block ×16, first 2 shown]
	s_waitcnt vmcnt(0)
	v_fmac_f32_e32 v31, v48, v46
	v_fmac_f32_e32 v6, 0, v46
	v_fmac_f32_e32 v30, v49, v46
	v_fmac_f32_e32 v29, 0, v46
	v_fmac_f32_e32 v28, v50, v46
	v_fmac_f32_e32 v27, 0, v46
	v_fmac_f32_e32 v7, v51, v46
	v_fmac_f32_e32 v26, 0, v46
	v_fmac_f32_e32 v31, 0x80000000, v47
	v_fmac_f32_e32 v6, v48, v47
	v_fmac_f32_e32 v30, 0x80000000, v47
	v_fmac_f32_e32 v29, v49, v47
	v_fmac_f32_e32 v28, 0x80000000, v47
	v_fmac_f32_e32 v27, v50, v47
	v_fmac_f32_e32 v7, 0x80000000, v47
	v_fmac_f32_e32 v26, v51, v47
	s_andn2_b64 exec, exec, s[10:11]
	s_cbranch_execnz .LBB129_27
; %bb.28:
	s_or_b64 exec, exec, s[10:11]
.LBB129_29:
	s_or_b64 exec, exec, s[8:9]
	s_mov_b64 s[0:1], 0xbf
	v_cmp_lt_u64_e32 vcc, s[0:1], v[13:14]
	s_and_saveexec_b64 s[8:9], vcc
	s_cbranch_execz .LBB129_33
; %bb.30:
	v_lshlrev_b64 v[13:14], 2, v[0:1]
	v_mov_b32_e32 v15, s13
	v_add_co_u32_e32 v13, vcc, s12, v13
	v_addc_co_u32_e32 v14, vcc, v15, v14, vcc
	v_add_co_u32_e32 v13, vcc, 0x200, v13
	v_addc_co_u32_e32 v14, vcc, 0, v14, vcc
	s_mov_b64 s[10:11], 0
	v_mov_b32_e32 v15, s7
	s_movk_i32 s7, 0x1000
	s_movk_i32 s12, 0x2000
	;; [unrolled: 1-line block ×3, first 2 shown]
.LBB129_31:                             ; =>This Inner Loop Header: Depth=1
	global_load_dword v16, v[13:14], off offset:-512
	s_waitcnt vmcnt(0)
	v_subrev_u32_e32 v16, s16, v16
	v_lshlrev_b32_e32 v40, 2, v16
	v_ashrrev_i32_e32 v41, 31, v40
	v_lshlrev_b64 v[40:41], 3, v[40:41]
	global_load_dwordx4 v[16:19], v[4:5], off offset:48
	global_load_dwordx4 v[20:23], v[4:5], off offset:32
	global_load_dwordx4 v[32:35], v[4:5], off offset:16
	global_load_dwordx4 v[36:39], v[4:5], off
	v_add_co_u32_e32 v48, vcc, s6, v40
	v_addc_co_u32_e32 v49, vcc, v15, v41, vcc
	global_load_dwordx4 v[40:43], v[48:49], off offset:16
	global_load_dwordx4 v[44:47], v[48:49], off
	s_waitcnt vmcnt(0)
	v_fmac_f32_e32 v6, 0, v44
	v_fmac_f32_e32 v31, v36, v44
	;; [unrolled: 1-line block ×15, first 2 shown]
	global_load_dword v16, v[13:14], off offset:-256
	v_fmac_f32_e32 v30, v37, v44
	v_fmac_f32_e32 v29, 0, v44
	;; [unrolled: 1-line block ×30, first 2 shown]
	v_add_co_u32_e32 v40, vcc, s7, v4
	v_fmac_f32_e32 v30, 0x80000000, v41
	v_fmac_f32_e32 v29, v21, v41
	;; [unrolled: 1-line block ×6, first 2 shown]
	v_addc_co_u32_e32 v41, vcc, 0, v5, vcc
	v_fmac_f32_e32 v30, v17, v42
	v_fmac_f32_e32 v29, 0, v42
	;; [unrolled: 1-line block ×6, first 2 shown]
	v_add_co_u32_e32 v48, vcc, s12, v4
	v_fmac_f32_e32 v31, 0x80000000, v43
	v_fmac_f32_e32 v30, 0x80000000, v43
	;; [unrolled: 1-line block ×7, first 2 shown]
	v_addc_co_u32_e32 v49, vcc, 0, v5, vcc
	s_waitcnt vmcnt(0)
	v_subrev_u32_e32 v16, s16, v16
	v_lshlrev_b32_e32 v42, 2, v16
	v_ashrrev_i32_e32 v43, 31, v42
	global_load_dwordx4 v[16:19], v[48:49], off offset:-4096
	global_load_dwordx4 v[20:23], v[40:41], off offset:48
	global_load_dwordx4 v[32:35], v[40:41], off offset:32
	;; [unrolled: 1-line block ×3, first 2 shown]
	v_lshlrev_b64 v[40:41], 3, v[42:43]
	v_add_co_u32_e32 v50, vcc, s6, v40
	v_addc_co_u32_e32 v51, vcc, v15, v41, vcc
	global_load_dwordx4 v[40:43], v[50:51], off offset:16
	global_load_dwordx4 v[44:47], v[50:51], off
	s_waitcnt vmcnt(0)
	v_fmac_f32_e32 v6, 0, v44
	v_fmac_f32_e32 v31, v16, v44
	;; [unrolled: 1-line block ×3, first 2 shown]
	global_load_dword v16, v[13:14], off
	v_fmac_f32_e32 v30, v17, v44
	v_fmac_f32_e32 v29, 0, v44
	;; [unrolled: 1-line block ×61, first 2 shown]
	s_waitcnt vmcnt(0)
	v_subrev_u32_e32 v16, s16, v16
	v_lshlrev_b32_e32 v40, 2, v16
	v_ashrrev_i32_e32 v41, 31, v40
	v_lshlrev_b64 v[40:41], 3, v[40:41]
	global_load_dwordx4 v[16:19], v[48:49], off
	global_load_dwordx4 v[20:23], v[48:49], off offset:48
	global_load_dwordx4 v[32:35], v[48:49], off offset:32
	;; [unrolled: 1-line block ×3, first 2 shown]
	v_add_co_u32_e32 v48, vcc, s6, v40
	v_addc_co_u32_e32 v49, vcc, v15, v41, vcc
	global_load_dwordx4 v[40:43], v[48:49], off offset:16
	global_load_dwordx4 v[44:47], v[48:49], off
	s_waitcnt vmcnt(0)
	v_fmac_f32_e32 v6, 0, v44
	v_fmac_f32_e32 v31, v16, v44
	;; [unrolled: 1-line block ×3, first 2 shown]
	global_load_dword v16, v[13:14], off offset:256
	v_fmac_f32_e32 v30, v17, v44
	v_fmac_f32_e32 v29, 0, v44
	;; [unrolled: 1-line block ×45, first 2 shown]
	v_add_co_u32_e32 v41, vcc, s13, v4
	v_fmac_f32_e32 v31, v20, v42
	v_fmac_f32_e32 v6, 0, v42
	v_fmac_f32_e32 v30, v21, v42
	v_fmac_f32_e32 v29, 0, v42
	v_fmac_f32_e32 v28, v22, v42
	v_fmac_f32_e32 v27, 0, v42
	v_fmac_f32_e32 v7, v23, v42
	v_fmac_f32_e32 v26, 0, v42
	v_addc_co_u32_e32 v42, vcc, 0, v5, vcc
	v_fmac_f32_e32 v6, v20, v43
	v_fmac_f32_e32 v29, v21, v43
	;; [unrolled: 1-line block ×8, first 2 shown]
	s_waitcnt vmcnt(0)
	v_subrev_u32_e32 v16, s16, v16
	v_lshlrev_b32_e32 v40, 2, v16
	global_load_dwordx4 v[16:19], v[41:42], off
	global_load_dwordx4 v[20:23], v[41:42], off offset:48
	global_load_dwordx4 v[32:35], v[41:42], off offset:32
	;; [unrolled: 1-line block ×3, first 2 shown]
	v_ashrrev_i32_e32 v41, 31, v40
	v_lshlrev_b64 v[40:41], 3, v[40:41]
	v_add_co_u32_e32 v48, vcc, s6, v40
	v_addc_co_u32_e32 v49, vcc, v15, v41, vcc
	global_load_dwordx4 v[40:43], v[48:49], off offset:16
	global_load_dwordx4 v[44:47], v[48:49], off
	v_add_co_u32_e32 v0, vcc, 0x100, v0
	v_addc_co_u32_e32 v1, vcc, 0, v1, vcc
	v_add_co_u32_e32 v13, vcc, 0x400, v13
	v_addc_co_u32_e32 v14, vcc, 0, v14, vcc
	v_cmp_ge_i64_e64 s[0:1], v[0:1], v[2:3]
	v_add_co_u32_e32 v4, vcc, 0x4000, v4
	v_addc_co_u32_e32 v5, vcc, 0, v5, vcc
	s_or_b64 s[10:11], s[0:1], s[10:11]
	s_waitcnt vmcnt(0)
	v_fmac_f32_e32 v31, v16, v44
	v_fmac_f32_e32 v6, 0, v44
	;; [unrolled: 1-line block ×64, first 2 shown]
	s_andn2_b64 exec, exec, s[10:11]
	s_cbranch_execnz .LBB129_31
; %bb.32:
	s_or_b64 exec, exec, s[10:11]
.LBB129_33:
	s_or_b64 exec, exec, s[8:9]
.LBB129_34:
	s_or_b64 exec, exec, s[2:3]
.LBB129_35:
	v_mov_b32_dpp v2, v6 row_shr:1 row_mask:0xf bank_mask:0xf
	v_mov_b32_dpp v0, v31 row_shr:1 row_mask:0xf bank_mask:0xf
	v_add_f32_e32 v2, v6, v2
	v_mov_b32_dpp v4, v30 row_shr:1 row_mask:0xf bank_mask:0xf
	v_mov_b32_dpp v6, v29 row_shr:1 row_mask:0xf bank_mask:0xf
	;; [unrolled: 1-line block ×6, first 2 shown]
	v_add_f32_e32 v0, v31, v0
	v_add_f32_e32 v4, v30, v4
	v_add_f32_e32 v6, v29, v6
	v_add_f32_e32 v14, v28, v14
	v_add_f32_e32 v16, v27, v16
	v_add_f32_e32 v7, v7, v18
	v_add_f32_e32 v19, v26, v19
	v_mov_b32_dpp v1, v0 row_shr:2 row_mask:0xf bank_mask:0xf
	v_mov_b32_dpp v3, v2 row_shr:2 row_mask:0xf bank_mask:0xf
	v_mov_b32_dpp v5, v4 row_shr:2 row_mask:0xf bank_mask:0xf
	v_mov_b32_dpp v13, v6 row_shr:2 row_mask:0xf bank_mask:0xf
	v_mov_b32_dpp v15, v14 row_shr:2 row_mask:0xf bank_mask:0xf
	v_mov_b32_dpp v17, v16 row_shr:2 row_mask:0xf bank_mask:0xf
	v_mov_b32_dpp v18, v7 row_shr:2 row_mask:0xf bank_mask:0xf
	v_mov_b32_dpp v20, v19 row_shr:2 row_mask:0xf bank_mask:0xf
	v_add_f32_e32 v0, v0, v1
	v_add_f32_e32 v2, v2, v3
	v_add_f32_e32 v4, v4, v5
	v_add_f32_e32 v6, v6, v13
	v_add_f32_e32 v14, v14, v15
	v_add_f32_e32 v16, v16, v17
	v_add_f32_e32 v7, v7, v18
	v_add_f32_e32 v19, v19, v20
	v_mov_b32_dpp v1, v0 row_shr:4 row_mask:0xf bank_mask:0xe
	v_mov_b32_dpp v3, v2 row_shr:4 row_mask:0xf bank_mask:0xe
	v_mov_b32_dpp v5, v4 row_shr:4 row_mask:0xf bank_mask:0xe
	v_mov_b32_dpp v13, v6 row_shr:4 row_mask:0xf bank_mask:0xe
	v_mov_b32_dpp v15, v14 row_shr:4 row_mask:0xf bank_mask:0xe
	v_mov_b32_dpp v17, v16 row_shr:4 row_mask:0xf bank_mask:0xe
	v_mov_b32_dpp v18, v7 row_shr:4 row_mask:0xf bank_mask:0xe
	v_mov_b32_dpp v20, v19 row_shr:4 row_mask:0xf bank_mask:0xe
	v_add_f32_e32 v0, v0, v1
	;; [unrolled: 16-line block ×3, first 2 shown]
	v_add_f32_e32 v2, v2, v3
	v_add_f32_e32 v4, v4, v5
	v_add_f32_e32 v6, v6, v13
	v_add_f32_e32 v14, v14, v15
	v_add_f32_e32 v16, v16, v17
	v_add_f32_e32 v7, v7, v18
	v_add_f32_e32 v19, v19, v20
	v_mov_b32_dpp v1, v0 row_bcast:15 row_mask:0xa bank_mask:0xf
	v_mov_b32_dpp v3, v2 row_bcast:15 row_mask:0xa bank_mask:0xf
	;; [unrolled: 1-line block ×8, first 2 shown]
	v_add_f32_e32 v0, v0, v1
	v_add_f32_e32 v2, v2, v3
	;; [unrolled: 1-line block ×8, first 2 shown]
	v_mov_b32_dpp v1, v0 row_bcast:31 row_mask:0xc bank_mask:0xf
	v_mov_b32_dpp v3, v2 row_bcast:31 row_mask:0xc bank_mask:0xf
	;; [unrolled: 1-line block ×8, first 2 shown]
	v_cmp_eq_u32_e32 vcc, 63, v25
	s_and_b64 exec, exec, vcc
	s_cbranch_execz .LBB129_8
; %bb.36:
	s_load_dwordx2 s[2:3], s[4:5], 0x50
	v_add_f32_e32 v21, v0, v1
	v_add_f32_e32 v0, v2, v3
	;; [unrolled: 1-line block ×8, first 2 shown]
	v_cmp_eq_f32_e32 vcc, 0, v8
	v_cmp_eq_f32_e64 s[0:1], 0, v9
	v_mul_f32_e64 v4, v0, -v11
	v_mul_f32_e32 v5, v10, v0
	v_mul_f32_e64 v6, v1, -v11
	v_mul_f32_e32 v7, v10, v1
	;; [unrolled: 2-line block ×4, first 2 shown]
	s_and_b64 s[0:1], vcc, s[0:1]
	v_fmac_f32_e32 v4, v10, v21
	v_fmac_f32_e32 v5, v11, v21
	v_lshlrev_b32_e32 v12, 2, v12
	v_fmac_f32_e32 v6, v10, v22
	v_fmac_f32_e32 v7, v11, v22
	;; [unrolled: 1-line block ×6, first 2 shown]
	s_and_saveexec_b64 s[4:5], s[0:1]
	s_xor_b64 s[0:1], exec, s[4:5]
	s_cbranch_execz .LBB129_38
; %bb.37:
	v_ashrrev_i32_e32 v13, 31, v12
	v_lshlrev_b64 v[8:9], 3, v[12:13]
	s_waitcnt lgkmcnt(0)
	v_mov_b32_e32 v10, s3
	v_add_co_u32_e32 v8, vcc, s2, v8
	v_addc_co_u32_e32 v9, vcc, v10, v9, vcc
	global_store_dwordx4 v[8:9], v[4:7], off
	global_store_dwordx4 v[8:9], v[0:3], off offset:16
                                        ; implicit-def: $vgpr8_vgpr9
                                        ; implicit-def: $vgpr4
                                        ; implicit-def: $vgpr12
                                        ; implicit-def: $vgpr0
.LBB129_38:
	s_andn2_saveexec_b64 s[0:1], s[0:1]
	s_cbranch_execz .LBB129_8
; %bb.39:
	v_ashrrev_i32_e32 v13, 31, v12
	v_lshlrev_b64 v[10:11], 3, v[12:13]
	s_waitcnt lgkmcnt(0)
	v_mov_b32_e32 v12, s3
	v_add_co_u32_e32 v18, vcc, s2, v10
	v_addc_co_u32_e32 v19, vcc, v12, v11, vcc
	global_load_dwordx4 v[10:13], v[18:19], off
	global_load_dwordx4 v[14:17], v[18:19], off offset:16
	s_waitcnt vmcnt(1)
	v_fmac_f32_e32 v4, v8, v10
	v_fmac_f32_e32 v5, v9, v10
	v_fmac_f32_e32 v6, v8, v12
	v_fmac_f32_e32 v7, v9, v12
	s_waitcnt vmcnt(0)
	v_fmac_f32_e32 v0, v8, v14
	v_fmac_f32_e32 v1, v9, v14
	;; [unrolled: 1-line block ×4, first 2 shown]
	v_fma_f32 v4, -v9, v11, v4
	v_fmac_f32_e32 v5, v8, v11
	v_fma_f32 v6, -v9, v13, v6
	v_fmac_f32_e32 v7, v8, v13
	;; [unrolled: 2-line block ×4, first 2 shown]
	global_store_dwordx4 v[18:19], v[4:7], off
	global_store_dwordx4 v[18:19], v[0:3], off offset:16
	s_endpgm
	.section	.rodata,"a",@progbits
	.p2align	6, 0x0
	.amdhsa_kernel _ZN9rocsparseL18bsrxmvn_4x4_kernelILj128ELj64E21rocsparse_complex_numIfElifS2_S2_EEvT3_20rocsparse_direction_NS_24const_host_device_scalarIT1_EES3_PKS3_PKT2_SC_S9_PKT4_PKT5_S7_PT6_21rocsparse_index_base_b
		.amdhsa_group_segment_fixed_size 0
		.amdhsa_private_segment_fixed_size 0
		.amdhsa_kernarg_size 96
		.amdhsa_user_sgpr_count 6
		.amdhsa_user_sgpr_private_segment_buffer 1
		.amdhsa_user_sgpr_dispatch_ptr 0
		.amdhsa_user_sgpr_queue_ptr 0
		.amdhsa_user_sgpr_kernarg_segment_ptr 1
		.amdhsa_user_sgpr_dispatch_id 0
		.amdhsa_user_sgpr_flat_scratch_init 0
		.amdhsa_user_sgpr_private_segment_size 0
		.amdhsa_uses_dynamic_stack 0
		.amdhsa_system_sgpr_private_segment_wavefront_offset 0
		.amdhsa_system_sgpr_workgroup_id_x 1
		.amdhsa_system_sgpr_workgroup_id_y 0
		.amdhsa_system_sgpr_workgroup_id_z 0
		.amdhsa_system_sgpr_workgroup_info 0
		.amdhsa_system_vgpr_workitem_id 0
		.amdhsa_next_free_vgpr 59
		.amdhsa_next_free_sgpr 20
		.amdhsa_reserve_vcc 1
		.amdhsa_reserve_flat_scratch 0
		.amdhsa_float_round_mode_32 0
		.amdhsa_float_round_mode_16_64 0
		.amdhsa_float_denorm_mode_32 3
		.amdhsa_float_denorm_mode_16_64 3
		.amdhsa_dx10_clamp 1
		.amdhsa_ieee_mode 1
		.amdhsa_fp16_overflow 0
		.amdhsa_exception_fp_ieee_invalid_op 0
		.amdhsa_exception_fp_denorm_src 0
		.amdhsa_exception_fp_ieee_div_zero 0
		.amdhsa_exception_fp_ieee_overflow 0
		.amdhsa_exception_fp_ieee_underflow 0
		.amdhsa_exception_fp_ieee_inexact 0
		.amdhsa_exception_int_div_zero 0
	.end_amdhsa_kernel
	.section	.text._ZN9rocsparseL18bsrxmvn_4x4_kernelILj128ELj64E21rocsparse_complex_numIfElifS2_S2_EEvT3_20rocsparse_direction_NS_24const_host_device_scalarIT1_EES3_PKS3_PKT2_SC_S9_PKT4_PKT5_S7_PT6_21rocsparse_index_base_b,"axG",@progbits,_ZN9rocsparseL18bsrxmvn_4x4_kernelILj128ELj64E21rocsparse_complex_numIfElifS2_S2_EEvT3_20rocsparse_direction_NS_24const_host_device_scalarIT1_EES3_PKS3_PKT2_SC_S9_PKT4_PKT5_S7_PT6_21rocsparse_index_base_b,comdat
.Lfunc_end129:
	.size	_ZN9rocsparseL18bsrxmvn_4x4_kernelILj128ELj64E21rocsparse_complex_numIfElifS2_S2_EEvT3_20rocsparse_direction_NS_24const_host_device_scalarIT1_EES3_PKS3_PKT2_SC_S9_PKT4_PKT5_S7_PT6_21rocsparse_index_base_b, .Lfunc_end129-_ZN9rocsparseL18bsrxmvn_4x4_kernelILj128ELj64E21rocsparse_complex_numIfElifS2_S2_EEvT3_20rocsparse_direction_NS_24const_host_device_scalarIT1_EES3_PKS3_PKT2_SC_S9_PKT4_PKT5_S7_PT6_21rocsparse_index_base_b
                                        ; -- End function
	.set _ZN9rocsparseL18bsrxmvn_4x4_kernelILj128ELj64E21rocsparse_complex_numIfElifS2_S2_EEvT3_20rocsparse_direction_NS_24const_host_device_scalarIT1_EES3_PKS3_PKT2_SC_S9_PKT4_PKT5_S7_PT6_21rocsparse_index_base_b.num_vgpr, 59
	.set _ZN9rocsparseL18bsrxmvn_4x4_kernelILj128ELj64E21rocsparse_complex_numIfElifS2_S2_EEvT3_20rocsparse_direction_NS_24const_host_device_scalarIT1_EES3_PKS3_PKT2_SC_S9_PKT4_PKT5_S7_PT6_21rocsparse_index_base_b.num_agpr, 0
	.set _ZN9rocsparseL18bsrxmvn_4x4_kernelILj128ELj64E21rocsparse_complex_numIfElifS2_S2_EEvT3_20rocsparse_direction_NS_24const_host_device_scalarIT1_EES3_PKS3_PKT2_SC_S9_PKT4_PKT5_S7_PT6_21rocsparse_index_base_b.numbered_sgpr, 20
	.set _ZN9rocsparseL18bsrxmvn_4x4_kernelILj128ELj64E21rocsparse_complex_numIfElifS2_S2_EEvT3_20rocsparse_direction_NS_24const_host_device_scalarIT1_EES3_PKS3_PKT2_SC_S9_PKT4_PKT5_S7_PT6_21rocsparse_index_base_b.num_named_barrier, 0
	.set _ZN9rocsparseL18bsrxmvn_4x4_kernelILj128ELj64E21rocsparse_complex_numIfElifS2_S2_EEvT3_20rocsparse_direction_NS_24const_host_device_scalarIT1_EES3_PKS3_PKT2_SC_S9_PKT4_PKT5_S7_PT6_21rocsparse_index_base_b.private_seg_size, 0
	.set _ZN9rocsparseL18bsrxmvn_4x4_kernelILj128ELj64E21rocsparse_complex_numIfElifS2_S2_EEvT3_20rocsparse_direction_NS_24const_host_device_scalarIT1_EES3_PKS3_PKT2_SC_S9_PKT4_PKT5_S7_PT6_21rocsparse_index_base_b.uses_vcc, 1
	.set _ZN9rocsparseL18bsrxmvn_4x4_kernelILj128ELj64E21rocsparse_complex_numIfElifS2_S2_EEvT3_20rocsparse_direction_NS_24const_host_device_scalarIT1_EES3_PKS3_PKT2_SC_S9_PKT4_PKT5_S7_PT6_21rocsparse_index_base_b.uses_flat_scratch, 0
	.set _ZN9rocsparseL18bsrxmvn_4x4_kernelILj128ELj64E21rocsparse_complex_numIfElifS2_S2_EEvT3_20rocsparse_direction_NS_24const_host_device_scalarIT1_EES3_PKS3_PKT2_SC_S9_PKT4_PKT5_S7_PT6_21rocsparse_index_base_b.has_dyn_sized_stack, 0
	.set _ZN9rocsparseL18bsrxmvn_4x4_kernelILj128ELj64E21rocsparse_complex_numIfElifS2_S2_EEvT3_20rocsparse_direction_NS_24const_host_device_scalarIT1_EES3_PKS3_PKT2_SC_S9_PKT4_PKT5_S7_PT6_21rocsparse_index_base_b.has_recursion, 0
	.set _ZN9rocsparseL18bsrxmvn_4x4_kernelILj128ELj64E21rocsparse_complex_numIfElifS2_S2_EEvT3_20rocsparse_direction_NS_24const_host_device_scalarIT1_EES3_PKS3_PKT2_SC_S9_PKT4_PKT5_S7_PT6_21rocsparse_index_base_b.has_indirect_call, 0
	.section	.AMDGPU.csdata,"",@progbits
; Kernel info:
; codeLenInByte = 6580
; TotalNumSgprs: 24
; NumVgprs: 59
; ScratchSize: 0
; MemoryBound: 0
; FloatMode: 240
; IeeeMode: 1
; LDSByteSize: 0 bytes/workgroup (compile time only)
; SGPRBlocks: 2
; VGPRBlocks: 14
; NumSGPRsForWavesPerEU: 24
; NumVGPRsForWavesPerEU: 59
; Occupancy: 4
; WaveLimiterHint : 1
; COMPUTE_PGM_RSRC2:SCRATCH_EN: 0
; COMPUTE_PGM_RSRC2:USER_SGPR: 6
; COMPUTE_PGM_RSRC2:TRAP_HANDLER: 0
; COMPUTE_PGM_RSRC2:TGID_X_EN: 1
; COMPUTE_PGM_RSRC2:TGID_Y_EN: 0
; COMPUTE_PGM_RSRC2:TGID_Z_EN: 0
; COMPUTE_PGM_RSRC2:TIDIG_COMP_CNT: 0
	.section	.text._ZN9rocsparseL18bsrxmvn_4x4_kernelILj128ELj4E21rocsparse_complex_numIfEllfS2_S2_EEvT3_20rocsparse_direction_NS_24const_host_device_scalarIT1_EES3_PKS3_PKT2_SC_S9_PKT4_PKT5_S7_PT6_21rocsparse_index_base_b,"axG",@progbits,_ZN9rocsparseL18bsrxmvn_4x4_kernelILj128ELj4E21rocsparse_complex_numIfEllfS2_S2_EEvT3_20rocsparse_direction_NS_24const_host_device_scalarIT1_EES3_PKS3_PKT2_SC_S9_PKT4_PKT5_S7_PT6_21rocsparse_index_base_b,comdat
	.globl	_ZN9rocsparseL18bsrxmvn_4x4_kernelILj128ELj4E21rocsparse_complex_numIfEllfS2_S2_EEvT3_20rocsparse_direction_NS_24const_host_device_scalarIT1_EES3_PKS3_PKT2_SC_S9_PKT4_PKT5_S7_PT6_21rocsparse_index_base_b ; -- Begin function _ZN9rocsparseL18bsrxmvn_4x4_kernelILj128ELj4E21rocsparse_complex_numIfEllfS2_S2_EEvT3_20rocsparse_direction_NS_24const_host_device_scalarIT1_EES3_PKS3_PKT2_SC_S9_PKT4_PKT5_S7_PT6_21rocsparse_index_base_b
	.p2align	8
	.type	_ZN9rocsparseL18bsrxmvn_4x4_kernelILj128ELj4E21rocsparse_complex_numIfEllfS2_S2_EEvT3_20rocsparse_direction_NS_24const_host_device_scalarIT1_EES3_PKS3_PKT2_SC_S9_PKT4_PKT5_S7_PT6_21rocsparse_index_base_b,@function
_ZN9rocsparseL18bsrxmvn_4x4_kernelILj128ELj4E21rocsparse_complex_numIfEllfS2_S2_EEvT3_20rocsparse_direction_NS_24const_host_device_scalarIT1_EES3_PKS3_PKT2_SC_S9_PKT4_PKT5_S7_PT6_21rocsparse_index_base_b: ; @_ZN9rocsparseL18bsrxmvn_4x4_kernelILj128ELj4E21rocsparse_complex_numIfEllfS2_S2_EEvT3_20rocsparse_direction_NS_24const_host_device_scalarIT1_EES3_PKS3_PKT2_SC_S9_PKT4_PKT5_S7_PT6_21rocsparse_index_base_b
; %bb.0:
	s_load_dwordx4 s[0:3], s[4:5], 0x10
	s_load_dwordx2 s[8:9], s[4:5], 0x60
	s_add_u32 s7, s4, 16
	s_addc_u32 s12, s5, 0
	s_add_u32 s13, s4, 0x50
	s_load_dwordx2 s[10:11], s[4:5], 0x50
	s_addc_u32 s14, s5, 0
	s_waitcnt lgkmcnt(0)
	s_bitcmp1_b32 s9, 0
	s_cselect_b32 s1, s12, s1
	s_cselect_b32 s0, s7, s0
	v_mov_b32_e32 v1, s0
	v_mov_b32_e32 v2, s1
	flat_load_dwordx2 v[10:11], v[1:2]
	s_cselect_b32 s0, s14, s11
	s_cselect_b32 s1, s13, s10
	v_mov_b32_e32 v1, s1
	v_mov_b32_e32 v2, s0
	flat_load_dwordx2 v[8:9], v[1:2]
	s_waitcnt vmcnt(0) lgkmcnt(0)
	v_cmp_eq_f32_e32 vcc, 0, v10
	v_cmp_eq_f32_e64 s[0:1], 0, v11
	s_and_b64 s[12:13], vcc, s[0:1]
	s_mov_b64 s[0:1], -1
	s_and_saveexec_b64 s[10:11], s[12:13]
; %bb.1:
	v_cmp_neq_f32_e32 vcc, 1.0, v8
	v_cmp_neq_f32_e64 s[0:1], 0, v9
	s_or_b64 s[0:1], vcc, s[0:1]
	s_orn2_b64 s[0:1], s[0:1], exec
; %bb.2:
	s_or_b64 exec, exec, s[10:11]
	s_and_saveexec_b64 s[10:11], s[0:1]
	s_cbranch_execz .LBB130_8
; %bb.3:
	s_load_dwordx2 s[10:11], s[4:5], 0x20
	v_lshrrev_b32_e32 v1, 2, v0
	v_lshl_or_b32 v3, s6, 5, v1
	v_mov_b32_e32 v4, 0
	s_mov_b64 s[0:1], 0
	s_waitcnt lgkmcnt(0)
	s_cmp_lg_u64 s[10:11], 0
	s_cbranch_scc0 .LBB130_9
; %bb.4:
	v_cmp_gt_i64_e32 vcc, s[2:3], v[3:4]
                                        ; implicit-def: $vgpr12_vgpr13
                                        ; implicit-def: $vgpr1_vgpr2
	s_and_saveexec_b64 s[2:3], vcc
	s_xor_b64 s[2:3], exec, s[2:3]
	s_cbranch_execz .LBB130_6
; %bb.5:
	v_lshlrev_b64 v[1:2], 3, v[3:4]
	v_mov_b32_e32 v5, s11
	v_add_co_u32_e32 v1, vcc, s10, v1
	v_addc_co_u32_e32 v2, vcc, v5, v2, vcc
	global_load_dwordx2 v[1:2], v[1:2], off
	s_mov_b32 s9, 0
	s_mov_b64 s[0:1], exec
	s_waitcnt vmcnt(0)
	v_subrev_co_u32_e32 v12, vcc, s8, v1
	v_subbrev_co_u32_e32 v13, vcc, 0, v2, vcc
	v_mov_b32_e32 v1, s8
	v_mov_b32_e32 v2, s9
.LBB130_6:
	s_or_b64 exec, exec, s[2:3]
.LBB130_7:
	s_and_b64 exec, exec, s[0:1]
	s_cbranch_execnz .LBB130_13
.LBB130_8:
	s_endpgm
.LBB130_9:
                                        ; implicit-def: $vgpr12_vgpr13
                                        ; implicit-def: $vgpr1_vgpr2
	s_cbranch_execz .LBB130_7
; %bb.10:
	s_load_dwordx2 s[2:3], s[4:5], 0x0
	s_waitcnt lgkmcnt(0)
	v_cmp_gt_i64_e32 vcc, s[2:3], v[3:4]
	s_and_saveexec_b64 s[2:3], vcc
; %bb.11:
	s_mov_b32 s9, 0
	s_or_b64 s[0:1], s[0:1], exec
; %bb.12:
	s_or_b64 exec, exec, s[2:3]
	v_mov_b32_e32 v1, s8
	v_mov_b32_e32 v13, v4
	;; [unrolled: 1-line block ×4, first 2 shown]
	s_and_b64 exec, exec, s[0:1]
	s_cbranch_execz .LBB130_8
.LBB130_13:
	s_load_dwordx8 s[8:15], s[4:5], 0x28
	v_lshlrev_b64 v[3:4], 3, v[12:13]
	v_and_b32_e32 v0, 3, v0
	s_waitcnt lgkmcnt(0)
	v_mov_b32_e32 v6, s9
	v_add_co_u32_e32 v5, vcc, s8, v3
	v_addc_co_u32_e32 v6, vcc, v6, v4, vcc
	global_load_dwordx2 v[18:19], v[5:6], off
	v_add_co_u32_e32 v5, vcc, 8, v5
	v_addc_co_u32_e32 v6, vcc, 0, v6, vcc
	v_mov_b32_e32 v7, s11
	v_add_co_u32_e32 v3, vcc, s10, v3
	s_cmp_eq_u64 s[10:11], 0
	v_addc_co_u32_e32 v4, vcc, v7, v4, vcc
	s_cselect_b64 vcc, -1, 0
	v_cndmask_b32_e32 v4, v4, v6, vcc
	v_cndmask_b32_e32 v3, v3, v5, vcc
	global_load_dwordx2 v[5:6], v[3:4], off
	s_load_dword s0, s[4:5], 0x8
	s_load_dwordx2 s[6:7], s[4:5], 0x48
	v_mov_b32_e32 v16, s15
	v_mov_b32_e32 v7, 0
	s_waitcnt lgkmcnt(0)
	s_cmp_eq_u32 s0, 1
	s_waitcnt vmcnt(1)
	v_sub_co_u32_e32 v3, vcc, v18, v1
	v_subb_co_u32_e32 v4, vcc, v19, v2, vcc
	v_add_co_u32_e32 v3, vcc, v3, v0
	v_addc_co_u32_e32 v4, vcc, 0, v4, vcc
	v_lshlrev_b64 v[14:15], 6, v[3:4]
	s_waitcnt vmcnt(0)
	v_sub_co_u32_e32 v5, vcc, v5, v1
	v_subb_co_u32_e32 v6, vcc, v6, v2, vcc
	v_cmp_lt_i64_e64 s[0:1], v[3:4], v[5:6]
	v_add_co_u32_e32 v14, vcc, s14, v14
	v_addc_co_u32_e32 v15, vcc, v16, v15, vcc
	s_cbranch_scc1 .LBB130_25
; %bb.14:
	v_mov_b32_e32 v34, 0
	v_mov_b32_e32 v16, 0
	;; [unrolled: 1-line block ×7, first 2 shown]
	s_and_saveexec_b64 s[8:9], s[0:1]
	s_cbranch_execz .LBB130_24
; %bb.15:
	v_or_b32_e32 v7, 4, v0
	v_sub_co_u32_e32 v7, vcc, v7, v1
	v_subb_co_u32_e32 v17, vcc, 0, v2, vcc
	v_add_co_u32_e32 v16, vcc, v7, v18
	v_addc_co_u32_e32 v17, vcc, v17, v19, vcc
	v_cmp_gt_i64_e32 vcc, v[16:17], v[5:6]
	v_not_b32_e32 v20, v18
	v_cndmask_b32_e32 v7, v6, v17, vcc
	v_cndmask_b32_e32 v16, v5, v16, vcc
	v_sub_co_u32_e32 v21, vcc, v1, v0
	v_subbrev_co_u32_e32 v22, vcc, 0, v2, vcc
	v_not_b32_e32 v17, v19
	v_add_co_u32_e32 v20, vcc, v21, v20
	v_addc_co_u32_e32 v17, vcc, v22, v17, vcc
	v_add_co_u32_e32 v24, vcc, v20, v16
	v_addc_co_u32_e32 v25, vcc, v17, v7, vcc
	v_and_b32_e32 v16, 12, v24
	v_mov_b32_e32 v17, 0
	v_cmp_ne_u64_e32 vcc, 12, v[16:17]
	v_mov_b32_e32 v21, v15
	v_mov_b32_e32 v23, v4
	v_mov_b32_e32 v31, v17
	v_mov_b32_e32 v33, v17
	v_mov_b32_e32 v30, v17
	v_mov_b32_e32 v32, v17
	v_mov_b32_e32 v16, v17
	v_mov_b32_e32 v34, v17
	v_mov_b32_e32 v7, v17
	v_mov_b32_e32 v20, v14
	v_mov_b32_e32 v22, v3
	s_and_saveexec_b64 s[10:11], vcc
	s_cbranch_execz .LBB130_19
; %bb.16:
	v_lshlrev_b64 v[16:17], 3, v[3:4]
	v_lshrrev_b32_e32 v7, 2, v24
	v_add_u32_e32 v7, 1, v7
	v_mov_b32_e32 v21, s13
	v_add_co_u32_e32 v26, vcc, s12, v16
	v_and_b32_e32 v20, 3, v7
	v_addc_co_u32_e32 v27, vcc, v21, v17, vcc
	v_sub_co_u32_e32 v28, vcc, 0, v20
	v_mov_b32_e32 v23, v4
	v_mov_b32_e32 v21, v15
	;; [unrolled: 1-line block ×3, first 2 shown]
	s_mov_b64 s[14:15], 0
	v_subb_co_u32_e64 v29, s[2:3], 0, 0, vcc
	s_movk_i32 s16, 0x100
	v_mov_b32_e32 v35, s7
	v_mov_b32_e32 v22, v3
	;; [unrolled: 1-line block ×10, first 2 shown]
.LBB130_17:                             ; =>This Inner Loop Header: Depth=1
	global_load_dwordx2 v[52:53], v[26:27], off
	global_load_dwordx4 v[36:39], v[20:21], off
	global_load_dwordx4 v[40:43], v[20:21], off offset:16
	global_load_dwordx4 v[44:47], v[20:21], off offset:32
	;; [unrolled: 1-line block ×3, first 2 shown]
	v_add_co_u32_e64 v22, s[2:3], 4, v22
	v_addc_co_u32_e64 v23, s[2:3], 0, v23, s[2:3]
	v_add_co_u32_e64 v26, s[2:3], 32, v26
	v_addc_co_u32_e64 v27, s[2:3], 0, v27, s[2:3]
	v_add_co_u32_e64 v28, s[2:3], 1, v28
	v_addc_co_u32_e64 v29, s[2:3], 0, v29, s[2:3]
	v_cmp_eq_u64_e64 s[2:3], 0, v[28:29]
	s_or_b64 s[14:15], s[2:3], s[14:15]
	s_waitcnt vmcnt(4)
	v_sub_co_u32_e32 v52, vcc, v52, v1
	v_subb_co_u32_e32 v53, vcc, v53, v2, vcc
	v_lshlrev_b64 v[52:53], 5, v[52:53]
	v_add_co_u32_e32 v60, vcc, s6, v52
	v_addc_co_u32_e32 v61, vcc, v35, v53, vcc
	global_load_dwordx4 v[52:55], v[60:61], off
	global_load_dwordx4 v[56:59], v[60:61], off offset:16
	v_add_co_u32_e32 v20, vcc, s16, v20
	v_addc_co_u32_e32 v21, vcc, 0, v21, vcc
	s_waitcnt vmcnt(1)
	v_fmac_f32_e32 v34, v36, v52
	v_fmac_f32_e32 v7, 0, v52
	;; [unrolled: 1-line block ×32, first 2 shown]
	s_waitcnt vmcnt(0)
	v_fmac_f32_e32 v34, v38, v56
	v_fmac_f32_e32 v7, 0, v56
	;; [unrolled: 1-line block ×32, first 2 shown]
	s_andn2_b64 exec, exec, s[14:15]
	s_cbranch_execnz .LBB130_17
; %bb.18:
	s_or_b64 exec, exec, s[14:15]
.LBB130_19:
	s_or_b64 exec, exec, s[10:11]
	v_cmp_lt_u64_e32 vcc, 11, v[24:25]
	s_and_saveexec_b64 s[2:3], vcc
	s_cbranch_execz .LBB130_23
; %bb.20:
	v_lshlrev_b64 v[24:25], 3, v[22:23]
	v_mov_b32_e32 v26, s13
	v_add_co_u32_e32 v24, vcc, s12, v24
	v_addc_co_u32_e32 v25, vcc, v26, v25, vcc
	v_add_co_u32_e32 v24, vcc, 64, v24
	v_addc_co_u32_e32 v25, vcc, 0, v25, vcc
	s_mov_b64 s[10:11], 0
	v_mov_b32_e32 v26, s7
	s_movk_i32 s14, 0x400
.LBB130_21:                             ; =>This Inner Loop Header: Depth=1
	global_load_dwordx2 v[27:28], v[24:25], off offset:-64
	global_load_dwordx4 v[35:38], v[20:21], off offset:48
	global_load_dwordx4 v[39:42], v[20:21], off offset:32
	;; [unrolled: 1-line block ×3, first 2 shown]
	global_load_dwordx4 v[47:50], v[20:21], off
	s_waitcnt vmcnt(4)
	v_sub_co_u32_e32 v27, vcc, v27, v1
	v_subb_co_u32_e32 v28, vcc, v28, v2, vcc
	v_lshlrev_b64 v[27:28], 5, v[27:28]
	v_add_co_u32_e32 v27, vcc, s6, v27
	v_addc_co_u32_e32 v28, vcc, v26, v28, vcc
	global_load_dwordx4 v[51:54], v[27:28], off offset:16
	global_load_dwordx4 v[55:58], v[27:28], off
	s_waitcnt vmcnt(0)
	v_fmac_f32_e32 v34, v47, v55
	global_load_dwordx2 v[27:28], v[24:25], off offset:-32
	v_fmac_f32_e32 v7, 0, v55
	v_fmac_f32_e32 v32, v43, v55
	;; [unrolled: 1-line block ×63, first 2 shown]
	global_load_dwordx4 v[35:38], v[20:21], off offset:304
	global_load_dwordx4 v[39:42], v[20:21], off offset:288
	;; [unrolled: 1-line block ×4, first 2 shown]
	s_waitcnt vmcnt(4)
	v_sub_co_u32_e32 v27, vcc, v27, v1
	v_subb_co_u32_e32 v28, vcc, v28, v2, vcc
	v_lshlrev_b64 v[27:28], 5, v[27:28]
	v_add_co_u32_e32 v27, vcc, s6, v27
	v_addc_co_u32_e32 v28, vcc, v26, v28, vcc
	global_load_dwordx4 v[51:54], v[27:28], off offset:16
	global_load_dwordx4 v[55:58], v[27:28], off
	s_waitcnt vmcnt(0)
	v_fmac_f32_e32 v34, v47, v55
	global_load_dwordx2 v[27:28], v[24:25], off
	v_fmac_f32_e32 v7, 0, v55
	v_fmac_f32_e32 v32, v43, v55
	;; [unrolled: 1-line block ×63, first 2 shown]
	global_load_dwordx4 v[35:38], v[20:21], off offset:560
	global_load_dwordx4 v[39:42], v[20:21], off offset:544
	;; [unrolled: 1-line block ×4, first 2 shown]
	s_waitcnt vmcnt(4)
	v_sub_co_u32_e32 v27, vcc, v27, v1
	v_subb_co_u32_e32 v28, vcc, v28, v2, vcc
	v_lshlrev_b64 v[27:28], 5, v[27:28]
	v_add_co_u32_e32 v27, vcc, s6, v27
	v_addc_co_u32_e32 v28, vcc, v26, v28, vcc
	global_load_dwordx4 v[51:54], v[27:28], off offset:16
	global_load_dwordx4 v[55:58], v[27:28], off
	s_waitcnt vmcnt(0)
	v_fmac_f32_e32 v34, v47, v55
	global_load_dwordx2 v[27:28], v[24:25], off offset:32
	v_fmac_f32_e32 v7, 0, v55
	v_fmac_f32_e32 v32, v43, v55
	;; [unrolled: 1-line block ×63, first 2 shown]
	global_load_dwordx4 v[35:38], v[20:21], off offset:816
	global_load_dwordx4 v[39:42], v[20:21], off offset:800
	;; [unrolled: 1-line block ×4, first 2 shown]
	s_waitcnt vmcnt(4)
	v_sub_co_u32_e32 v27, vcc, v27, v1
	v_subb_co_u32_e32 v28, vcc, v28, v2, vcc
	v_lshlrev_b64 v[27:28], 5, v[27:28]
	v_add_co_u32_e32 v27, vcc, s6, v27
	v_addc_co_u32_e32 v28, vcc, v26, v28, vcc
	global_load_dwordx4 v[51:54], v[27:28], off offset:16
	global_load_dwordx4 v[55:58], v[27:28], off
	v_add_co_u32_e32 v20, vcc, s14, v20
	v_addc_co_u32_e32 v21, vcc, 0, v21, vcc
	v_add_co_u32_e32 v22, vcc, 16, v22
	v_addc_co_u32_e32 v23, vcc, 0, v23, vcc
	;; [unrolled: 2-line block ×3, first 2 shown]
	v_cmp_ge_i64_e32 vcc, v[22:23], v[5:6]
	s_or_b64 s[10:11], vcc, s[10:11]
	s_waitcnt vmcnt(0)
	v_fmac_f32_e32 v34, v47, v55
	v_fmac_f32_e32 v7, 0, v55
	;; [unrolled: 1-line block ×64, first 2 shown]
	s_andn2_b64 exec, exec, s[10:11]
	s_cbranch_execnz .LBB130_21
; %bb.22:
	s_or_b64 exec, exec, s[10:11]
.LBB130_23:
	s_or_b64 exec, exec, s[2:3]
.LBB130_24:
	s_or_b64 exec, exec, s[8:9]
	s_cbranch_execz .LBB130_26
	s_branch .LBB130_37
.LBB130_25:
                                        ; implicit-def: $vgpr7
                                        ; implicit-def: $vgpr34
                                        ; implicit-def: $vgpr16
                                        ; implicit-def: $vgpr32
                                        ; implicit-def: $vgpr30
                                        ; implicit-def: $vgpr33
                                        ; implicit-def: $vgpr31
                                        ; implicit-def: $vgpr17
.LBB130_26:
	v_mov_b32_e32 v7, 0
	v_mov_b32_e32 v34, 0
	;; [unrolled: 1-line block ×8, first 2 shown]
	s_and_saveexec_b64 s[2:3], s[0:1]
	s_cbranch_execz .LBB130_36
; %bb.27:
	v_or_b32_e32 v7, 4, v0
	v_sub_co_u32_e32 v7, vcc, v7, v1
	v_subb_co_u32_e32 v17, vcc, 0, v2, vcc
	v_add_co_u32_e32 v16, vcc, v7, v18
	v_addc_co_u32_e32 v17, vcc, v17, v19, vcc
	v_cmp_gt_i64_e32 vcc, v[16:17], v[5:6]
	v_not_b32_e32 v18, v18
	v_cndmask_b32_e32 v7, v6, v17, vcc
	v_cndmask_b32_e32 v16, v5, v16, vcc
	v_not_b32_e32 v17, v19
	v_sub_co_u32_e32 v19, vcc, v1, v0
	v_subbrev_co_u32_e32 v20, vcc, 0, v2, vcc
	v_add_co_u32_e32 v18, vcc, v19, v18
	v_addc_co_u32_e32 v17, vcc, v20, v17, vcc
	v_add_co_u32_e32 v18, vcc, v18, v16
	v_addc_co_u32_e32 v19, vcc, v17, v7, vcc
	v_and_b32_e32 v16, 12, v18
	v_mov_b32_e32 v17, 0
	v_cmp_ne_u64_e32 vcc, 12, v[16:17]
	v_mov_b32_e32 v31, v17
	v_mov_b32_e32 v33, v17
	;; [unrolled: 1-line block ×7, first 2 shown]
	s_and_saveexec_b64 s[8:9], vcc
	s_cbranch_execz .LBB130_31
; %bb.28:
	v_lshlrev_b64 v[16:17], 3, v[3:4]
	v_lshrrev_b32_e32 v7, 2, v18
	v_add_u32_e32 v7, 1, v7
	v_mov_b32_e32 v21, s13
	v_add_co_u32_e32 v20, vcc, s12, v16
	v_and_b32_e32 v22, 3, v7
	v_addc_co_u32_e32 v21, vcc, v21, v17, vcc
	v_sub_co_u32_e32 v22, vcc, 0, v22
	v_mov_b32_e32 v7, 0
	s_mov_b64 s[10:11], 0
	v_subb_co_u32_e64 v23, s[0:1], 0, 0, vcc
	s_movk_i32 s14, 0x100
	v_mov_b32_e32 v24, s7
	v_mov_b32_e32 v34, 0
	;; [unrolled: 1-line block ×8, first 2 shown]
.LBB130_29:                             ; =>This Inner Loop Header: Depth=1
	global_load_dwordx2 v[43:44], v[20:21], off
	global_load_dwordx4 v[25:28], v[14:15], off offset:32
	global_load_dwordx4 v[35:38], v[14:15], off offset:16
	global_load_dwordx4 v[39:42], v[14:15], off
	v_add_co_u32_e64 v3, s[0:1], 4, v3
	v_addc_co_u32_e64 v4, s[0:1], 0, v4, s[0:1]
	v_add_co_u32_e64 v20, s[0:1], 32, v20
	v_addc_co_u32_e64 v21, s[0:1], 0, v21, s[0:1]
	v_add_co_u32_e64 v22, s[0:1], 1, v22
	v_addc_co_u32_e64 v23, s[0:1], 0, v23, s[0:1]
	v_cmp_eq_u64_e64 s[0:1], 0, v[22:23]
	s_or_b64 s[10:11], s[0:1], s[10:11]
	s_waitcnt vmcnt(3)
	v_sub_co_u32_e32 v43, vcc, v43, v1
	v_subb_co_u32_e32 v44, vcc, v44, v2, vcc
	v_lshlrev_b64 v[43:44], 5, v[43:44]
	v_add_co_u32_e32 v55, vcc, s6, v43
	v_addc_co_u32_e32 v56, vcc, v24, v44, vcc
	global_load_dwordx4 v[43:46], v[55:56], off
	global_load_dwordx4 v[47:50], v[55:56], off offset:16
	global_load_dwordx4 v[51:54], v[14:15], off offset:48
	v_add_co_u32_e32 v14, vcc, s14, v14
	v_addc_co_u32_e32 v15, vcc, 0, v15, vcc
	s_waitcnt vmcnt(2)
	v_fmac_f32_e32 v34, v39, v43
	v_fmac_f32_e32 v7, 0, v43
	;; [unrolled: 1-line block ×32, first 2 shown]
	s_waitcnt vmcnt(1)
	v_fmac_f32_e32 v34, v25, v47
	v_fmac_f32_e32 v7, 0, v47
	;; [unrolled: 1-line block ×16, first 2 shown]
	s_waitcnt vmcnt(0)
	v_fmac_f32_e32 v34, v51, v49
	v_fmac_f32_e32 v7, 0, v49
	v_fmac_f32_e32 v32, v52, v49
	v_fmac_f32_e32 v16, 0, v49
	v_fmac_f32_e32 v33, v53, v49
	v_fmac_f32_e32 v30, 0, v49
	v_fmac_f32_e32 v17, v54, v49
	v_fmac_f32_e32 v31, 0, v49
	v_fmac_f32_e32 v34, 0x80000000, v50
	v_fmac_f32_e32 v7, v51, v50
	v_fmac_f32_e32 v32, 0x80000000, v50
	v_fmac_f32_e32 v16, v52, v50
	v_fmac_f32_e32 v33, 0x80000000, v50
	v_fmac_f32_e32 v30, v53, v50
	v_fmac_f32_e32 v17, 0x80000000, v50
	v_fmac_f32_e32 v31, v54, v50
	s_andn2_b64 exec, exec, s[10:11]
	s_cbranch_execnz .LBB130_29
; %bb.30:
	s_or_b64 exec, exec, s[10:11]
.LBB130_31:
	s_or_b64 exec, exec, s[8:9]
	v_cmp_lt_u64_e32 vcc, 11, v[18:19]
	s_and_saveexec_b64 s[0:1], vcc
	s_cbranch_execz .LBB130_35
; %bb.32:
	v_lshlrev_b64 v[18:19], 3, v[3:4]
	v_mov_b32_e32 v20, s13
	v_add_co_u32_e32 v18, vcc, s12, v18
	v_addc_co_u32_e32 v19, vcc, v20, v19, vcc
	v_add_co_u32_e32 v18, vcc, 64, v18
	v_addc_co_u32_e32 v19, vcc, 0, v19, vcc
	s_mov_b64 s[8:9], 0
	v_mov_b32_e32 v20, s7
	s_movk_i32 s7, 0x400
.LBB130_33:                             ; =>This Inner Loop Header: Depth=1
	global_load_dwordx2 v[21:22], v[18:19], off offset:-64
	s_waitcnt vmcnt(0)
	v_sub_co_u32_e32 v43, vcc, v21, v1
	v_subb_co_u32_e32 v44, vcc, v22, v2, vcc
	v_lshlrev_b64 v[43:44], 5, v[43:44]
	global_load_dwordx4 v[21:24], v[14:15], off offset:48
	global_load_dwordx4 v[25:28], v[14:15], off offset:32
	;; [unrolled: 1-line block ×3, first 2 shown]
	global_load_dwordx4 v[39:42], v[14:15], off
	v_add_co_u32_e32 v51, vcc, s6, v43
	v_addc_co_u32_e32 v52, vcc, v20, v44, vcc
	global_load_dwordx4 v[43:46], v[51:52], off offset:16
	global_load_dwordx4 v[47:50], v[51:52], off
	s_waitcnt vmcnt(0)
	v_fmac_f32_e32 v7, 0, v47
	v_fmac_f32_e32 v16, 0, v47
	;; [unrolled: 1-line block ×30, first 2 shown]
	global_load_dwordx2 v[21:22], v[18:19], off offset:-32
	v_fmac_f32_e32 v33, v41, v47
	v_fmac_f32_e32 v30, 0, v47
	;; [unrolled: 1-line block ×34, first 2 shown]
	s_waitcnt vmcnt(0)
	v_sub_co_u32_e32 v43, vcc, v21, v1
	v_subb_co_u32_e32 v44, vcc, v22, v2, vcc
	v_lshlrev_b64 v[43:44], 5, v[43:44]
	global_load_dwordx4 v[21:24], v[14:15], off offset:304
	global_load_dwordx4 v[25:28], v[14:15], off offset:288
	;; [unrolled: 1-line block ×4, first 2 shown]
	v_add_co_u32_e32 v51, vcc, s6, v43
	v_addc_co_u32_e32 v52, vcc, v20, v44, vcc
	global_load_dwordx4 v[43:46], v[51:52], off offset:16
	global_load_dwordx4 v[47:50], v[51:52], off
	s_waitcnt vmcnt(0)
	v_fmac_f32_e32 v7, 0, v47
	v_fmac_f32_e32 v16, 0, v47
	;; [unrolled: 1-line block ×30, first 2 shown]
	global_load_dwordx2 v[21:22], v[18:19], off
	v_fmac_f32_e32 v33, v41, v47
	v_fmac_f32_e32 v30, 0, v47
	;; [unrolled: 1-line block ×34, first 2 shown]
	s_waitcnt vmcnt(0)
	v_sub_co_u32_e32 v43, vcc, v21, v1
	v_subb_co_u32_e32 v44, vcc, v22, v2, vcc
	v_lshlrev_b64 v[43:44], 5, v[43:44]
	global_load_dwordx4 v[21:24], v[14:15], off offset:560
	global_load_dwordx4 v[25:28], v[14:15], off offset:544
	;; [unrolled: 1-line block ×4, first 2 shown]
	v_add_co_u32_e32 v51, vcc, s6, v43
	v_addc_co_u32_e32 v52, vcc, v20, v44, vcc
	global_load_dwordx4 v[43:46], v[51:52], off offset:16
	global_load_dwordx4 v[47:50], v[51:52], off
	s_waitcnt vmcnt(0)
	v_fmac_f32_e32 v7, 0, v47
	v_fmac_f32_e32 v16, 0, v47
	v_fmac_f32_e32 v34, v39, v47
	v_fmac_f32_e32 v7, v39, v48
	v_fmac_f32_e32 v32, v40, v47
	v_fmac_f32_e32 v16, v40, v48
	v_fmac_f32_e32 v34, 0x80000000, v48
	v_fmac_f32_e32 v32, 0x80000000, v48
	v_fmac_f32_e32 v7, 0, v49
	v_fmac_f32_e32 v16, 0, v49
	v_fmac_f32_e32 v34, v35, v49
	v_fmac_f32_e32 v7, v35, v50
	v_fmac_f32_e32 v32, v36, v49
	v_fmac_f32_e32 v16, v36, v50
	v_fmac_f32_e32 v34, 0x80000000, v50
	v_fmac_f32_e32 v32, 0x80000000, v50
	v_fmac_f32_e32 v7, 0, v43
	v_fmac_f32_e32 v16, 0, v43
	v_fmac_f32_e32 v34, v25, v43
	v_fmac_f32_e32 v7, v25, v44
	v_fmac_f32_e32 v32, v26, v43
	v_fmac_f32_e32 v16, v26, v44
	v_fmac_f32_e32 v34, 0x80000000, v44
	v_fmac_f32_e32 v32, 0x80000000, v44
	v_fmac_f32_e32 v7, 0, v45
	v_fmac_f32_e32 v16, 0, v45
	v_fmac_f32_e32 v34, v21, v45
	v_fmac_f32_e32 v7, v21, v46
	v_fmac_f32_e32 v32, v22, v45
	v_fmac_f32_e32 v16, v22, v46
	global_load_dwordx2 v[21:22], v[18:19], off offset:32
	v_fmac_f32_e32 v33, v41, v47
	v_fmac_f32_e32 v30, 0, v47
	;; [unrolled: 1-line block ×34, first 2 shown]
	s_waitcnt vmcnt(0)
	v_sub_co_u32_e32 v43, vcc, v21, v1
	v_subb_co_u32_e32 v44, vcc, v22, v2, vcc
	v_lshlrev_b64 v[43:44], 5, v[43:44]
	global_load_dwordx4 v[21:24], v[14:15], off offset:816
	global_load_dwordx4 v[25:28], v[14:15], off offset:800
	;; [unrolled: 1-line block ×4, first 2 shown]
	v_add_co_u32_e32 v51, vcc, s6, v43
	v_addc_co_u32_e32 v52, vcc, v20, v44, vcc
	global_load_dwordx4 v[43:46], v[51:52], off offset:16
	global_load_dwordx4 v[47:50], v[51:52], off
	v_add_co_u32_e32 v14, vcc, s7, v14
	v_addc_co_u32_e32 v15, vcc, 0, v15, vcc
	v_add_co_u32_e32 v3, vcc, 16, v3
	v_addc_co_u32_e32 v4, vcc, 0, v4, vcc
	v_add_co_u32_e32 v18, vcc, 0x80, v18
	v_addc_co_u32_e32 v19, vcc, 0, v19, vcc
	v_cmp_ge_i64_e32 vcc, v[3:4], v[5:6]
	s_or_b64 s[8:9], vcc, s[8:9]
	s_waitcnt vmcnt(0)
	v_fmac_f32_e32 v34, v39, v47
	v_fmac_f32_e32 v7, 0, v47
	;; [unrolled: 1-line block ×64, first 2 shown]
	s_andn2_b64 exec, exec, s[8:9]
	s_cbranch_execnz .LBB130_33
; %bb.34:
	s_or_b64 exec, exec, s[8:9]
.LBB130_35:
	s_or_b64 exec, exec, s[0:1]
.LBB130_36:
	s_or_b64 exec, exec, s[2:3]
.LBB130_37:
	v_mov_b32_dpp v3, v7 row_shr:1 row_mask:0xf bank_mask:0xf
	v_mov_b32_dpp v1, v34 row_shr:1 row_mask:0xf bank_mask:0xf
	v_add_f32_e32 v3, v7, v3
	v_mov_b32_dpp v5, v32 row_shr:1 row_mask:0xf bank_mask:0xf
	v_mov_b32_dpp v7, v16 row_shr:1 row_mask:0xf bank_mask:0xf
	;; [unrolled: 1-line block ×6, first 2 shown]
	v_add_f32_e32 v1, v34, v1
	v_add_f32_e32 v5, v32, v5
	;; [unrolled: 1-line block ×7, first 2 shown]
	v_mov_b32_dpp v2, v1 row_shr:2 row_mask:0xf bank_mask:0xf
	v_mov_b32_dpp v4, v3 row_shr:2 row_mask:0xf bank_mask:0xf
	;; [unrolled: 1-line block ×8, first 2 shown]
	v_cmp_eq_u32_e32 vcc, 3, v0
	s_and_b64 exec, exec, vcc
	s_cbranch_execz .LBB130_8
; %bb.38:
	s_load_dwordx2 s[2:3], s[4:5], 0x58
	v_add_f32_e32 v23, v1, v2
	v_add_f32_e32 v0, v3, v4
	;; [unrolled: 1-line block ×8, first 2 shown]
	v_cmp_eq_f32_e32 vcc, 0, v8
	v_cmp_eq_f32_e64 s[0:1], 0, v9
	v_mul_f32_e64 v4, v0, -v11
	v_mul_f32_e32 v5, v10, v0
	v_mul_f32_e64 v6, v1, -v11
	v_mul_f32_e32 v7, v10, v1
	;; [unrolled: 2-line block ×4, first 2 shown]
	v_lshlrev_b64 v[12:13], 5, v[12:13]
	s_and_b64 s[0:1], vcc, s[0:1]
	v_fmac_f32_e32 v4, v10, v23
	v_fmac_f32_e32 v5, v11, v23
	;; [unrolled: 1-line block ×8, first 2 shown]
	s_and_saveexec_b64 s[4:5], s[0:1]
	s_xor_b64 s[0:1], exec, s[4:5]
	s_cbranch_execz .LBB130_40
; %bb.39:
	s_waitcnt lgkmcnt(0)
	v_mov_b32_e32 v9, s3
	v_add_co_u32_e32 v8, vcc, s2, v12
	v_addc_co_u32_e32 v9, vcc, v9, v13, vcc
	global_store_dwordx4 v[8:9], v[4:7], off
	global_store_dwordx4 v[8:9], v[0:3], off offset:16
                                        ; implicit-def: $vgpr8_vgpr9
                                        ; implicit-def: $vgpr4
                                        ; implicit-def: $vgpr12_vgpr13
                                        ; implicit-def: $vgpr0
.LBB130_40:
	s_andn2_saveexec_b64 s[0:1], s[0:1]
	s_cbranch_execz .LBB130_8
; %bb.41:
	s_waitcnt lgkmcnt(0)
	v_mov_b32_e32 v10, s3
	v_add_co_u32_e32 v18, vcc, s2, v12
	v_addc_co_u32_e32 v19, vcc, v10, v13, vcc
	global_load_dwordx4 v[10:13], v[18:19], off
	global_load_dwordx4 v[14:17], v[18:19], off offset:16
	s_waitcnt vmcnt(1)
	v_fmac_f32_e32 v4, v8, v10
	v_fmac_f32_e32 v5, v9, v10
	;; [unrolled: 1-line block ×4, first 2 shown]
	s_waitcnt vmcnt(0)
	v_fmac_f32_e32 v0, v8, v14
	v_fmac_f32_e32 v1, v9, v14
	v_fmac_f32_e32 v2, v8, v16
	v_fmac_f32_e32 v3, v9, v16
	v_fma_f32 v4, -v9, v11, v4
	v_fmac_f32_e32 v5, v8, v11
	v_fma_f32 v6, -v9, v13, v6
	v_fmac_f32_e32 v7, v8, v13
	;; [unrolled: 2-line block ×4, first 2 shown]
	global_store_dwordx4 v[18:19], v[4:7], off
	global_store_dwordx4 v[18:19], v[0:3], off offset:16
	s_endpgm
	.section	.rodata,"a",@progbits
	.p2align	6, 0x0
	.amdhsa_kernel _ZN9rocsparseL18bsrxmvn_4x4_kernelILj128ELj4E21rocsparse_complex_numIfEllfS2_S2_EEvT3_20rocsparse_direction_NS_24const_host_device_scalarIT1_EES3_PKS3_PKT2_SC_S9_PKT4_PKT5_S7_PT6_21rocsparse_index_base_b
		.amdhsa_group_segment_fixed_size 0
		.amdhsa_private_segment_fixed_size 0
		.amdhsa_kernarg_size 104
		.amdhsa_user_sgpr_count 6
		.amdhsa_user_sgpr_private_segment_buffer 1
		.amdhsa_user_sgpr_dispatch_ptr 0
		.amdhsa_user_sgpr_queue_ptr 0
		.amdhsa_user_sgpr_kernarg_segment_ptr 1
		.amdhsa_user_sgpr_dispatch_id 0
		.amdhsa_user_sgpr_flat_scratch_init 0
		.amdhsa_user_sgpr_private_segment_size 0
		.amdhsa_uses_dynamic_stack 0
		.amdhsa_system_sgpr_private_segment_wavefront_offset 0
		.amdhsa_system_sgpr_workgroup_id_x 1
		.amdhsa_system_sgpr_workgroup_id_y 0
		.amdhsa_system_sgpr_workgroup_id_z 0
		.amdhsa_system_sgpr_workgroup_info 0
		.amdhsa_system_vgpr_workitem_id 0
		.amdhsa_next_free_vgpr 62
		.amdhsa_next_free_sgpr 17
		.amdhsa_reserve_vcc 1
		.amdhsa_reserve_flat_scratch 0
		.amdhsa_float_round_mode_32 0
		.amdhsa_float_round_mode_16_64 0
		.amdhsa_float_denorm_mode_32 3
		.amdhsa_float_denorm_mode_16_64 3
		.amdhsa_dx10_clamp 1
		.amdhsa_ieee_mode 1
		.amdhsa_fp16_overflow 0
		.amdhsa_exception_fp_ieee_invalid_op 0
		.amdhsa_exception_fp_denorm_src 0
		.amdhsa_exception_fp_ieee_div_zero 0
		.amdhsa_exception_fp_ieee_overflow 0
		.amdhsa_exception_fp_ieee_underflow 0
		.amdhsa_exception_fp_ieee_inexact 0
		.amdhsa_exception_int_div_zero 0
	.end_amdhsa_kernel
	.section	.text._ZN9rocsparseL18bsrxmvn_4x4_kernelILj128ELj4E21rocsparse_complex_numIfEllfS2_S2_EEvT3_20rocsparse_direction_NS_24const_host_device_scalarIT1_EES3_PKS3_PKT2_SC_S9_PKT4_PKT5_S7_PT6_21rocsparse_index_base_b,"axG",@progbits,_ZN9rocsparseL18bsrxmvn_4x4_kernelILj128ELj4E21rocsparse_complex_numIfEllfS2_S2_EEvT3_20rocsparse_direction_NS_24const_host_device_scalarIT1_EES3_PKS3_PKT2_SC_S9_PKT4_PKT5_S7_PT6_21rocsparse_index_base_b,comdat
.Lfunc_end130:
	.size	_ZN9rocsparseL18bsrxmvn_4x4_kernelILj128ELj4E21rocsparse_complex_numIfEllfS2_S2_EEvT3_20rocsparse_direction_NS_24const_host_device_scalarIT1_EES3_PKS3_PKT2_SC_S9_PKT4_PKT5_S7_PT6_21rocsparse_index_base_b, .Lfunc_end130-_ZN9rocsparseL18bsrxmvn_4x4_kernelILj128ELj4E21rocsparse_complex_numIfEllfS2_S2_EEvT3_20rocsparse_direction_NS_24const_host_device_scalarIT1_EES3_PKS3_PKT2_SC_S9_PKT4_PKT5_S7_PT6_21rocsparse_index_base_b
                                        ; -- End function
	.set _ZN9rocsparseL18bsrxmvn_4x4_kernelILj128ELj4E21rocsparse_complex_numIfEllfS2_S2_EEvT3_20rocsparse_direction_NS_24const_host_device_scalarIT1_EES3_PKS3_PKT2_SC_S9_PKT4_PKT5_S7_PT6_21rocsparse_index_base_b.num_vgpr, 62
	.set _ZN9rocsparseL18bsrxmvn_4x4_kernelILj128ELj4E21rocsparse_complex_numIfEllfS2_S2_EEvT3_20rocsparse_direction_NS_24const_host_device_scalarIT1_EES3_PKS3_PKT2_SC_S9_PKT4_PKT5_S7_PT6_21rocsparse_index_base_b.num_agpr, 0
	.set _ZN9rocsparseL18bsrxmvn_4x4_kernelILj128ELj4E21rocsparse_complex_numIfEllfS2_S2_EEvT3_20rocsparse_direction_NS_24const_host_device_scalarIT1_EES3_PKS3_PKT2_SC_S9_PKT4_PKT5_S7_PT6_21rocsparse_index_base_b.numbered_sgpr, 17
	.set _ZN9rocsparseL18bsrxmvn_4x4_kernelILj128ELj4E21rocsparse_complex_numIfEllfS2_S2_EEvT3_20rocsparse_direction_NS_24const_host_device_scalarIT1_EES3_PKS3_PKT2_SC_S9_PKT4_PKT5_S7_PT6_21rocsparse_index_base_b.num_named_barrier, 0
	.set _ZN9rocsparseL18bsrxmvn_4x4_kernelILj128ELj4E21rocsparse_complex_numIfEllfS2_S2_EEvT3_20rocsparse_direction_NS_24const_host_device_scalarIT1_EES3_PKS3_PKT2_SC_S9_PKT4_PKT5_S7_PT6_21rocsparse_index_base_b.private_seg_size, 0
	.set _ZN9rocsparseL18bsrxmvn_4x4_kernelILj128ELj4E21rocsparse_complex_numIfEllfS2_S2_EEvT3_20rocsparse_direction_NS_24const_host_device_scalarIT1_EES3_PKS3_PKT2_SC_S9_PKT4_PKT5_S7_PT6_21rocsparse_index_base_b.uses_vcc, 1
	.set _ZN9rocsparseL18bsrxmvn_4x4_kernelILj128ELj4E21rocsparse_complex_numIfEllfS2_S2_EEvT3_20rocsparse_direction_NS_24const_host_device_scalarIT1_EES3_PKS3_PKT2_SC_S9_PKT4_PKT5_S7_PT6_21rocsparse_index_base_b.uses_flat_scratch, 0
	.set _ZN9rocsparseL18bsrxmvn_4x4_kernelILj128ELj4E21rocsparse_complex_numIfEllfS2_S2_EEvT3_20rocsparse_direction_NS_24const_host_device_scalarIT1_EES3_PKS3_PKT2_SC_S9_PKT4_PKT5_S7_PT6_21rocsparse_index_base_b.has_dyn_sized_stack, 0
	.set _ZN9rocsparseL18bsrxmvn_4x4_kernelILj128ELj4E21rocsparse_complex_numIfEllfS2_S2_EEvT3_20rocsparse_direction_NS_24const_host_device_scalarIT1_EES3_PKS3_PKT2_SC_S9_PKT4_PKT5_S7_PT6_21rocsparse_index_base_b.has_recursion, 0
	.set _ZN9rocsparseL18bsrxmvn_4x4_kernelILj128ELj4E21rocsparse_complex_numIfEllfS2_S2_EEvT3_20rocsparse_direction_NS_24const_host_device_scalarIT1_EES3_PKS3_PKT2_SC_S9_PKT4_PKT5_S7_PT6_21rocsparse_index_base_b.has_indirect_call, 0
	.section	.AMDGPU.csdata,"",@progbits
; Kernel info:
; codeLenInByte = 6028
; TotalNumSgprs: 21
; NumVgprs: 62
; ScratchSize: 0
; MemoryBound: 0
; FloatMode: 240
; IeeeMode: 1
; LDSByteSize: 0 bytes/workgroup (compile time only)
; SGPRBlocks: 2
; VGPRBlocks: 15
; NumSGPRsForWavesPerEU: 21
; NumVGPRsForWavesPerEU: 62
; Occupancy: 4
; WaveLimiterHint : 1
; COMPUTE_PGM_RSRC2:SCRATCH_EN: 0
; COMPUTE_PGM_RSRC2:USER_SGPR: 6
; COMPUTE_PGM_RSRC2:TRAP_HANDLER: 0
; COMPUTE_PGM_RSRC2:TGID_X_EN: 1
; COMPUTE_PGM_RSRC2:TGID_Y_EN: 0
; COMPUTE_PGM_RSRC2:TGID_Z_EN: 0
; COMPUTE_PGM_RSRC2:TIDIG_COMP_CNT: 0
	.section	.text._ZN9rocsparseL18bsrxmvn_4x4_kernelILj128ELj8E21rocsparse_complex_numIfEllfS2_S2_EEvT3_20rocsparse_direction_NS_24const_host_device_scalarIT1_EES3_PKS3_PKT2_SC_S9_PKT4_PKT5_S7_PT6_21rocsparse_index_base_b,"axG",@progbits,_ZN9rocsparseL18bsrxmvn_4x4_kernelILj128ELj8E21rocsparse_complex_numIfEllfS2_S2_EEvT3_20rocsparse_direction_NS_24const_host_device_scalarIT1_EES3_PKS3_PKT2_SC_S9_PKT4_PKT5_S7_PT6_21rocsparse_index_base_b,comdat
	.globl	_ZN9rocsparseL18bsrxmvn_4x4_kernelILj128ELj8E21rocsparse_complex_numIfEllfS2_S2_EEvT3_20rocsparse_direction_NS_24const_host_device_scalarIT1_EES3_PKS3_PKT2_SC_S9_PKT4_PKT5_S7_PT6_21rocsparse_index_base_b ; -- Begin function _ZN9rocsparseL18bsrxmvn_4x4_kernelILj128ELj8E21rocsparse_complex_numIfEllfS2_S2_EEvT3_20rocsparse_direction_NS_24const_host_device_scalarIT1_EES3_PKS3_PKT2_SC_S9_PKT4_PKT5_S7_PT6_21rocsparse_index_base_b
	.p2align	8
	.type	_ZN9rocsparseL18bsrxmvn_4x4_kernelILj128ELj8E21rocsparse_complex_numIfEllfS2_S2_EEvT3_20rocsparse_direction_NS_24const_host_device_scalarIT1_EES3_PKS3_PKT2_SC_S9_PKT4_PKT5_S7_PT6_21rocsparse_index_base_b,@function
_ZN9rocsparseL18bsrxmvn_4x4_kernelILj128ELj8E21rocsparse_complex_numIfEllfS2_S2_EEvT3_20rocsparse_direction_NS_24const_host_device_scalarIT1_EES3_PKS3_PKT2_SC_S9_PKT4_PKT5_S7_PT6_21rocsparse_index_base_b: ; @_ZN9rocsparseL18bsrxmvn_4x4_kernelILj128ELj8E21rocsparse_complex_numIfEllfS2_S2_EEvT3_20rocsparse_direction_NS_24const_host_device_scalarIT1_EES3_PKS3_PKT2_SC_S9_PKT4_PKT5_S7_PT6_21rocsparse_index_base_b
; %bb.0:
	s_load_dwordx4 s[0:3], s[4:5], 0x10
	s_load_dwordx2 s[8:9], s[4:5], 0x60
	s_add_u32 s7, s4, 16
	s_addc_u32 s12, s5, 0
	s_add_u32 s13, s4, 0x50
	s_load_dwordx2 s[10:11], s[4:5], 0x50
	s_addc_u32 s14, s5, 0
	s_waitcnt lgkmcnt(0)
	s_bitcmp1_b32 s9, 0
	s_cselect_b32 s1, s12, s1
	s_cselect_b32 s0, s7, s0
	v_mov_b32_e32 v1, s0
	v_mov_b32_e32 v2, s1
	flat_load_dwordx2 v[10:11], v[1:2]
	s_cselect_b32 s0, s14, s11
	s_cselect_b32 s1, s13, s10
	v_mov_b32_e32 v1, s1
	v_mov_b32_e32 v2, s0
	flat_load_dwordx2 v[8:9], v[1:2]
	s_waitcnt vmcnt(0) lgkmcnt(0)
	v_cmp_eq_f32_e32 vcc, 0, v10
	v_cmp_eq_f32_e64 s[0:1], 0, v11
	s_and_b64 s[12:13], vcc, s[0:1]
	s_mov_b64 s[0:1], -1
	s_and_saveexec_b64 s[10:11], s[12:13]
; %bb.1:
	v_cmp_neq_f32_e32 vcc, 1.0, v8
	v_cmp_neq_f32_e64 s[0:1], 0, v9
	s_or_b64 s[0:1], vcc, s[0:1]
	s_orn2_b64 s[0:1], s[0:1], exec
; %bb.2:
	s_or_b64 exec, exec, s[10:11]
	s_and_saveexec_b64 s[10:11], s[0:1]
	s_cbranch_execz .LBB131_8
; %bb.3:
	s_load_dwordx2 s[10:11], s[4:5], 0x20
	v_lshrrev_b32_e32 v1, 3, v0
	v_lshl_or_b32 v3, s6, 4, v1
	v_mov_b32_e32 v4, 0
	s_mov_b64 s[0:1], 0
	s_waitcnt lgkmcnt(0)
	s_cmp_lg_u64 s[10:11], 0
	s_cbranch_scc0 .LBB131_9
; %bb.4:
	v_cmp_gt_i64_e32 vcc, s[2:3], v[3:4]
                                        ; implicit-def: $vgpr12_vgpr13
                                        ; implicit-def: $vgpr1_vgpr2
	s_and_saveexec_b64 s[2:3], vcc
	s_xor_b64 s[2:3], exec, s[2:3]
	s_cbranch_execz .LBB131_6
; %bb.5:
	v_lshlrev_b64 v[1:2], 3, v[3:4]
	v_mov_b32_e32 v5, s11
	v_add_co_u32_e32 v1, vcc, s10, v1
	v_addc_co_u32_e32 v2, vcc, v5, v2, vcc
	global_load_dwordx2 v[1:2], v[1:2], off
	s_mov_b32 s9, 0
	s_mov_b64 s[0:1], exec
	s_waitcnt vmcnt(0)
	v_subrev_co_u32_e32 v12, vcc, s8, v1
	v_subbrev_co_u32_e32 v13, vcc, 0, v2, vcc
	v_mov_b32_e32 v1, s8
	v_mov_b32_e32 v2, s9
.LBB131_6:
	s_or_b64 exec, exec, s[2:3]
.LBB131_7:
	s_and_b64 exec, exec, s[0:1]
	s_cbranch_execnz .LBB131_13
.LBB131_8:
	s_endpgm
.LBB131_9:
                                        ; implicit-def: $vgpr12_vgpr13
                                        ; implicit-def: $vgpr1_vgpr2
	s_cbranch_execz .LBB131_7
; %bb.10:
	s_load_dwordx2 s[2:3], s[4:5], 0x0
	s_waitcnt lgkmcnt(0)
	v_cmp_gt_i64_e32 vcc, s[2:3], v[3:4]
	s_and_saveexec_b64 s[2:3], vcc
; %bb.11:
	s_mov_b32 s9, 0
	s_or_b64 s[0:1], s[0:1], exec
; %bb.12:
	s_or_b64 exec, exec, s[2:3]
	v_mov_b32_e32 v1, s8
	v_mov_b32_e32 v13, v4
	v_mov_b32_e32 v2, s9
	v_mov_b32_e32 v12, v3
	s_and_b64 exec, exec, s[0:1]
	s_cbranch_execz .LBB131_8
.LBB131_13:
	s_load_dwordx8 s[8:15], s[4:5], 0x28
	v_lshlrev_b64 v[3:4], 3, v[12:13]
	v_and_b32_e32 v0, 7, v0
	s_waitcnt lgkmcnt(0)
	v_mov_b32_e32 v6, s9
	v_add_co_u32_e32 v5, vcc, s8, v3
	v_addc_co_u32_e32 v6, vcc, v6, v4, vcc
	global_load_dwordx2 v[18:19], v[5:6], off
	v_add_co_u32_e32 v5, vcc, 8, v5
	v_addc_co_u32_e32 v6, vcc, 0, v6, vcc
	v_mov_b32_e32 v7, s11
	v_add_co_u32_e32 v3, vcc, s10, v3
	s_cmp_eq_u64 s[10:11], 0
	v_addc_co_u32_e32 v4, vcc, v7, v4, vcc
	s_cselect_b64 vcc, -1, 0
	v_cndmask_b32_e32 v4, v4, v6, vcc
	v_cndmask_b32_e32 v3, v3, v5, vcc
	global_load_dwordx2 v[5:6], v[3:4], off
	s_load_dword s0, s[4:5], 0x8
	s_load_dwordx2 s[6:7], s[4:5], 0x48
	v_mov_b32_e32 v16, s15
	v_mov_b32_e32 v7, 0
	s_waitcnt lgkmcnt(0)
	s_cmp_eq_u32 s0, 1
	s_waitcnt vmcnt(1)
	v_sub_co_u32_e32 v3, vcc, v18, v1
	v_subb_co_u32_e32 v4, vcc, v19, v2, vcc
	v_add_co_u32_e32 v3, vcc, v3, v0
	v_addc_co_u32_e32 v4, vcc, 0, v4, vcc
	v_lshlrev_b64 v[14:15], 6, v[3:4]
	s_waitcnt vmcnt(0)
	v_sub_co_u32_e32 v5, vcc, v5, v1
	v_subb_co_u32_e32 v6, vcc, v6, v2, vcc
	v_cmp_lt_i64_e64 s[0:1], v[3:4], v[5:6]
	v_add_co_u32_e32 v14, vcc, s14, v14
	v_addc_co_u32_e32 v15, vcc, v16, v15, vcc
	s_cbranch_scc1 .LBB131_25
; %bb.14:
	v_mov_b32_e32 v34, 0
	v_mov_b32_e32 v31, 0
	;; [unrolled: 1-line block ×7, first 2 shown]
	s_and_saveexec_b64 s[8:9], s[0:1]
	s_cbranch_execz .LBB131_24
; %bb.15:
	v_or_b32_e32 v7, 8, v0
	v_sub_co_u32_e32 v7, vcc, v7, v1
	v_subb_co_u32_e32 v17, vcc, 0, v2, vcc
	v_add_co_u32_e32 v16, vcc, v7, v18
	v_addc_co_u32_e32 v17, vcc, v17, v19, vcc
	v_cmp_gt_i64_e32 vcc, v[16:17], v[5:6]
	v_not_b32_e32 v20, v18
	v_cndmask_b32_e32 v7, v6, v17, vcc
	v_cndmask_b32_e32 v16, v5, v16, vcc
	v_sub_co_u32_e32 v21, vcc, v1, v0
	v_subbrev_co_u32_e32 v22, vcc, 0, v2, vcc
	v_not_b32_e32 v17, v19
	v_add_co_u32_e32 v20, vcc, v21, v20
	v_addc_co_u32_e32 v17, vcc, v22, v17, vcc
	v_add_co_u32_e32 v24, vcc, v20, v16
	v_addc_co_u32_e32 v25, vcc, v17, v7, vcc
	v_and_b32_e32 v16, 24, v24
	v_mov_b32_e32 v17, 0
	v_cmp_ne_u64_e32 vcc, 24, v[16:17]
	v_mov_b32_e32 v21, v15
	v_mov_b32_e32 v23, v4
	;; [unrolled: 1-line block ×11, first 2 shown]
	s_and_saveexec_b64 s[10:11], vcc
	s_cbranch_execz .LBB131_19
; %bb.16:
	v_lshlrev_b64 v[16:17], 3, v[3:4]
	v_lshrrev_b32_e32 v7, 3, v24
	v_add_u32_e32 v7, 1, v7
	v_mov_b32_e32 v21, s13
	v_add_co_u32_e32 v26, vcc, s12, v16
	v_and_b32_e32 v20, 3, v7
	v_addc_co_u32_e32 v27, vcc, v21, v17, vcc
	v_sub_co_u32_e32 v28, vcc, 0, v20
	v_mov_b32_e32 v23, v4
	v_mov_b32_e32 v21, v15
	;; [unrolled: 1-line block ×3, first 2 shown]
	s_mov_b64 s[14:15], 0
	v_subb_co_u32_e64 v29, s[2:3], 0, 0, vcc
	s_movk_i32 s16, 0x200
	v_mov_b32_e32 v35, s7
	v_mov_b32_e32 v22, v3
	;; [unrolled: 1-line block ×10, first 2 shown]
.LBB131_17:                             ; =>This Inner Loop Header: Depth=1
	global_load_dwordx2 v[52:53], v[26:27], off
	global_load_dwordx4 v[36:39], v[20:21], off
	global_load_dwordx4 v[40:43], v[20:21], off offset:16
	global_load_dwordx4 v[44:47], v[20:21], off offset:32
	;; [unrolled: 1-line block ×3, first 2 shown]
	v_add_co_u32_e64 v22, s[2:3], 8, v22
	v_addc_co_u32_e64 v23, s[2:3], 0, v23, s[2:3]
	v_add_co_u32_e64 v26, s[2:3], 64, v26
	v_addc_co_u32_e64 v27, s[2:3], 0, v27, s[2:3]
	;; [unrolled: 2-line block ×3, first 2 shown]
	v_cmp_eq_u64_e64 s[2:3], 0, v[28:29]
	s_or_b64 s[14:15], s[2:3], s[14:15]
	s_waitcnt vmcnt(4)
	v_sub_co_u32_e32 v52, vcc, v52, v1
	v_subb_co_u32_e32 v53, vcc, v53, v2, vcc
	v_lshlrev_b64 v[52:53], 5, v[52:53]
	v_add_co_u32_e32 v60, vcc, s6, v52
	v_addc_co_u32_e32 v61, vcc, v35, v53, vcc
	global_load_dwordx4 v[52:55], v[60:61], off
	global_load_dwordx4 v[56:59], v[60:61], off offset:16
	v_add_co_u32_e32 v20, vcc, s16, v20
	v_addc_co_u32_e32 v21, vcc, 0, v21, vcc
	s_waitcnt vmcnt(1)
	v_fmac_f32_e32 v34, v36, v52
	v_fmac_f32_e32 v7, 0, v52
	;; [unrolled: 1-line block ×32, first 2 shown]
	s_waitcnt vmcnt(0)
	v_fmac_f32_e32 v34, v38, v56
	v_fmac_f32_e32 v7, 0, v56
	;; [unrolled: 1-line block ×32, first 2 shown]
	s_andn2_b64 exec, exec, s[14:15]
	s_cbranch_execnz .LBB131_17
; %bb.18:
	s_or_b64 exec, exec, s[14:15]
.LBB131_19:
	s_or_b64 exec, exec, s[10:11]
	v_cmp_lt_u64_e32 vcc, 23, v[24:25]
	s_and_saveexec_b64 s[2:3], vcc
	s_cbranch_execz .LBB131_23
; %bb.20:
	v_lshlrev_b64 v[24:25], 3, v[22:23]
	v_mov_b32_e32 v26, s13
	v_add_co_u32_e32 v24, vcc, s12, v24
	v_addc_co_u32_e32 v25, vcc, v26, v25, vcc
	v_add_co_u32_e32 v24, vcc, 0x80, v24
	v_addc_co_u32_e32 v25, vcc, 0, v25, vcc
	s_mov_b64 s[10:11], 0
	v_mov_b32_e32 v26, s7
	s_movk_i32 s14, 0x800
.LBB131_21:                             ; =>This Inner Loop Header: Depth=1
	global_load_dwordx2 v[27:28], v[24:25], off offset:-128
	global_load_dwordx4 v[35:38], v[20:21], off offset:48
	global_load_dwordx4 v[39:42], v[20:21], off offset:32
	;; [unrolled: 1-line block ×3, first 2 shown]
	global_load_dwordx4 v[47:50], v[20:21], off
	s_waitcnt vmcnt(4)
	v_sub_co_u32_e32 v27, vcc, v27, v1
	v_subb_co_u32_e32 v28, vcc, v28, v2, vcc
	v_lshlrev_b64 v[27:28], 5, v[27:28]
	v_add_co_u32_e32 v27, vcc, s6, v27
	v_addc_co_u32_e32 v28, vcc, v26, v28, vcc
	global_load_dwordx4 v[51:54], v[27:28], off offset:16
	global_load_dwordx4 v[55:58], v[27:28], off
	s_waitcnt vmcnt(0)
	v_fmac_f32_e32 v34, v47, v55
	global_load_dwordx2 v[27:28], v[24:25], off offset:-64
	v_fmac_f32_e32 v7, 0, v55
	v_fmac_f32_e32 v33, v43, v55
	;; [unrolled: 1-line block ×63, first 2 shown]
	global_load_dwordx4 v[35:38], v[20:21], off offset:560
	global_load_dwordx4 v[39:42], v[20:21], off offset:544
	;; [unrolled: 1-line block ×4, first 2 shown]
	s_waitcnt vmcnt(4)
	v_sub_co_u32_e32 v27, vcc, v27, v1
	v_subb_co_u32_e32 v28, vcc, v28, v2, vcc
	v_lshlrev_b64 v[27:28], 5, v[27:28]
	v_add_co_u32_e32 v27, vcc, s6, v27
	v_addc_co_u32_e32 v28, vcc, v26, v28, vcc
	global_load_dwordx4 v[51:54], v[27:28], off offset:16
	global_load_dwordx4 v[55:58], v[27:28], off
	s_waitcnt vmcnt(0)
	v_fmac_f32_e32 v34, v47, v55
	global_load_dwordx2 v[27:28], v[24:25], off
	v_fmac_f32_e32 v7, 0, v55
	v_fmac_f32_e32 v33, v43, v55
	;; [unrolled: 1-line block ×63, first 2 shown]
	global_load_dwordx4 v[35:38], v[20:21], off offset:1072
	global_load_dwordx4 v[39:42], v[20:21], off offset:1056
	;; [unrolled: 1-line block ×4, first 2 shown]
	s_waitcnt vmcnt(4)
	v_sub_co_u32_e32 v27, vcc, v27, v1
	v_subb_co_u32_e32 v28, vcc, v28, v2, vcc
	v_lshlrev_b64 v[27:28], 5, v[27:28]
	v_add_co_u32_e32 v27, vcc, s6, v27
	v_addc_co_u32_e32 v28, vcc, v26, v28, vcc
	global_load_dwordx4 v[51:54], v[27:28], off offset:16
	global_load_dwordx4 v[55:58], v[27:28], off
	s_waitcnt vmcnt(0)
	v_fmac_f32_e32 v34, v47, v55
	global_load_dwordx2 v[27:28], v[24:25], off offset:64
	v_fmac_f32_e32 v7, 0, v55
	v_fmac_f32_e32 v33, v43, v55
	;; [unrolled: 1-line block ×63, first 2 shown]
	global_load_dwordx4 v[35:38], v[20:21], off offset:1584
	global_load_dwordx4 v[39:42], v[20:21], off offset:1568
	;; [unrolled: 1-line block ×4, first 2 shown]
	s_waitcnt vmcnt(4)
	v_sub_co_u32_e32 v27, vcc, v27, v1
	v_subb_co_u32_e32 v28, vcc, v28, v2, vcc
	v_lshlrev_b64 v[27:28], 5, v[27:28]
	v_add_co_u32_e32 v27, vcc, s6, v27
	v_addc_co_u32_e32 v28, vcc, v26, v28, vcc
	global_load_dwordx4 v[51:54], v[27:28], off offset:16
	global_load_dwordx4 v[55:58], v[27:28], off
	v_add_co_u32_e32 v20, vcc, s14, v20
	v_addc_co_u32_e32 v21, vcc, 0, v21, vcc
	v_add_co_u32_e32 v22, vcc, 32, v22
	v_addc_co_u32_e32 v23, vcc, 0, v23, vcc
	;; [unrolled: 2-line block ×3, first 2 shown]
	v_cmp_ge_i64_e32 vcc, v[22:23], v[5:6]
	s_or_b64 s[10:11], vcc, s[10:11]
	s_waitcnt vmcnt(0)
	v_fmac_f32_e32 v34, v47, v55
	v_fmac_f32_e32 v7, 0, v55
	;; [unrolled: 1-line block ×64, first 2 shown]
	s_andn2_b64 exec, exec, s[10:11]
	s_cbranch_execnz .LBB131_21
; %bb.22:
	s_or_b64 exec, exec, s[10:11]
.LBB131_23:
	s_or_b64 exec, exec, s[2:3]
.LBB131_24:
	s_or_b64 exec, exec, s[8:9]
	s_cbranch_execz .LBB131_26
	s_branch .LBB131_37
.LBB131_25:
                                        ; implicit-def: $vgpr7
                                        ; implicit-def: $vgpr34
                                        ; implicit-def: $vgpr31
                                        ; implicit-def: $vgpr33
                                        ; implicit-def: $vgpr30
                                        ; implicit-def: $vgpr32
                                        ; implicit-def: $vgpr16
                                        ; implicit-def: $vgpr17
.LBB131_26:
	v_mov_b32_e32 v7, 0
	v_mov_b32_e32 v34, 0
	;; [unrolled: 1-line block ×8, first 2 shown]
	s_and_saveexec_b64 s[2:3], s[0:1]
	s_cbranch_execz .LBB131_36
; %bb.27:
	v_or_b32_e32 v7, 8, v0
	v_sub_co_u32_e32 v7, vcc, v7, v1
	v_subb_co_u32_e32 v17, vcc, 0, v2, vcc
	v_add_co_u32_e32 v16, vcc, v7, v18
	v_addc_co_u32_e32 v17, vcc, v17, v19, vcc
	v_cmp_gt_i64_e32 vcc, v[16:17], v[5:6]
	v_not_b32_e32 v18, v18
	v_cndmask_b32_e32 v7, v6, v17, vcc
	v_cndmask_b32_e32 v16, v5, v16, vcc
	v_not_b32_e32 v17, v19
	v_sub_co_u32_e32 v19, vcc, v1, v0
	v_subbrev_co_u32_e32 v20, vcc, 0, v2, vcc
	v_add_co_u32_e32 v18, vcc, v19, v18
	v_addc_co_u32_e32 v17, vcc, v20, v17, vcc
	v_add_co_u32_e32 v18, vcc, v18, v16
	v_addc_co_u32_e32 v19, vcc, v17, v7, vcc
	v_and_b32_e32 v16, 24, v18
	v_mov_b32_e32 v17, 0
	v_cmp_ne_u64_e32 vcc, 24, v[16:17]
	v_mov_b32_e32 v16, v17
	v_mov_b32_e32 v32, v17
	;; [unrolled: 1-line block ×7, first 2 shown]
	s_and_saveexec_b64 s[8:9], vcc
	s_cbranch_execz .LBB131_31
; %bb.28:
	v_lshlrev_b64 v[16:17], 3, v[3:4]
	v_lshrrev_b32_e32 v7, 3, v18
	v_add_u32_e32 v7, 1, v7
	v_mov_b32_e32 v21, s13
	v_add_co_u32_e32 v20, vcc, s12, v16
	v_and_b32_e32 v22, 3, v7
	v_addc_co_u32_e32 v21, vcc, v21, v17, vcc
	v_sub_co_u32_e32 v22, vcc, 0, v22
	v_mov_b32_e32 v7, 0
	s_mov_b64 s[10:11], 0
	v_subb_co_u32_e64 v23, s[0:1], 0, 0, vcc
	s_movk_i32 s14, 0x200
	v_mov_b32_e32 v24, s7
	v_mov_b32_e32 v34, 0
	;; [unrolled: 1-line block ×8, first 2 shown]
.LBB131_29:                             ; =>This Inner Loop Header: Depth=1
	global_load_dwordx2 v[43:44], v[20:21], off
	global_load_dwordx4 v[25:28], v[14:15], off offset:32
	global_load_dwordx4 v[35:38], v[14:15], off offset:16
	global_load_dwordx4 v[39:42], v[14:15], off
	v_add_co_u32_e64 v3, s[0:1], 8, v3
	v_addc_co_u32_e64 v4, s[0:1], 0, v4, s[0:1]
	v_add_co_u32_e64 v20, s[0:1], 64, v20
	v_addc_co_u32_e64 v21, s[0:1], 0, v21, s[0:1]
	;; [unrolled: 2-line block ×3, first 2 shown]
	v_cmp_eq_u64_e64 s[0:1], 0, v[22:23]
	s_or_b64 s[10:11], s[0:1], s[10:11]
	s_waitcnt vmcnt(3)
	v_sub_co_u32_e32 v43, vcc, v43, v1
	v_subb_co_u32_e32 v44, vcc, v44, v2, vcc
	v_lshlrev_b64 v[43:44], 5, v[43:44]
	v_add_co_u32_e32 v55, vcc, s6, v43
	v_addc_co_u32_e32 v56, vcc, v24, v44, vcc
	global_load_dwordx4 v[43:46], v[55:56], off
	global_load_dwordx4 v[47:50], v[55:56], off offset:16
	global_load_dwordx4 v[51:54], v[14:15], off offset:48
	v_add_co_u32_e32 v14, vcc, s14, v14
	v_addc_co_u32_e32 v15, vcc, 0, v15, vcc
	s_waitcnt vmcnt(2)
	v_fmac_f32_e32 v34, v39, v43
	v_fmac_f32_e32 v7, 0, v43
	;; [unrolled: 1-line block ×32, first 2 shown]
	s_waitcnt vmcnt(1)
	v_fmac_f32_e32 v34, v25, v47
	v_fmac_f32_e32 v7, 0, v47
	;; [unrolled: 1-line block ×16, first 2 shown]
	s_waitcnt vmcnt(0)
	v_fmac_f32_e32 v34, v51, v49
	v_fmac_f32_e32 v7, 0, v49
	;; [unrolled: 1-line block ×16, first 2 shown]
	s_andn2_b64 exec, exec, s[10:11]
	s_cbranch_execnz .LBB131_29
; %bb.30:
	s_or_b64 exec, exec, s[10:11]
.LBB131_31:
	s_or_b64 exec, exec, s[8:9]
	v_cmp_lt_u64_e32 vcc, 23, v[18:19]
	s_and_saveexec_b64 s[0:1], vcc
	s_cbranch_execz .LBB131_35
; %bb.32:
	v_lshlrev_b64 v[18:19], 3, v[3:4]
	v_mov_b32_e32 v20, s13
	v_add_co_u32_e32 v18, vcc, s12, v18
	v_addc_co_u32_e32 v19, vcc, v20, v19, vcc
	v_add_co_u32_e32 v18, vcc, 0x80, v18
	v_addc_co_u32_e32 v19, vcc, 0, v19, vcc
	s_mov_b64 s[8:9], 0
	v_mov_b32_e32 v20, s7
	s_movk_i32 s7, 0x800
.LBB131_33:                             ; =>This Inner Loop Header: Depth=1
	global_load_dwordx2 v[21:22], v[18:19], off offset:-128
	s_waitcnt vmcnt(0)
	v_sub_co_u32_e32 v43, vcc, v21, v1
	v_subb_co_u32_e32 v44, vcc, v22, v2, vcc
	v_lshlrev_b64 v[43:44], 5, v[43:44]
	global_load_dwordx4 v[21:24], v[14:15], off offset:48
	global_load_dwordx4 v[25:28], v[14:15], off offset:32
	;; [unrolled: 1-line block ×3, first 2 shown]
	global_load_dwordx4 v[39:42], v[14:15], off
	v_add_co_u32_e32 v51, vcc, s6, v43
	v_addc_co_u32_e32 v52, vcc, v20, v44, vcc
	global_load_dwordx4 v[43:46], v[51:52], off offset:16
	global_load_dwordx4 v[47:50], v[51:52], off
	s_waitcnt vmcnt(0)
	v_fmac_f32_e32 v7, 0, v47
	v_fmac_f32_e32 v31, 0, v47
	;; [unrolled: 1-line block ×30, first 2 shown]
	global_load_dwordx2 v[21:22], v[18:19], off offset:-64
	v_fmac_f32_e32 v32, v41, v47
	v_fmac_f32_e32 v30, 0, v47
	v_fmac_f32_e32 v17, v42, v47
	v_fmac_f32_e32 v16, 0, v47
	v_fmac_f32_e32 v32, 0x80000000, v48
	v_fmac_f32_e32 v30, v41, v48
	v_fmac_f32_e32 v17, 0x80000000, v48
	v_fmac_f32_e32 v16, v42, v48
	v_fmac_f32_e32 v32, v37, v49
	v_fmac_f32_e32 v30, 0, v49
	v_fmac_f32_e32 v17, v38, v49
	v_fmac_f32_e32 v16, 0, v49
	v_fmac_f32_e32 v32, 0x80000000, v50
	v_fmac_f32_e32 v30, v37, v50
	v_fmac_f32_e32 v17, 0x80000000, v50
	v_fmac_f32_e32 v16, v38, v50
	v_fmac_f32_e32 v32, v27, v43
	v_fmac_f32_e32 v30, 0, v43
	v_fmac_f32_e32 v17, v28, v43
	v_fmac_f32_e32 v16, 0, v43
	v_fmac_f32_e32 v32, 0x80000000, v44
	v_fmac_f32_e32 v30, v27, v44
	v_fmac_f32_e32 v17, 0x80000000, v44
	v_fmac_f32_e32 v16, v28, v44
	v_fmac_f32_e32 v32, v23, v45
	v_fmac_f32_e32 v30, 0, v45
	v_fmac_f32_e32 v17, v24, v45
	v_fmac_f32_e32 v16, 0, v45
	v_fmac_f32_e32 v34, 0x80000000, v46
	v_fmac_f32_e32 v33, 0x80000000, v46
	v_fmac_f32_e32 v32, 0x80000000, v46
	v_fmac_f32_e32 v30, v23, v46
	v_fmac_f32_e32 v17, 0x80000000, v46
	v_fmac_f32_e32 v16, v24, v46
	s_waitcnt vmcnt(0)
	v_sub_co_u32_e32 v43, vcc, v21, v1
	v_subb_co_u32_e32 v44, vcc, v22, v2, vcc
	v_lshlrev_b64 v[43:44], 5, v[43:44]
	global_load_dwordx4 v[21:24], v[14:15], off offset:560
	global_load_dwordx4 v[25:28], v[14:15], off offset:544
	;; [unrolled: 1-line block ×4, first 2 shown]
	v_add_co_u32_e32 v51, vcc, s6, v43
	v_addc_co_u32_e32 v52, vcc, v20, v44, vcc
	global_load_dwordx4 v[43:46], v[51:52], off offset:16
	global_load_dwordx4 v[47:50], v[51:52], off
	s_waitcnt vmcnt(0)
	v_fmac_f32_e32 v7, 0, v47
	v_fmac_f32_e32 v31, 0, v47
	;; [unrolled: 1-line block ×30, first 2 shown]
	global_load_dwordx2 v[21:22], v[18:19], off
	v_fmac_f32_e32 v32, v41, v47
	v_fmac_f32_e32 v30, 0, v47
	;; [unrolled: 1-line block ×34, first 2 shown]
	s_waitcnt vmcnt(0)
	v_sub_co_u32_e32 v43, vcc, v21, v1
	v_subb_co_u32_e32 v44, vcc, v22, v2, vcc
	v_lshlrev_b64 v[43:44], 5, v[43:44]
	global_load_dwordx4 v[21:24], v[14:15], off offset:1072
	global_load_dwordx4 v[25:28], v[14:15], off offset:1056
	;; [unrolled: 1-line block ×4, first 2 shown]
	v_add_co_u32_e32 v51, vcc, s6, v43
	v_addc_co_u32_e32 v52, vcc, v20, v44, vcc
	global_load_dwordx4 v[43:46], v[51:52], off offset:16
	global_load_dwordx4 v[47:50], v[51:52], off
	s_waitcnt vmcnt(0)
	v_fmac_f32_e32 v7, 0, v47
	v_fmac_f32_e32 v31, 0, v47
	;; [unrolled: 1-line block ×30, first 2 shown]
	global_load_dwordx2 v[21:22], v[18:19], off offset:64
	v_fmac_f32_e32 v32, v41, v47
	v_fmac_f32_e32 v30, 0, v47
	;; [unrolled: 1-line block ×34, first 2 shown]
	s_waitcnt vmcnt(0)
	v_sub_co_u32_e32 v43, vcc, v21, v1
	v_subb_co_u32_e32 v44, vcc, v22, v2, vcc
	v_lshlrev_b64 v[43:44], 5, v[43:44]
	global_load_dwordx4 v[21:24], v[14:15], off offset:1584
	global_load_dwordx4 v[25:28], v[14:15], off offset:1568
	;; [unrolled: 1-line block ×4, first 2 shown]
	v_add_co_u32_e32 v51, vcc, s6, v43
	v_addc_co_u32_e32 v52, vcc, v20, v44, vcc
	global_load_dwordx4 v[43:46], v[51:52], off offset:16
	global_load_dwordx4 v[47:50], v[51:52], off
	v_add_co_u32_e32 v14, vcc, s7, v14
	v_addc_co_u32_e32 v15, vcc, 0, v15, vcc
	v_add_co_u32_e32 v3, vcc, 32, v3
	v_addc_co_u32_e32 v4, vcc, 0, v4, vcc
	;; [unrolled: 2-line block ×3, first 2 shown]
	v_cmp_ge_i64_e32 vcc, v[3:4], v[5:6]
	s_or_b64 s[8:9], vcc, s[8:9]
	s_waitcnt vmcnt(0)
	v_fmac_f32_e32 v34, v39, v47
	v_fmac_f32_e32 v7, 0, v47
	;; [unrolled: 1-line block ×64, first 2 shown]
	s_andn2_b64 exec, exec, s[8:9]
	s_cbranch_execnz .LBB131_33
; %bb.34:
	s_or_b64 exec, exec, s[8:9]
.LBB131_35:
	s_or_b64 exec, exec, s[0:1]
.LBB131_36:
	s_or_b64 exec, exec, s[2:3]
.LBB131_37:
	v_mov_b32_dpp v3, v7 row_shr:1 row_mask:0xf bank_mask:0xf
	v_mov_b32_dpp v1, v34 row_shr:1 row_mask:0xf bank_mask:0xf
	v_add_f32_e32 v3, v7, v3
	v_mov_b32_dpp v5, v33 row_shr:1 row_mask:0xf bank_mask:0xf
	v_mov_b32_dpp v7, v31 row_shr:1 row_mask:0xf bank_mask:0xf
	;; [unrolled: 1-line block ×6, first 2 shown]
	v_add_f32_e32 v1, v34, v1
	v_add_f32_e32 v5, v33, v5
	;; [unrolled: 1-line block ×7, first 2 shown]
	v_mov_b32_dpp v2, v1 row_shr:2 row_mask:0xf bank_mask:0xf
	v_mov_b32_dpp v4, v3 row_shr:2 row_mask:0xf bank_mask:0xf
	;; [unrolled: 1-line block ×8, first 2 shown]
	v_add_f32_e32 v1, v1, v2
	v_add_f32_e32 v3, v3, v4
	;; [unrolled: 1-line block ×8, first 2 shown]
	v_mov_b32_dpp v2, v1 row_shr:4 row_mask:0xf bank_mask:0xe
	v_mov_b32_dpp v4, v3 row_shr:4 row_mask:0xf bank_mask:0xe
	;; [unrolled: 1-line block ×8, first 2 shown]
	v_cmp_eq_u32_e32 vcc, 7, v0
	s_and_b64 exec, exec, vcc
	s_cbranch_execz .LBB131_8
; %bb.38:
	s_load_dwordx2 s[2:3], s[4:5], 0x58
	v_add_f32_e32 v23, v1, v2
	v_add_f32_e32 v0, v3, v4
	;; [unrolled: 1-line block ×8, first 2 shown]
	v_cmp_eq_f32_e32 vcc, 0, v8
	v_cmp_eq_f32_e64 s[0:1], 0, v9
	v_mul_f32_e64 v4, v0, -v11
	v_mul_f32_e32 v5, v10, v0
	v_mul_f32_e64 v6, v1, -v11
	v_mul_f32_e32 v7, v10, v1
	;; [unrolled: 2-line block ×4, first 2 shown]
	v_lshlrev_b64 v[12:13], 5, v[12:13]
	s_and_b64 s[0:1], vcc, s[0:1]
	v_fmac_f32_e32 v4, v10, v23
	v_fmac_f32_e32 v5, v11, v23
	;; [unrolled: 1-line block ×8, first 2 shown]
	s_and_saveexec_b64 s[4:5], s[0:1]
	s_xor_b64 s[0:1], exec, s[4:5]
	s_cbranch_execz .LBB131_40
; %bb.39:
	s_waitcnt lgkmcnt(0)
	v_mov_b32_e32 v9, s3
	v_add_co_u32_e32 v8, vcc, s2, v12
	v_addc_co_u32_e32 v9, vcc, v9, v13, vcc
	global_store_dwordx4 v[8:9], v[4:7], off
	global_store_dwordx4 v[8:9], v[0:3], off offset:16
                                        ; implicit-def: $vgpr8_vgpr9
                                        ; implicit-def: $vgpr4
                                        ; implicit-def: $vgpr12_vgpr13
                                        ; implicit-def: $vgpr0
.LBB131_40:
	s_andn2_saveexec_b64 s[0:1], s[0:1]
	s_cbranch_execz .LBB131_8
; %bb.41:
	s_waitcnt lgkmcnt(0)
	v_mov_b32_e32 v10, s3
	v_add_co_u32_e32 v18, vcc, s2, v12
	v_addc_co_u32_e32 v19, vcc, v10, v13, vcc
	global_load_dwordx4 v[10:13], v[18:19], off
	global_load_dwordx4 v[14:17], v[18:19], off offset:16
	s_waitcnt vmcnt(1)
	v_fmac_f32_e32 v4, v8, v10
	v_fmac_f32_e32 v5, v9, v10
	;; [unrolled: 1-line block ×4, first 2 shown]
	s_waitcnt vmcnt(0)
	v_fmac_f32_e32 v0, v8, v14
	v_fmac_f32_e32 v1, v9, v14
	;; [unrolled: 1-line block ×4, first 2 shown]
	v_fma_f32 v4, -v9, v11, v4
	v_fmac_f32_e32 v5, v8, v11
	v_fma_f32 v6, -v9, v13, v6
	v_fmac_f32_e32 v7, v8, v13
	;; [unrolled: 2-line block ×4, first 2 shown]
	global_store_dwordx4 v[18:19], v[4:7], off
	global_store_dwordx4 v[18:19], v[0:3], off offset:16
	s_endpgm
	.section	.rodata,"a",@progbits
	.p2align	6, 0x0
	.amdhsa_kernel _ZN9rocsparseL18bsrxmvn_4x4_kernelILj128ELj8E21rocsparse_complex_numIfEllfS2_S2_EEvT3_20rocsparse_direction_NS_24const_host_device_scalarIT1_EES3_PKS3_PKT2_SC_S9_PKT4_PKT5_S7_PT6_21rocsparse_index_base_b
		.amdhsa_group_segment_fixed_size 0
		.amdhsa_private_segment_fixed_size 0
		.amdhsa_kernarg_size 104
		.amdhsa_user_sgpr_count 6
		.amdhsa_user_sgpr_private_segment_buffer 1
		.amdhsa_user_sgpr_dispatch_ptr 0
		.amdhsa_user_sgpr_queue_ptr 0
		.amdhsa_user_sgpr_kernarg_segment_ptr 1
		.amdhsa_user_sgpr_dispatch_id 0
		.amdhsa_user_sgpr_flat_scratch_init 0
		.amdhsa_user_sgpr_private_segment_size 0
		.amdhsa_uses_dynamic_stack 0
		.amdhsa_system_sgpr_private_segment_wavefront_offset 0
		.amdhsa_system_sgpr_workgroup_id_x 1
		.amdhsa_system_sgpr_workgroup_id_y 0
		.amdhsa_system_sgpr_workgroup_id_z 0
		.amdhsa_system_sgpr_workgroup_info 0
		.amdhsa_system_vgpr_workitem_id 0
		.amdhsa_next_free_vgpr 62
		.amdhsa_next_free_sgpr 17
		.amdhsa_reserve_vcc 1
		.amdhsa_reserve_flat_scratch 0
		.amdhsa_float_round_mode_32 0
		.amdhsa_float_round_mode_16_64 0
		.amdhsa_float_denorm_mode_32 3
		.amdhsa_float_denorm_mode_16_64 3
		.amdhsa_dx10_clamp 1
		.amdhsa_ieee_mode 1
		.amdhsa_fp16_overflow 0
		.amdhsa_exception_fp_ieee_invalid_op 0
		.amdhsa_exception_fp_denorm_src 0
		.amdhsa_exception_fp_ieee_div_zero 0
		.amdhsa_exception_fp_ieee_overflow 0
		.amdhsa_exception_fp_ieee_underflow 0
		.amdhsa_exception_fp_ieee_inexact 0
		.amdhsa_exception_int_div_zero 0
	.end_amdhsa_kernel
	.section	.text._ZN9rocsparseL18bsrxmvn_4x4_kernelILj128ELj8E21rocsparse_complex_numIfEllfS2_S2_EEvT3_20rocsparse_direction_NS_24const_host_device_scalarIT1_EES3_PKS3_PKT2_SC_S9_PKT4_PKT5_S7_PT6_21rocsparse_index_base_b,"axG",@progbits,_ZN9rocsparseL18bsrxmvn_4x4_kernelILj128ELj8E21rocsparse_complex_numIfEllfS2_S2_EEvT3_20rocsparse_direction_NS_24const_host_device_scalarIT1_EES3_PKS3_PKT2_SC_S9_PKT4_PKT5_S7_PT6_21rocsparse_index_base_b,comdat
.Lfunc_end131:
	.size	_ZN9rocsparseL18bsrxmvn_4x4_kernelILj128ELj8E21rocsparse_complex_numIfEllfS2_S2_EEvT3_20rocsparse_direction_NS_24const_host_device_scalarIT1_EES3_PKS3_PKT2_SC_S9_PKT4_PKT5_S7_PT6_21rocsparse_index_base_b, .Lfunc_end131-_ZN9rocsparseL18bsrxmvn_4x4_kernelILj128ELj8E21rocsparse_complex_numIfEllfS2_S2_EEvT3_20rocsparse_direction_NS_24const_host_device_scalarIT1_EES3_PKS3_PKT2_SC_S9_PKT4_PKT5_S7_PT6_21rocsparse_index_base_b
                                        ; -- End function
	.set _ZN9rocsparseL18bsrxmvn_4x4_kernelILj128ELj8E21rocsparse_complex_numIfEllfS2_S2_EEvT3_20rocsparse_direction_NS_24const_host_device_scalarIT1_EES3_PKS3_PKT2_SC_S9_PKT4_PKT5_S7_PT6_21rocsparse_index_base_b.num_vgpr, 62
	.set _ZN9rocsparseL18bsrxmvn_4x4_kernelILj128ELj8E21rocsparse_complex_numIfEllfS2_S2_EEvT3_20rocsparse_direction_NS_24const_host_device_scalarIT1_EES3_PKS3_PKT2_SC_S9_PKT4_PKT5_S7_PT6_21rocsparse_index_base_b.num_agpr, 0
	.set _ZN9rocsparseL18bsrxmvn_4x4_kernelILj128ELj8E21rocsparse_complex_numIfEllfS2_S2_EEvT3_20rocsparse_direction_NS_24const_host_device_scalarIT1_EES3_PKS3_PKT2_SC_S9_PKT4_PKT5_S7_PT6_21rocsparse_index_base_b.numbered_sgpr, 17
	.set _ZN9rocsparseL18bsrxmvn_4x4_kernelILj128ELj8E21rocsparse_complex_numIfEllfS2_S2_EEvT3_20rocsparse_direction_NS_24const_host_device_scalarIT1_EES3_PKS3_PKT2_SC_S9_PKT4_PKT5_S7_PT6_21rocsparse_index_base_b.num_named_barrier, 0
	.set _ZN9rocsparseL18bsrxmvn_4x4_kernelILj128ELj8E21rocsparse_complex_numIfEllfS2_S2_EEvT3_20rocsparse_direction_NS_24const_host_device_scalarIT1_EES3_PKS3_PKT2_SC_S9_PKT4_PKT5_S7_PT6_21rocsparse_index_base_b.private_seg_size, 0
	.set _ZN9rocsparseL18bsrxmvn_4x4_kernelILj128ELj8E21rocsparse_complex_numIfEllfS2_S2_EEvT3_20rocsparse_direction_NS_24const_host_device_scalarIT1_EES3_PKS3_PKT2_SC_S9_PKT4_PKT5_S7_PT6_21rocsparse_index_base_b.uses_vcc, 1
	.set _ZN9rocsparseL18bsrxmvn_4x4_kernelILj128ELj8E21rocsparse_complex_numIfEllfS2_S2_EEvT3_20rocsparse_direction_NS_24const_host_device_scalarIT1_EES3_PKS3_PKT2_SC_S9_PKT4_PKT5_S7_PT6_21rocsparse_index_base_b.uses_flat_scratch, 0
	.set _ZN9rocsparseL18bsrxmvn_4x4_kernelILj128ELj8E21rocsparse_complex_numIfEllfS2_S2_EEvT3_20rocsparse_direction_NS_24const_host_device_scalarIT1_EES3_PKS3_PKT2_SC_S9_PKT4_PKT5_S7_PT6_21rocsparse_index_base_b.has_dyn_sized_stack, 0
	.set _ZN9rocsparseL18bsrxmvn_4x4_kernelILj128ELj8E21rocsparse_complex_numIfEllfS2_S2_EEvT3_20rocsparse_direction_NS_24const_host_device_scalarIT1_EES3_PKS3_PKT2_SC_S9_PKT4_PKT5_S7_PT6_21rocsparse_index_base_b.has_recursion, 0
	.set _ZN9rocsparseL18bsrxmvn_4x4_kernelILj128ELj8E21rocsparse_complex_numIfEllfS2_S2_EEvT3_20rocsparse_direction_NS_24const_host_device_scalarIT1_EES3_PKS3_PKT2_SC_S9_PKT4_PKT5_S7_PT6_21rocsparse_index_base_b.has_indirect_call, 0
	.section	.AMDGPU.csdata,"",@progbits
; Kernel info:
; codeLenInByte = 6132
; TotalNumSgprs: 21
; NumVgprs: 62
; ScratchSize: 0
; MemoryBound: 0
; FloatMode: 240
; IeeeMode: 1
; LDSByteSize: 0 bytes/workgroup (compile time only)
; SGPRBlocks: 2
; VGPRBlocks: 15
; NumSGPRsForWavesPerEU: 21
; NumVGPRsForWavesPerEU: 62
; Occupancy: 4
; WaveLimiterHint : 1
; COMPUTE_PGM_RSRC2:SCRATCH_EN: 0
; COMPUTE_PGM_RSRC2:USER_SGPR: 6
; COMPUTE_PGM_RSRC2:TRAP_HANDLER: 0
; COMPUTE_PGM_RSRC2:TGID_X_EN: 1
; COMPUTE_PGM_RSRC2:TGID_Y_EN: 0
; COMPUTE_PGM_RSRC2:TGID_Z_EN: 0
; COMPUTE_PGM_RSRC2:TIDIG_COMP_CNT: 0
	.section	.text._ZN9rocsparseL18bsrxmvn_4x4_kernelILj128ELj16E21rocsparse_complex_numIfEllfS2_S2_EEvT3_20rocsparse_direction_NS_24const_host_device_scalarIT1_EES3_PKS3_PKT2_SC_S9_PKT4_PKT5_S7_PT6_21rocsparse_index_base_b,"axG",@progbits,_ZN9rocsparseL18bsrxmvn_4x4_kernelILj128ELj16E21rocsparse_complex_numIfEllfS2_S2_EEvT3_20rocsparse_direction_NS_24const_host_device_scalarIT1_EES3_PKS3_PKT2_SC_S9_PKT4_PKT5_S7_PT6_21rocsparse_index_base_b,comdat
	.globl	_ZN9rocsparseL18bsrxmvn_4x4_kernelILj128ELj16E21rocsparse_complex_numIfEllfS2_S2_EEvT3_20rocsparse_direction_NS_24const_host_device_scalarIT1_EES3_PKS3_PKT2_SC_S9_PKT4_PKT5_S7_PT6_21rocsparse_index_base_b ; -- Begin function _ZN9rocsparseL18bsrxmvn_4x4_kernelILj128ELj16E21rocsparse_complex_numIfEllfS2_S2_EEvT3_20rocsparse_direction_NS_24const_host_device_scalarIT1_EES3_PKS3_PKT2_SC_S9_PKT4_PKT5_S7_PT6_21rocsparse_index_base_b
	.p2align	8
	.type	_ZN9rocsparseL18bsrxmvn_4x4_kernelILj128ELj16E21rocsparse_complex_numIfEllfS2_S2_EEvT3_20rocsparse_direction_NS_24const_host_device_scalarIT1_EES3_PKS3_PKT2_SC_S9_PKT4_PKT5_S7_PT6_21rocsparse_index_base_b,@function
_ZN9rocsparseL18bsrxmvn_4x4_kernelILj128ELj16E21rocsparse_complex_numIfEllfS2_S2_EEvT3_20rocsparse_direction_NS_24const_host_device_scalarIT1_EES3_PKS3_PKT2_SC_S9_PKT4_PKT5_S7_PT6_21rocsparse_index_base_b: ; @_ZN9rocsparseL18bsrxmvn_4x4_kernelILj128ELj16E21rocsparse_complex_numIfEllfS2_S2_EEvT3_20rocsparse_direction_NS_24const_host_device_scalarIT1_EES3_PKS3_PKT2_SC_S9_PKT4_PKT5_S7_PT6_21rocsparse_index_base_b
; %bb.0:
	s_load_dwordx4 s[0:3], s[4:5], 0x10
	s_load_dwordx2 s[8:9], s[4:5], 0x60
	s_add_u32 s7, s4, 16
	s_addc_u32 s12, s5, 0
	s_add_u32 s13, s4, 0x50
	s_load_dwordx2 s[10:11], s[4:5], 0x50
	s_addc_u32 s14, s5, 0
	s_waitcnt lgkmcnt(0)
	s_bitcmp1_b32 s9, 0
	s_cselect_b32 s1, s12, s1
	s_cselect_b32 s0, s7, s0
	v_mov_b32_e32 v1, s0
	v_mov_b32_e32 v2, s1
	flat_load_dwordx2 v[10:11], v[1:2]
	s_cselect_b32 s0, s14, s11
	s_cselect_b32 s1, s13, s10
	v_mov_b32_e32 v1, s1
	v_mov_b32_e32 v2, s0
	flat_load_dwordx2 v[8:9], v[1:2]
	s_waitcnt vmcnt(0) lgkmcnt(0)
	v_cmp_eq_f32_e32 vcc, 0, v10
	v_cmp_eq_f32_e64 s[0:1], 0, v11
	s_and_b64 s[12:13], vcc, s[0:1]
	s_mov_b64 s[0:1], -1
	s_and_saveexec_b64 s[10:11], s[12:13]
; %bb.1:
	v_cmp_neq_f32_e32 vcc, 1.0, v8
	v_cmp_neq_f32_e64 s[0:1], 0, v9
	s_or_b64 s[0:1], vcc, s[0:1]
	s_orn2_b64 s[0:1], s[0:1], exec
; %bb.2:
	s_or_b64 exec, exec, s[10:11]
	s_and_saveexec_b64 s[10:11], s[0:1]
	s_cbranch_execz .LBB132_8
; %bb.3:
	s_load_dwordx2 s[10:11], s[4:5], 0x20
	v_lshrrev_b32_e32 v1, 4, v0
	v_lshl_or_b32 v3, s6, 3, v1
	v_mov_b32_e32 v4, 0
	s_mov_b64 s[0:1], 0
	s_waitcnt lgkmcnt(0)
	s_cmp_lg_u64 s[10:11], 0
	s_cbranch_scc0 .LBB132_9
; %bb.4:
	v_cmp_gt_i64_e32 vcc, s[2:3], v[3:4]
                                        ; implicit-def: $vgpr12_vgpr13
                                        ; implicit-def: $vgpr1_vgpr2
	s_and_saveexec_b64 s[2:3], vcc
	s_xor_b64 s[2:3], exec, s[2:3]
	s_cbranch_execz .LBB132_6
; %bb.5:
	v_lshlrev_b64 v[1:2], 3, v[3:4]
	v_mov_b32_e32 v5, s11
	v_add_co_u32_e32 v1, vcc, s10, v1
	v_addc_co_u32_e32 v2, vcc, v5, v2, vcc
	global_load_dwordx2 v[1:2], v[1:2], off
	s_mov_b32 s9, 0
	s_mov_b64 s[0:1], exec
	s_waitcnt vmcnt(0)
	v_subrev_co_u32_e32 v12, vcc, s8, v1
	v_subbrev_co_u32_e32 v13, vcc, 0, v2, vcc
	v_mov_b32_e32 v1, s8
	v_mov_b32_e32 v2, s9
.LBB132_6:
	s_or_b64 exec, exec, s[2:3]
.LBB132_7:
	s_and_b64 exec, exec, s[0:1]
	s_cbranch_execnz .LBB132_13
.LBB132_8:
	s_endpgm
.LBB132_9:
                                        ; implicit-def: $vgpr12_vgpr13
                                        ; implicit-def: $vgpr1_vgpr2
	s_cbranch_execz .LBB132_7
; %bb.10:
	s_load_dwordx2 s[2:3], s[4:5], 0x0
	s_waitcnt lgkmcnt(0)
	v_cmp_gt_i64_e32 vcc, s[2:3], v[3:4]
	s_and_saveexec_b64 s[2:3], vcc
; %bb.11:
	s_mov_b32 s9, 0
	s_or_b64 s[0:1], s[0:1], exec
; %bb.12:
	s_or_b64 exec, exec, s[2:3]
	v_mov_b32_e32 v1, s8
	v_mov_b32_e32 v13, v4
	;; [unrolled: 1-line block ×4, first 2 shown]
	s_and_b64 exec, exec, s[0:1]
	s_cbranch_execz .LBB132_8
.LBB132_13:
	s_load_dwordx8 s[8:15], s[4:5], 0x28
	v_lshlrev_b64 v[3:4], 3, v[12:13]
	v_and_b32_e32 v0, 15, v0
	s_waitcnt lgkmcnt(0)
	v_mov_b32_e32 v6, s9
	v_add_co_u32_e32 v5, vcc, s8, v3
	v_addc_co_u32_e32 v6, vcc, v6, v4, vcc
	global_load_dwordx2 v[18:19], v[5:6], off
	v_add_co_u32_e32 v5, vcc, 8, v5
	v_addc_co_u32_e32 v6, vcc, 0, v6, vcc
	v_mov_b32_e32 v7, s11
	v_add_co_u32_e32 v3, vcc, s10, v3
	s_cmp_eq_u64 s[10:11], 0
	v_addc_co_u32_e32 v4, vcc, v7, v4, vcc
	s_cselect_b64 vcc, -1, 0
	v_cndmask_b32_e32 v4, v4, v6, vcc
	v_cndmask_b32_e32 v3, v3, v5, vcc
	global_load_dwordx2 v[5:6], v[3:4], off
	s_load_dword s0, s[4:5], 0x8
	s_load_dwordx2 s[6:7], s[4:5], 0x48
	v_mov_b32_e32 v16, s15
	v_mov_b32_e32 v7, 0
	s_waitcnt lgkmcnt(0)
	s_cmp_eq_u32 s0, 1
	s_waitcnt vmcnt(1)
	v_sub_co_u32_e32 v3, vcc, v18, v1
	v_subb_co_u32_e32 v4, vcc, v19, v2, vcc
	v_add_co_u32_e32 v3, vcc, v3, v0
	v_addc_co_u32_e32 v4, vcc, 0, v4, vcc
	v_lshlrev_b64 v[14:15], 6, v[3:4]
	s_waitcnt vmcnt(0)
	v_sub_co_u32_e32 v5, vcc, v5, v1
	v_subb_co_u32_e32 v6, vcc, v6, v2, vcc
	v_cmp_lt_i64_e64 s[0:1], v[3:4], v[5:6]
	v_add_co_u32_e32 v14, vcc, s14, v14
	v_addc_co_u32_e32 v15, vcc, v16, v15, vcc
	s_cbranch_scc1 .LBB132_25
; %bb.14:
	v_mov_b32_e32 v34, 0
	v_mov_b32_e32 v31, 0
	;; [unrolled: 1-line block ×7, first 2 shown]
	s_and_saveexec_b64 s[8:9], s[0:1]
	s_cbranch_execz .LBB132_24
; %bb.15:
	v_or_b32_e32 v7, 16, v0
	v_sub_co_u32_e32 v7, vcc, v7, v1
	v_subb_co_u32_e32 v17, vcc, 0, v2, vcc
	v_add_co_u32_e32 v16, vcc, v7, v18
	v_addc_co_u32_e32 v17, vcc, v17, v19, vcc
	v_cmp_gt_i64_e32 vcc, v[16:17], v[5:6]
	v_not_b32_e32 v20, v18
	v_cndmask_b32_e32 v7, v6, v17, vcc
	v_cndmask_b32_e32 v16, v5, v16, vcc
	v_sub_co_u32_e32 v21, vcc, v1, v0
	v_subbrev_co_u32_e32 v22, vcc, 0, v2, vcc
	v_not_b32_e32 v17, v19
	v_add_co_u32_e32 v20, vcc, v21, v20
	v_addc_co_u32_e32 v17, vcc, v22, v17, vcc
	v_add_co_u32_e32 v24, vcc, v20, v16
	v_addc_co_u32_e32 v25, vcc, v17, v7, vcc
	v_and_b32_e32 v16, 48, v24
	v_mov_b32_e32 v17, 0
	v_cmp_ne_u64_e32 vcc, 48, v[16:17]
	v_mov_b32_e32 v21, v15
	v_mov_b32_e32 v23, v4
	;; [unrolled: 1-line block ×11, first 2 shown]
	s_and_saveexec_b64 s[10:11], vcc
	s_cbranch_execz .LBB132_19
; %bb.16:
	v_lshlrev_b64 v[16:17], 3, v[3:4]
	v_lshrrev_b32_e32 v7, 4, v24
	v_add_u32_e32 v7, 1, v7
	v_mov_b32_e32 v21, s13
	v_add_co_u32_e32 v26, vcc, s12, v16
	v_and_b32_e32 v20, 3, v7
	v_addc_co_u32_e32 v27, vcc, v21, v17, vcc
	v_sub_co_u32_e32 v28, vcc, 0, v20
	v_mov_b32_e32 v23, v4
	v_mov_b32_e32 v21, v15
	;; [unrolled: 1-line block ×3, first 2 shown]
	s_mov_b64 s[14:15], 0
	v_subb_co_u32_e64 v29, s[2:3], 0, 0, vcc
	s_movk_i32 s16, 0x400
	v_mov_b32_e32 v35, s7
	v_mov_b32_e32 v22, v3
	;; [unrolled: 1-line block ×10, first 2 shown]
.LBB132_17:                             ; =>This Inner Loop Header: Depth=1
	global_load_dwordx2 v[52:53], v[26:27], off
	global_load_dwordx4 v[36:39], v[20:21], off
	global_load_dwordx4 v[40:43], v[20:21], off offset:16
	global_load_dwordx4 v[44:47], v[20:21], off offset:32
	;; [unrolled: 1-line block ×3, first 2 shown]
	s_waitcnt vmcnt(4)
	v_sub_co_u32_e32 v52, vcc, v52, v1
	v_subb_co_u32_e32 v53, vcc, v53, v2, vcc
	v_lshlrev_b64 v[52:53], 5, v[52:53]
	v_add_co_u32_e32 v60, vcc, s6, v52
	v_addc_co_u32_e32 v61, vcc, v35, v53, vcc
	global_load_dwordx4 v[52:55], v[60:61], off
	global_load_dwordx4 v[56:59], v[60:61], off offset:16
	v_add_co_u32_e32 v20, vcc, s16, v20
	s_mov_b64 s[2:3], vcc
	v_add_co_u32_e32 v22, vcc, 16, v22
	v_addc_co_u32_e32 v23, vcc, 0, v23, vcc
	v_add_co_u32_e32 v28, vcc, 1, v28
	v_addc_co_u32_e32 v29, vcc, 0, v29, vcc
	v_addc_co_u32_e64 v21, s[2:3], 0, v21, s[2:3]
	v_cmp_eq_u64_e64 s[2:3], 0, v[28:29]
	v_add_co_u32_e32 v26, vcc, 0x80, v26
	v_addc_co_u32_e32 v27, vcc, 0, v27, vcc
	s_or_b64 s[14:15], s[2:3], s[14:15]
	s_waitcnt vmcnt(1)
	v_fmac_f32_e32 v34, v36, v52
	v_fmac_f32_e32 v7, 0, v52
	;; [unrolled: 1-line block ×32, first 2 shown]
	s_waitcnt vmcnt(0)
	v_fmac_f32_e32 v34, v38, v56
	v_fmac_f32_e32 v7, 0, v56
	;; [unrolled: 1-line block ×32, first 2 shown]
	s_andn2_b64 exec, exec, s[14:15]
	s_cbranch_execnz .LBB132_17
; %bb.18:
	s_or_b64 exec, exec, s[14:15]
.LBB132_19:
	s_or_b64 exec, exec, s[10:11]
	v_cmp_lt_u64_e32 vcc, 47, v[24:25]
	s_and_saveexec_b64 s[2:3], vcc
	s_cbranch_execz .LBB132_23
; %bb.20:
	v_lshlrev_b64 v[24:25], 3, v[22:23]
	v_mov_b32_e32 v26, s13
	v_add_co_u32_e32 v24, vcc, s12, v24
	v_addc_co_u32_e32 v25, vcc, v26, v25, vcc
	v_add_co_u32_e32 v24, vcc, 0x100, v24
	v_addc_co_u32_e32 v25, vcc, 0, v25, vcc
	s_mov_b64 s[10:11], 0
	v_mov_b32_e32 v26, s7
	s_movk_i32 s14, 0x1000
.LBB132_21:                             ; =>This Inner Loop Header: Depth=1
	global_load_dwordx2 v[27:28], v[24:25], off offset:-256
	global_load_dwordx4 v[35:38], v[20:21], off offset:48
	global_load_dwordx4 v[39:42], v[20:21], off offset:32
	global_load_dwordx4 v[43:46], v[20:21], off offset:16
	global_load_dwordx4 v[47:50], v[20:21], off
	s_waitcnt vmcnt(4)
	v_sub_co_u32_e32 v27, vcc, v27, v1
	v_subb_co_u32_e32 v28, vcc, v28, v2, vcc
	v_lshlrev_b64 v[27:28], 5, v[27:28]
	v_add_co_u32_e32 v27, vcc, s6, v27
	v_addc_co_u32_e32 v28, vcc, v26, v28, vcc
	global_load_dwordx4 v[51:54], v[27:28], off offset:16
	global_load_dwordx4 v[55:58], v[27:28], off
	s_waitcnt vmcnt(0)
	v_fmac_f32_e32 v34, v47, v55
	global_load_dwordx2 v[27:28], v[24:25], off offset:-128
	v_fmac_f32_e32 v7, 0, v55
	v_fmac_f32_e32 v33, v43, v55
	;; [unrolled: 1-line block ×63, first 2 shown]
	global_load_dwordx4 v[35:38], v[20:21], off offset:1072
	global_load_dwordx4 v[39:42], v[20:21], off offset:1056
	global_load_dwordx4 v[43:46], v[20:21], off offset:1040
	global_load_dwordx4 v[47:50], v[20:21], off offset:1024
	s_waitcnt vmcnt(4)
	v_sub_co_u32_e32 v27, vcc, v27, v1
	v_subb_co_u32_e32 v28, vcc, v28, v2, vcc
	v_lshlrev_b64 v[27:28], 5, v[27:28]
	v_add_co_u32_e32 v27, vcc, s6, v27
	v_addc_co_u32_e32 v28, vcc, v26, v28, vcc
	global_load_dwordx4 v[51:54], v[27:28], off offset:16
	global_load_dwordx4 v[55:58], v[27:28], off
	s_waitcnt vmcnt(0)
	v_fmac_f32_e32 v34, v47, v55
	global_load_dwordx2 v[27:28], v[24:25], off
	v_fmac_f32_e32 v7, 0, v55
	v_fmac_f32_e32 v33, v43, v55
	;; [unrolled: 1-line block ×63, first 2 shown]
	global_load_dwordx4 v[35:38], v[20:21], off offset:2096
	global_load_dwordx4 v[39:42], v[20:21], off offset:2080
	;; [unrolled: 1-line block ×4, first 2 shown]
	s_waitcnt vmcnt(4)
	v_sub_co_u32_e32 v27, vcc, v27, v1
	v_subb_co_u32_e32 v28, vcc, v28, v2, vcc
	v_lshlrev_b64 v[27:28], 5, v[27:28]
	v_add_co_u32_e32 v27, vcc, s6, v27
	v_addc_co_u32_e32 v28, vcc, v26, v28, vcc
	global_load_dwordx4 v[51:54], v[27:28], off offset:16
	global_load_dwordx4 v[55:58], v[27:28], off
	s_waitcnt vmcnt(0)
	v_fmac_f32_e32 v34, v47, v55
	global_load_dwordx2 v[27:28], v[24:25], off offset:128
	v_fmac_f32_e32 v7, 0, v55
	v_fmac_f32_e32 v33, v43, v55
	;; [unrolled: 1-line block ×63, first 2 shown]
	global_load_dwordx4 v[35:38], v[20:21], off offset:3120
	global_load_dwordx4 v[39:42], v[20:21], off offset:3104
	global_load_dwordx4 v[43:46], v[20:21], off offset:3088
	global_load_dwordx4 v[47:50], v[20:21], off offset:3072
	s_waitcnt vmcnt(4)
	v_sub_co_u32_e32 v27, vcc, v27, v1
	v_subb_co_u32_e32 v28, vcc, v28, v2, vcc
	v_lshlrev_b64 v[27:28], 5, v[27:28]
	v_add_co_u32_e32 v27, vcc, s6, v27
	v_addc_co_u32_e32 v28, vcc, v26, v28, vcc
	global_load_dwordx4 v[51:54], v[27:28], off offset:16
	global_load_dwordx4 v[55:58], v[27:28], off
	v_add_co_u32_e32 v20, vcc, s14, v20
	v_addc_co_u32_e32 v21, vcc, 0, v21, vcc
	v_add_co_u32_e32 v22, vcc, 64, v22
	v_addc_co_u32_e32 v23, vcc, 0, v23, vcc
	;; [unrolled: 2-line block ×3, first 2 shown]
	v_cmp_ge_i64_e32 vcc, v[22:23], v[5:6]
	s_or_b64 s[10:11], vcc, s[10:11]
	s_waitcnt vmcnt(0)
	v_fmac_f32_e32 v34, v47, v55
	v_fmac_f32_e32 v7, 0, v55
	;; [unrolled: 1-line block ×64, first 2 shown]
	s_andn2_b64 exec, exec, s[10:11]
	s_cbranch_execnz .LBB132_21
; %bb.22:
	s_or_b64 exec, exec, s[10:11]
.LBB132_23:
	s_or_b64 exec, exec, s[2:3]
.LBB132_24:
	s_or_b64 exec, exec, s[8:9]
	s_cbranch_execz .LBB132_26
	s_branch .LBB132_37
.LBB132_25:
                                        ; implicit-def: $vgpr7
                                        ; implicit-def: $vgpr34
                                        ; implicit-def: $vgpr31
                                        ; implicit-def: $vgpr33
                                        ; implicit-def: $vgpr30
                                        ; implicit-def: $vgpr32
                                        ; implicit-def: $vgpr16
                                        ; implicit-def: $vgpr17
.LBB132_26:
	v_mov_b32_e32 v7, 0
	v_mov_b32_e32 v34, 0
	;; [unrolled: 1-line block ×8, first 2 shown]
	s_and_saveexec_b64 s[2:3], s[0:1]
	s_cbranch_execz .LBB132_36
; %bb.27:
	v_or_b32_e32 v7, 16, v0
	v_sub_co_u32_e32 v7, vcc, v7, v1
	v_subb_co_u32_e32 v17, vcc, 0, v2, vcc
	v_add_co_u32_e32 v16, vcc, v7, v18
	v_addc_co_u32_e32 v17, vcc, v17, v19, vcc
	v_cmp_gt_i64_e32 vcc, v[16:17], v[5:6]
	v_not_b32_e32 v18, v18
	v_cndmask_b32_e32 v7, v6, v17, vcc
	v_cndmask_b32_e32 v16, v5, v16, vcc
	v_not_b32_e32 v17, v19
	v_sub_co_u32_e32 v19, vcc, v1, v0
	v_subbrev_co_u32_e32 v20, vcc, 0, v2, vcc
	v_add_co_u32_e32 v18, vcc, v19, v18
	v_addc_co_u32_e32 v17, vcc, v20, v17, vcc
	v_add_co_u32_e32 v18, vcc, v18, v16
	v_addc_co_u32_e32 v19, vcc, v17, v7, vcc
	v_and_b32_e32 v16, 48, v18
	v_mov_b32_e32 v17, 0
	v_cmp_ne_u64_e32 vcc, 48, v[16:17]
	v_mov_b32_e32 v16, v17
	v_mov_b32_e32 v32, v17
	;; [unrolled: 1-line block ×7, first 2 shown]
	s_and_saveexec_b64 s[8:9], vcc
	s_cbranch_execz .LBB132_31
; %bb.28:
	v_lshlrev_b64 v[16:17], 3, v[3:4]
	v_lshrrev_b32_e32 v7, 4, v18
	v_add_u32_e32 v7, 1, v7
	v_mov_b32_e32 v21, s13
	v_add_co_u32_e32 v20, vcc, s12, v16
	v_and_b32_e32 v22, 3, v7
	v_addc_co_u32_e32 v21, vcc, v21, v17, vcc
	v_sub_co_u32_e32 v22, vcc, 0, v22
	v_mov_b32_e32 v7, 0
	s_mov_b64 s[10:11], 0
	v_subb_co_u32_e64 v23, s[0:1], 0, 0, vcc
	s_movk_i32 s14, 0x400
	v_mov_b32_e32 v24, s7
	v_mov_b32_e32 v34, 0
	;; [unrolled: 1-line block ×8, first 2 shown]
.LBB132_29:                             ; =>This Inner Loop Header: Depth=1
	global_load_dwordx2 v[43:44], v[20:21], off
	global_load_dwordx4 v[25:28], v[14:15], off offset:32
	global_load_dwordx4 v[35:38], v[14:15], off offset:16
	global_load_dwordx4 v[39:42], v[14:15], off
	v_add_co_u32_e64 v3, s[0:1], 16, v3
	v_addc_co_u32_e64 v4, s[0:1], 0, v4, s[0:1]
	v_add_co_u32_e64 v22, s[0:1], 1, v22
	v_addc_co_u32_e64 v23, s[0:1], 0, v23, s[0:1]
	v_cmp_eq_u64_e64 s[0:1], 0, v[22:23]
	s_or_b64 s[10:11], s[0:1], s[10:11]
	s_waitcnt vmcnt(3)
	v_sub_co_u32_e32 v43, vcc, v43, v1
	v_subb_co_u32_e32 v44, vcc, v44, v2, vcc
	v_lshlrev_b64 v[43:44], 5, v[43:44]
	v_add_co_u32_e32 v55, vcc, s6, v43
	v_addc_co_u32_e32 v56, vcc, v24, v44, vcc
	global_load_dwordx4 v[43:46], v[55:56], off
	global_load_dwordx4 v[47:50], v[55:56], off offset:16
	global_load_dwordx4 v[51:54], v[14:15], off offset:48
	v_add_co_u32_e32 v14, vcc, s14, v14
	v_addc_co_u32_e32 v15, vcc, 0, v15, vcc
	v_add_co_u32_e32 v20, vcc, 0x80, v20
	v_addc_co_u32_e32 v21, vcc, 0, v21, vcc
	s_waitcnt vmcnt(2)
	v_fmac_f32_e32 v34, v39, v43
	v_fmac_f32_e32 v7, 0, v43
	;; [unrolled: 1-line block ×32, first 2 shown]
	s_waitcnt vmcnt(1)
	v_fmac_f32_e32 v34, v25, v47
	v_fmac_f32_e32 v7, 0, v47
	;; [unrolled: 1-line block ×16, first 2 shown]
	s_waitcnt vmcnt(0)
	v_fmac_f32_e32 v34, v51, v49
	v_fmac_f32_e32 v7, 0, v49
	;; [unrolled: 1-line block ×16, first 2 shown]
	s_andn2_b64 exec, exec, s[10:11]
	s_cbranch_execnz .LBB132_29
; %bb.30:
	s_or_b64 exec, exec, s[10:11]
.LBB132_31:
	s_or_b64 exec, exec, s[8:9]
	v_cmp_lt_u64_e32 vcc, 47, v[18:19]
	s_and_saveexec_b64 s[0:1], vcc
	s_cbranch_execz .LBB132_35
; %bb.32:
	v_lshlrev_b64 v[18:19], 3, v[3:4]
	v_mov_b32_e32 v20, s13
	v_add_co_u32_e32 v18, vcc, s12, v18
	v_addc_co_u32_e32 v19, vcc, v20, v19, vcc
	v_add_co_u32_e32 v18, vcc, 0x100, v18
	v_addc_co_u32_e32 v19, vcc, 0, v19, vcc
	s_mov_b64 s[8:9], 0
	v_mov_b32_e32 v20, s7
	s_movk_i32 s7, 0x1000
.LBB132_33:                             ; =>This Inner Loop Header: Depth=1
	global_load_dwordx2 v[21:22], v[18:19], off offset:-256
	s_waitcnt vmcnt(0)
	v_sub_co_u32_e32 v43, vcc, v21, v1
	v_subb_co_u32_e32 v44, vcc, v22, v2, vcc
	v_lshlrev_b64 v[43:44], 5, v[43:44]
	global_load_dwordx4 v[21:24], v[14:15], off offset:48
	global_load_dwordx4 v[25:28], v[14:15], off offset:32
	;; [unrolled: 1-line block ×3, first 2 shown]
	global_load_dwordx4 v[39:42], v[14:15], off
	v_add_co_u32_e32 v51, vcc, s6, v43
	v_addc_co_u32_e32 v52, vcc, v20, v44, vcc
	global_load_dwordx4 v[43:46], v[51:52], off offset:16
	global_load_dwordx4 v[47:50], v[51:52], off
	s_waitcnt vmcnt(0)
	v_fmac_f32_e32 v7, 0, v47
	v_fmac_f32_e32 v31, 0, v47
	;; [unrolled: 1-line block ×30, first 2 shown]
	global_load_dwordx2 v[21:22], v[18:19], off offset:-128
	v_fmac_f32_e32 v32, v41, v47
	v_fmac_f32_e32 v30, 0, v47
	;; [unrolled: 1-line block ×34, first 2 shown]
	s_waitcnt vmcnt(0)
	v_sub_co_u32_e32 v43, vcc, v21, v1
	v_subb_co_u32_e32 v44, vcc, v22, v2, vcc
	v_lshlrev_b64 v[43:44], 5, v[43:44]
	global_load_dwordx4 v[21:24], v[14:15], off offset:1072
	global_load_dwordx4 v[25:28], v[14:15], off offset:1056
	;; [unrolled: 1-line block ×4, first 2 shown]
	v_add_co_u32_e32 v51, vcc, s6, v43
	v_addc_co_u32_e32 v52, vcc, v20, v44, vcc
	global_load_dwordx4 v[43:46], v[51:52], off offset:16
	global_load_dwordx4 v[47:50], v[51:52], off
	s_waitcnt vmcnt(0)
	v_fmac_f32_e32 v7, 0, v47
	v_fmac_f32_e32 v31, 0, v47
	;; [unrolled: 1-line block ×30, first 2 shown]
	global_load_dwordx2 v[21:22], v[18:19], off
	v_fmac_f32_e32 v32, v41, v47
	v_fmac_f32_e32 v30, 0, v47
	;; [unrolled: 1-line block ×34, first 2 shown]
	s_waitcnt vmcnt(0)
	v_sub_co_u32_e32 v43, vcc, v21, v1
	v_subb_co_u32_e32 v44, vcc, v22, v2, vcc
	v_lshlrev_b64 v[43:44], 5, v[43:44]
	global_load_dwordx4 v[21:24], v[14:15], off offset:2096
	global_load_dwordx4 v[25:28], v[14:15], off offset:2080
	;; [unrolled: 1-line block ×4, first 2 shown]
	v_add_co_u32_e32 v51, vcc, s6, v43
	v_addc_co_u32_e32 v52, vcc, v20, v44, vcc
	global_load_dwordx4 v[43:46], v[51:52], off offset:16
	global_load_dwordx4 v[47:50], v[51:52], off
	s_waitcnt vmcnt(0)
	v_fmac_f32_e32 v7, 0, v47
	v_fmac_f32_e32 v31, 0, v47
	;; [unrolled: 1-line block ×30, first 2 shown]
	global_load_dwordx2 v[21:22], v[18:19], off offset:128
	v_fmac_f32_e32 v32, v41, v47
	v_fmac_f32_e32 v30, 0, v47
	;; [unrolled: 1-line block ×34, first 2 shown]
	s_waitcnt vmcnt(0)
	v_sub_co_u32_e32 v43, vcc, v21, v1
	v_subb_co_u32_e32 v44, vcc, v22, v2, vcc
	v_lshlrev_b64 v[43:44], 5, v[43:44]
	global_load_dwordx4 v[21:24], v[14:15], off offset:3120
	global_load_dwordx4 v[25:28], v[14:15], off offset:3104
	;; [unrolled: 1-line block ×4, first 2 shown]
	v_add_co_u32_e32 v51, vcc, s6, v43
	v_addc_co_u32_e32 v52, vcc, v20, v44, vcc
	global_load_dwordx4 v[43:46], v[51:52], off offset:16
	global_load_dwordx4 v[47:50], v[51:52], off
	v_add_co_u32_e32 v14, vcc, s7, v14
	v_addc_co_u32_e32 v15, vcc, 0, v15, vcc
	v_add_co_u32_e32 v3, vcc, 64, v3
	v_addc_co_u32_e32 v4, vcc, 0, v4, vcc
	;; [unrolled: 2-line block ×3, first 2 shown]
	v_cmp_ge_i64_e32 vcc, v[3:4], v[5:6]
	s_or_b64 s[8:9], vcc, s[8:9]
	s_waitcnt vmcnt(0)
	v_fmac_f32_e32 v34, v39, v47
	v_fmac_f32_e32 v7, 0, v47
	;; [unrolled: 1-line block ×64, first 2 shown]
	s_andn2_b64 exec, exec, s[8:9]
	s_cbranch_execnz .LBB132_33
; %bb.34:
	s_or_b64 exec, exec, s[8:9]
.LBB132_35:
	s_or_b64 exec, exec, s[0:1]
.LBB132_36:
	s_or_b64 exec, exec, s[2:3]
.LBB132_37:
	v_mov_b32_dpp v3, v7 row_shr:1 row_mask:0xf bank_mask:0xf
	v_mov_b32_dpp v1, v34 row_shr:1 row_mask:0xf bank_mask:0xf
	v_add_f32_e32 v3, v7, v3
	v_mov_b32_dpp v5, v33 row_shr:1 row_mask:0xf bank_mask:0xf
	v_mov_b32_dpp v7, v31 row_shr:1 row_mask:0xf bank_mask:0xf
	;; [unrolled: 1-line block ×6, first 2 shown]
	v_add_f32_e32 v1, v34, v1
	v_add_f32_e32 v5, v33, v5
	;; [unrolled: 1-line block ×7, first 2 shown]
	v_mov_b32_dpp v2, v1 row_shr:2 row_mask:0xf bank_mask:0xf
	v_mov_b32_dpp v4, v3 row_shr:2 row_mask:0xf bank_mask:0xf
	;; [unrolled: 1-line block ×8, first 2 shown]
	v_add_f32_e32 v1, v1, v2
	v_add_f32_e32 v3, v3, v4
	v_add_f32_e32 v5, v5, v6
	v_add_f32_e32 v7, v7, v14
	v_add_f32_e32 v15, v15, v18
	v_add_f32_e32 v19, v19, v20
	v_add_f32_e32 v17, v17, v21
	v_add_f32_e32 v16, v16, v22
	v_mov_b32_dpp v2, v1 row_shr:4 row_mask:0xf bank_mask:0xe
	v_mov_b32_dpp v4, v3 row_shr:4 row_mask:0xf bank_mask:0xe
	;; [unrolled: 1-line block ×8, first 2 shown]
	v_add_f32_e32 v1, v1, v2
	v_add_f32_e32 v3, v3, v4
	;; [unrolled: 1-line block ×8, first 2 shown]
	v_mov_b32_dpp v2, v1 row_shr:8 row_mask:0xf bank_mask:0xc
	v_mov_b32_dpp v4, v3 row_shr:8 row_mask:0xf bank_mask:0xc
	;; [unrolled: 1-line block ×8, first 2 shown]
	v_cmp_eq_u32_e32 vcc, 15, v0
	s_and_b64 exec, exec, vcc
	s_cbranch_execz .LBB132_8
; %bb.38:
	s_load_dwordx2 s[2:3], s[4:5], 0x58
	v_add_f32_e32 v23, v1, v2
	v_add_f32_e32 v0, v3, v4
	;; [unrolled: 1-line block ×8, first 2 shown]
	v_cmp_eq_f32_e32 vcc, 0, v8
	v_cmp_eq_f32_e64 s[0:1], 0, v9
	v_mul_f32_e64 v4, v0, -v11
	v_mul_f32_e32 v5, v10, v0
	v_mul_f32_e64 v6, v1, -v11
	v_mul_f32_e32 v7, v10, v1
	;; [unrolled: 2-line block ×4, first 2 shown]
	v_lshlrev_b64 v[12:13], 5, v[12:13]
	s_and_b64 s[0:1], vcc, s[0:1]
	v_fmac_f32_e32 v4, v10, v23
	v_fmac_f32_e32 v5, v11, v23
	;; [unrolled: 1-line block ×8, first 2 shown]
	s_and_saveexec_b64 s[4:5], s[0:1]
	s_xor_b64 s[0:1], exec, s[4:5]
	s_cbranch_execz .LBB132_40
; %bb.39:
	s_waitcnt lgkmcnt(0)
	v_mov_b32_e32 v9, s3
	v_add_co_u32_e32 v8, vcc, s2, v12
	v_addc_co_u32_e32 v9, vcc, v9, v13, vcc
	global_store_dwordx4 v[8:9], v[4:7], off
	global_store_dwordx4 v[8:9], v[0:3], off offset:16
                                        ; implicit-def: $vgpr8_vgpr9
                                        ; implicit-def: $vgpr4
                                        ; implicit-def: $vgpr12_vgpr13
                                        ; implicit-def: $vgpr0
.LBB132_40:
	s_andn2_saveexec_b64 s[0:1], s[0:1]
	s_cbranch_execz .LBB132_8
; %bb.41:
	s_waitcnt lgkmcnt(0)
	v_mov_b32_e32 v10, s3
	v_add_co_u32_e32 v18, vcc, s2, v12
	v_addc_co_u32_e32 v19, vcc, v10, v13, vcc
	global_load_dwordx4 v[10:13], v[18:19], off
	global_load_dwordx4 v[14:17], v[18:19], off offset:16
	s_waitcnt vmcnt(1)
	v_fmac_f32_e32 v4, v8, v10
	v_fmac_f32_e32 v5, v9, v10
	;; [unrolled: 1-line block ×4, first 2 shown]
	s_waitcnt vmcnt(0)
	v_fmac_f32_e32 v0, v8, v14
	v_fmac_f32_e32 v1, v9, v14
	;; [unrolled: 1-line block ×4, first 2 shown]
	v_fma_f32 v4, -v9, v11, v4
	v_fmac_f32_e32 v5, v8, v11
	v_fma_f32 v6, -v9, v13, v6
	v_fmac_f32_e32 v7, v8, v13
	;; [unrolled: 2-line block ×4, first 2 shown]
	global_store_dwordx4 v[18:19], v[4:7], off
	global_store_dwordx4 v[18:19], v[0:3], off offset:16
	s_endpgm
	.section	.rodata,"a",@progbits
	.p2align	6, 0x0
	.amdhsa_kernel _ZN9rocsparseL18bsrxmvn_4x4_kernelILj128ELj16E21rocsparse_complex_numIfEllfS2_S2_EEvT3_20rocsparse_direction_NS_24const_host_device_scalarIT1_EES3_PKS3_PKT2_SC_S9_PKT4_PKT5_S7_PT6_21rocsparse_index_base_b
		.amdhsa_group_segment_fixed_size 0
		.amdhsa_private_segment_fixed_size 0
		.amdhsa_kernarg_size 104
		.amdhsa_user_sgpr_count 6
		.amdhsa_user_sgpr_private_segment_buffer 1
		.amdhsa_user_sgpr_dispatch_ptr 0
		.amdhsa_user_sgpr_queue_ptr 0
		.amdhsa_user_sgpr_kernarg_segment_ptr 1
		.amdhsa_user_sgpr_dispatch_id 0
		.amdhsa_user_sgpr_flat_scratch_init 0
		.amdhsa_user_sgpr_private_segment_size 0
		.amdhsa_uses_dynamic_stack 0
		.amdhsa_system_sgpr_private_segment_wavefront_offset 0
		.amdhsa_system_sgpr_workgroup_id_x 1
		.amdhsa_system_sgpr_workgroup_id_y 0
		.amdhsa_system_sgpr_workgroup_id_z 0
		.amdhsa_system_sgpr_workgroup_info 0
		.amdhsa_system_vgpr_workitem_id 0
		.amdhsa_next_free_vgpr 62
		.amdhsa_next_free_sgpr 17
		.amdhsa_reserve_vcc 1
		.amdhsa_reserve_flat_scratch 0
		.amdhsa_float_round_mode_32 0
		.amdhsa_float_round_mode_16_64 0
		.amdhsa_float_denorm_mode_32 3
		.amdhsa_float_denorm_mode_16_64 3
		.amdhsa_dx10_clamp 1
		.amdhsa_ieee_mode 1
		.amdhsa_fp16_overflow 0
		.amdhsa_exception_fp_ieee_invalid_op 0
		.amdhsa_exception_fp_denorm_src 0
		.amdhsa_exception_fp_ieee_div_zero 0
		.amdhsa_exception_fp_ieee_overflow 0
		.amdhsa_exception_fp_ieee_underflow 0
		.amdhsa_exception_fp_ieee_inexact 0
		.amdhsa_exception_int_div_zero 0
	.end_amdhsa_kernel
	.section	.text._ZN9rocsparseL18bsrxmvn_4x4_kernelILj128ELj16E21rocsparse_complex_numIfEllfS2_S2_EEvT3_20rocsparse_direction_NS_24const_host_device_scalarIT1_EES3_PKS3_PKT2_SC_S9_PKT4_PKT5_S7_PT6_21rocsparse_index_base_b,"axG",@progbits,_ZN9rocsparseL18bsrxmvn_4x4_kernelILj128ELj16E21rocsparse_complex_numIfEllfS2_S2_EEvT3_20rocsparse_direction_NS_24const_host_device_scalarIT1_EES3_PKS3_PKT2_SC_S9_PKT4_PKT5_S7_PT6_21rocsparse_index_base_b,comdat
.Lfunc_end132:
	.size	_ZN9rocsparseL18bsrxmvn_4x4_kernelILj128ELj16E21rocsparse_complex_numIfEllfS2_S2_EEvT3_20rocsparse_direction_NS_24const_host_device_scalarIT1_EES3_PKS3_PKT2_SC_S9_PKT4_PKT5_S7_PT6_21rocsparse_index_base_b, .Lfunc_end132-_ZN9rocsparseL18bsrxmvn_4x4_kernelILj128ELj16E21rocsparse_complex_numIfEllfS2_S2_EEvT3_20rocsparse_direction_NS_24const_host_device_scalarIT1_EES3_PKS3_PKT2_SC_S9_PKT4_PKT5_S7_PT6_21rocsparse_index_base_b
                                        ; -- End function
	.set _ZN9rocsparseL18bsrxmvn_4x4_kernelILj128ELj16E21rocsparse_complex_numIfEllfS2_S2_EEvT3_20rocsparse_direction_NS_24const_host_device_scalarIT1_EES3_PKS3_PKT2_SC_S9_PKT4_PKT5_S7_PT6_21rocsparse_index_base_b.num_vgpr, 62
	.set _ZN9rocsparseL18bsrxmvn_4x4_kernelILj128ELj16E21rocsparse_complex_numIfEllfS2_S2_EEvT3_20rocsparse_direction_NS_24const_host_device_scalarIT1_EES3_PKS3_PKT2_SC_S9_PKT4_PKT5_S7_PT6_21rocsparse_index_base_b.num_agpr, 0
	.set _ZN9rocsparseL18bsrxmvn_4x4_kernelILj128ELj16E21rocsparse_complex_numIfEllfS2_S2_EEvT3_20rocsparse_direction_NS_24const_host_device_scalarIT1_EES3_PKS3_PKT2_SC_S9_PKT4_PKT5_S7_PT6_21rocsparse_index_base_b.numbered_sgpr, 17
	.set _ZN9rocsparseL18bsrxmvn_4x4_kernelILj128ELj16E21rocsparse_complex_numIfEllfS2_S2_EEvT3_20rocsparse_direction_NS_24const_host_device_scalarIT1_EES3_PKS3_PKT2_SC_S9_PKT4_PKT5_S7_PT6_21rocsparse_index_base_b.num_named_barrier, 0
	.set _ZN9rocsparseL18bsrxmvn_4x4_kernelILj128ELj16E21rocsparse_complex_numIfEllfS2_S2_EEvT3_20rocsparse_direction_NS_24const_host_device_scalarIT1_EES3_PKS3_PKT2_SC_S9_PKT4_PKT5_S7_PT6_21rocsparse_index_base_b.private_seg_size, 0
	.set _ZN9rocsparseL18bsrxmvn_4x4_kernelILj128ELj16E21rocsparse_complex_numIfEllfS2_S2_EEvT3_20rocsparse_direction_NS_24const_host_device_scalarIT1_EES3_PKS3_PKT2_SC_S9_PKT4_PKT5_S7_PT6_21rocsparse_index_base_b.uses_vcc, 1
	.set _ZN9rocsparseL18bsrxmvn_4x4_kernelILj128ELj16E21rocsparse_complex_numIfEllfS2_S2_EEvT3_20rocsparse_direction_NS_24const_host_device_scalarIT1_EES3_PKS3_PKT2_SC_S9_PKT4_PKT5_S7_PT6_21rocsparse_index_base_b.uses_flat_scratch, 0
	.set _ZN9rocsparseL18bsrxmvn_4x4_kernelILj128ELj16E21rocsparse_complex_numIfEllfS2_S2_EEvT3_20rocsparse_direction_NS_24const_host_device_scalarIT1_EES3_PKS3_PKT2_SC_S9_PKT4_PKT5_S7_PT6_21rocsparse_index_base_b.has_dyn_sized_stack, 0
	.set _ZN9rocsparseL18bsrxmvn_4x4_kernelILj128ELj16E21rocsparse_complex_numIfEllfS2_S2_EEvT3_20rocsparse_direction_NS_24const_host_device_scalarIT1_EES3_PKS3_PKT2_SC_S9_PKT4_PKT5_S7_PT6_21rocsparse_index_base_b.has_recursion, 0
	.set _ZN9rocsparseL18bsrxmvn_4x4_kernelILj128ELj16E21rocsparse_complex_numIfEllfS2_S2_EEvT3_20rocsparse_direction_NS_24const_host_device_scalarIT1_EES3_PKS3_PKT2_SC_S9_PKT4_PKT5_S7_PT6_21rocsparse_index_base_b.has_indirect_call, 0
	.section	.AMDGPU.csdata,"",@progbits
; Kernel info:
; codeLenInByte = 6212
; TotalNumSgprs: 21
; NumVgprs: 62
; ScratchSize: 0
; MemoryBound: 0
; FloatMode: 240
; IeeeMode: 1
; LDSByteSize: 0 bytes/workgroup (compile time only)
; SGPRBlocks: 2
; VGPRBlocks: 15
; NumSGPRsForWavesPerEU: 21
; NumVGPRsForWavesPerEU: 62
; Occupancy: 4
; WaveLimiterHint : 1
; COMPUTE_PGM_RSRC2:SCRATCH_EN: 0
; COMPUTE_PGM_RSRC2:USER_SGPR: 6
; COMPUTE_PGM_RSRC2:TRAP_HANDLER: 0
; COMPUTE_PGM_RSRC2:TGID_X_EN: 1
; COMPUTE_PGM_RSRC2:TGID_Y_EN: 0
; COMPUTE_PGM_RSRC2:TGID_Z_EN: 0
; COMPUTE_PGM_RSRC2:TIDIG_COMP_CNT: 0
	.section	.text._ZN9rocsparseL18bsrxmvn_4x4_kernelILj128ELj32E21rocsparse_complex_numIfEllfS2_S2_EEvT3_20rocsparse_direction_NS_24const_host_device_scalarIT1_EES3_PKS3_PKT2_SC_S9_PKT4_PKT5_S7_PT6_21rocsparse_index_base_b,"axG",@progbits,_ZN9rocsparseL18bsrxmvn_4x4_kernelILj128ELj32E21rocsparse_complex_numIfEllfS2_S2_EEvT3_20rocsparse_direction_NS_24const_host_device_scalarIT1_EES3_PKS3_PKT2_SC_S9_PKT4_PKT5_S7_PT6_21rocsparse_index_base_b,comdat
	.globl	_ZN9rocsparseL18bsrxmvn_4x4_kernelILj128ELj32E21rocsparse_complex_numIfEllfS2_S2_EEvT3_20rocsparse_direction_NS_24const_host_device_scalarIT1_EES3_PKS3_PKT2_SC_S9_PKT4_PKT5_S7_PT6_21rocsparse_index_base_b ; -- Begin function _ZN9rocsparseL18bsrxmvn_4x4_kernelILj128ELj32E21rocsparse_complex_numIfEllfS2_S2_EEvT3_20rocsparse_direction_NS_24const_host_device_scalarIT1_EES3_PKS3_PKT2_SC_S9_PKT4_PKT5_S7_PT6_21rocsparse_index_base_b
	.p2align	8
	.type	_ZN9rocsparseL18bsrxmvn_4x4_kernelILj128ELj32E21rocsparse_complex_numIfEllfS2_S2_EEvT3_20rocsparse_direction_NS_24const_host_device_scalarIT1_EES3_PKS3_PKT2_SC_S9_PKT4_PKT5_S7_PT6_21rocsparse_index_base_b,@function
_ZN9rocsparseL18bsrxmvn_4x4_kernelILj128ELj32E21rocsparse_complex_numIfEllfS2_S2_EEvT3_20rocsparse_direction_NS_24const_host_device_scalarIT1_EES3_PKS3_PKT2_SC_S9_PKT4_PKT5_S7_PT6_21rocsparse_index_base_b: ; @_ZN9rocsparseL18bsrxmvn_4x4_kernelILj128ELj32E21rocsparse_complex_numIfEllfS2_S2_EEvT3_20rocsparse_direction_NS_24const_host_device_scalarIT1_EES3_PKS3_PKT2_SC_S9_PKT4_PKT5_S7_PT6_21rocsparse_index_base_b
; %bb.0:
	s_load_dwordx4 s[0:3], s[4:5], 0x10
	s_load_dwordx2 s[8:9], s[4:5], 0x60
	s_add_u32 s7, s4, 16
	s_addc_u32 s12, s5, 0
	s_add_u32 s13, s4, 0x50
	s_load_dwordx2 s[10:11], s[4:5], 0x50
	s_addc_u32 s14, s5, 0
	s_waitcnt lgkmcnt(0)
	s_bitcmp1_b32 s9, 0
	s_cselect_b32 s1, s12, s1
	s_cselect_b32 s0, s7, s0
	v_mov_b32_e32 v1, s0
	v_mov_b32_e32 v2, s1
	flat_load_dwordx2 v[10:11], v[1:2]
	s_cselect_b32 s0, s14, s11
	s_cselect_b32 s1, s13, s10
	v_mov_b32_e32 v1, s1
	v_mov_b32_e32 v2, s0
	flat_load_dwordx2 v[8:9], v[1:2]
	s_waitcnt vmcnt(0) lgkmcnt(0)
	v_cmp_eq_f32_e32 vcc, 0, v10
	v_cmp_eq_f32_e64 s[0:1], 0, v11
	s_and_b64 s[12:13], vcc, s[0:1]
	s_mov_b64 s[0:1], -1
	s_and_saveexec_b64 s[10:11], s[12:13]
; %bb.1:
	v_cmp_neq_f32_e32 vcc, 1.0, v8
	v_cmp_neq_f32_e64 s[0:1], 0, v9
	s_or_b64 s[0:1], vcc, s[0:1]
	s_orn2_b64 s[0:1], s[0:1], exec
; %bb.2:
	s_or_b64 exec, exec, s[10:11]
	s_and_saveexec_b64 s[10:11], s[0:1]
	s_cbranch_execz .LBB133_8
; %bb.3:
	s_load_dwordx2 s[10:11], s[4:5], 0x20
	v_lshrrev_b32_e32 v1, 5, v0
	v_lshl_or_b32 v3, s6, 2, v1
	v_mov_b32_e32 v4, 0
	s_mov_b64 s[0:1], 0
	s_waitcnt lgkmcnt(0)
	s_cmp_lg_u64 s[10:11], 0
	s_cbranch_scc0 .LBB133_9
; %bb.4:
	v_cmp_gt_i64_e32 vcc, s[2:3], v[3:4]
                                        ; implicit-def: $vgpr12_vgpr13
                                        ; implicit-def: $vgpr1_vgpr2
	s_and_saveexec_b64 s[2:3], vcc
	s_xor_b64 s[2:3], exec, s[2:3]
	s_cbranch_execz .LBB133_6
; %bb.5:
	v_lshlrev_b64 v[1:2], 3, v[3:4]
	v_mov_b32_e32 v5, s11
	v_add_co_u32_e32 v1, vcc, s10, v1
	v_addc_co_u32_e32 v2, vcc, v5, v2, vcc
	global_load_dwordx2 v[1:2], v[1:2], off
	s_mov_b32 s9, 0
	s_mov_b64 s[0:1], exec
	s_waitcnt vmcnt(0)
	v_subrev_co_u32_e32 v12, vcc, s8, v1
	v_subbrev_co_u32_e32 v13, vcc, 0, v2, vcc
	v_mov_b32_e32 v1, s8
	v_mov_b32_e32 v2, s9
.LBB133_6:
	s_or_b64 exec, exec, s[2:3]
.LBB133_7:
	s_and_b64 exec, exec, s[0:1]
	s_cbranch_execnz .LBB133_13
.LBB133_8:
	s_endpgm
.LBB133_9:
                                        ; implicit-def: $vgpr12_vgpr13
                                        ; implicit-def: $vgpr1_vgpr2
	s_cbranch_execz .LBB133_7
; %bb.10:
	s_load_dwordx2 s[2:3], s[4:5], 0x0
	s_waitcnt lgkmcnt(0)
	v_cmp_gt_i64_e32 vcc, s[2:3], v[3:4]
	s_and_saveexec_b64 s[2:3], vcc
; %bb.11:
	s_mov_b32 s9, 0
	s_or_b64 s[0:1], s[0:1], exec
; %bb.12:
	s_or_b64 exec, exec, s[2:3]
	v_mov_b32_e32 v1, s8
	v_mov_b32_e32 v13, v4
	v_mov_b32_e32 v2, s9
	v_mov_b32_e32 v12, v3
	s_and_b64 exec, exec, s[0:1]
	s_cbranch_execz .LBB133_8
.LBB133_13:
	s_load_dwordx8 s[8:15], s[4:5], 0x28
	v_lshlrev_b64 v[3:4], 3, v[12:13]
	v_and_b32_e32 v0, 31, v0
	s_waitcnt lgkmcnt(0)
	v_mov_b32_e32 v6, s9
	v_add_co_u32_e32 v5, vcc, s8, v3
	v_addc_co_u32_e32 v6, vcc, v6, v4, vcc
	global_load_dwordx2 v[18:19], v[5:6], off
	v_add_co_u32_e32 v5, vcc, 8, v5
	v_addc_co_u32_e32 v6, vcc, 0, v6, vcc
	v_mov_b32_e32 v7, s11
	v_add_co_u32_e32 v3, vcc, s10, v3
	s_cmp_eq_u64 s[10:11], 0
	v_addc_co_u32_e32 v4, vcc, v7, v4, vcc
	s_cselect_b64 vcc, -1, 0
	v_cndmask_b32_e32 v4, v4, v6, vcc
	v_cndmask_b32_e32 v3, v3, v5, vcc
	global_load_dwordx2 v[5:6], v[3:4], off
	s_load_dword s0, s[4:5], 0x8
	s_load_dwordx2 s[6:7], s[4:5], 0x48
	v_mov_b32_e32 v16, s15
	v_mov_b32_e32 v7, 0
	s_waitcnt lgkmcnt(0)
	s_cmp_eq_u32 s0, 1
	s_waitcnt vmcnt(1)
	v_sub_co_u32_e32 v3, vcc, v18, v1
	v_subb_co_u32_e32 v4, vcc, v19, v2, vcc
	v_add_co_u32_e32 v3, vcc, v3, v0
	v_addc_co_u32_e32 v4, vcc, 0, v4, vcc
	v_lshlrev_b64 v[14:15], 6, v[3:4]
	s_waitcnt vmcnt(0)
	v_sub_co_u32_e32 v5, vcc, v5, v1
	v_subb_co_u32_e32 v6, vcc, v6, v2, vcc
	v_cmp_lt_i64_e64 s[0:1], v[3:4], v[5:6]
	v_add_co_u32_e32 v14, vcc, s14, v14
	v_addc_co_u32_e32 v15, vcc, v16, v15, vcc
	s_cbranch_scc1 .LBB133_25
; %bb.14:
	v_mov_b32_e32 v34, 0
	v_mov_b32_e32 v31, 0
	;; [unrolled: 1-line block ×7, first 2 shown]
	s_and_saveexec_b64 s[8:9], s[0:1]
	s_cbranch_execz .LBB133_24
; %bb.15:
	v_or_b32_e32 v7, 32, v0
	v_sub_co_u32_e32 v7, vcc, v7, v1
	v_subb_co_u32_e32 v17, vcc, 0, v2, vcc
	v_add_co_u32_e32 v16, vcc, v7, v18
	v_addc_co_u32_e32 v17, vcc, v17, v19, vcc
	v_cmp_gt_i64_e32 vcc, v[16:17], v[5:6]
	v_not_b32_e32 v20, v18
	v_cndmask_b32_e32 v7, v6, v17, vcc
	v_cndmask_b32_e32 v16, v5, v16, vcc
	v_sub_co_u32_e32 v21, vcc, v1, v0
	v_subbrev_co_u32_e32 v22, vcc, 0, v2, vcc
	v_not_b32_e32 v17, v19
	v_add_co_u32_e32 v20, vcc, v21, v20
	v_addc_co_u32_e32 v17, vcc, v22, v17, vcc
	v_add_co_u32_e32 v24, vcc, v20, v16
	v_addc_co_u32_e32 v25, vcc, v17, v7, vcc
	v_and_b32_e32 v16, 0x60, v24
	v_mov_b32_e32 v17, 0
	s_mov_b64 s[2:3], 0x60
	v_cmp_ne_u64_e32 vcc, s[2:3], v[16:17]
	v_mov_b32_e32 v21, v15
	v_mov_b32_e32 v23, v4
	;; [unrolled: 1-line block ×11, first 2 shown]
	s_and_saveexec_b64 s[10:11], vcc
	s_cbranch_execz .LBB133_19
; %bb.16:
	v_lshlrev_b64 v[16:17], 3, v[3:4]
	v_lshrrev_b32_e32 v7, 5, v24
	v_add_u32_e32 v7, 1, v7
	v_mov_b32_e32 v21, s13
	v_add_co_u32_e32 v26, vcc, s12, v16
	v_and_b32_e32 v20, 3, v7
	v_addc_co_u32_e32 v27, vcc, v21, v17, vcc
	v_sub_co_u32_e32 v28, vcc, 0, v20
	v_mov_b32_e32 v23, v4
	v_mov_b32_e32 v21, v15
	;; [unrolled: 1-line block ×3, first 2 shown]
	s_mov_b64 s[14:15], 0
	v_subb_co_u32_e64 v29, s[2:3], 0, 0, vcc
	s_movk_i32 s16, 0x800
	v_mov_b32_e32 v35, s7
	v_mov_b32_e32 v22, v3
	;; [unrolled: 1-line block ×10, first 2 shown]
.LBB133_17:                             ; =>This Inner Loop Header: Depth=1
	global_load_dwordx2 v[52:53], v[26:27], off
	global_load_dwordx4 v[36:39], v[20:21], off
	global_load_dwordx4 v[40:43], v[20:21], off offset:16
	global_load_dwordx4 v[44:47], v[20:21], off offset:32
	;; [unrolled: 1-line block ×3, first 2 shown]
	s_waitcnt vmcnt(4)
	v_sub_co_u32_e32 v52, vcc, v52, v1
	v_subb_co_u32_e32 v53, vcc, v53, v2, vcc
	v_lshlrev_b64 v[52:53], 5, v[52:53]
	v_add_co_u32_e32 v60, vcc, s6, v52
	v_addc_co_u32_e32 v61, vcc, v35, v53, vcc
	global_load_dwordx4 v[52:55], v[60:61], off
	global_load_dwordx4 v[56:59], v[60:61], off offset:16
	v_add_co_u32_e32 v20, vcc, s16, v20
	s_mov_b64 s[2:3], vcc
	v_add_co_u32_e32 v22, vcc, 32, v22
	v_addc_co_u32_e32 v23, vcc, 0, v23, vcc
	v_add_co_u32_e32 v28, vcc, 1, v28
	v_addc_co_u32_e32 v29, vcc, 0, v29, vcc
	v_addc_co_u32_e64 v21, s[2:3], 0, v21, s[2:3]
	v_cmp_eq_u64_e64 s[2:3], 0, v[28:29]
	v_add_co_u32_e32 v26, vcc, 0x100, v26
	v_addc_co_u32_e32 v27, vcc, 0, v27, vcc
	s_or_b64 s[14:15], s[2:3], s[14:15]
	s_waitcnt vmcnt(1)
	v_fmac_f32_e32 v34, v36, v52
	v_fmac_f32_e32 v7, 0, v52
	;; [unrolled: 1-line block ×32, first 2 shown]
	s_waitcnt vmcnt(0)
	v_fmac_f32_e32 v34, v38, v56
	v_fmac_f32_e32 v7, 0, v56
	;; [unrolled: 1-line block ×32, first 2 shown]
	s_andn2_b64 exec, exec, s[14:15]
	s_cbranch_execnz .LBB133_17
; %bb.18:
	s_or_b64 exec, exec, s[14:15]
.LBB133_19:
	s_or_b64 exec, exec, s[10:11]
	s_mov_b64 s[2:3], 0x5f
	v_cmp_lt_u64_e32 vcc, s[2:3], v[24:25]
	s_and_saveexec_b64 s[10:11], vcc
	s_cbranch_execz .LBB133_23
; %bb.20:
	v_lshlrev_b64 v[24:25], 3, v[22:23]
	v_mov_b32_e32 v26, s13
	v_add_co_u32_e32 v24, vcc, s12, v24
	v_addc_co_u32_e32 v25, vcc, v26, v25, vcc
	v_add_co_u32_e32 v24, vcc, 0x200, v24
	v_addc_co_u32_e32 v25, vcc, 0, v25, vcc
	s_mov_b64 s[14:15], 0
	v_mov_b32_e32 v28, s7
	s_movk_i32 s16, 0x1000
.LBB133_21:                             ; =>This Inner Loop Header: Depth=1
	global_load_dwordx2 v[26:27], v[24:25], off offset:-512
	global_load_dwordx4 v[35:38], v[20:21], off offset:48
	global_load_dwordx4 v[39:42], v[20:21], off offset:32
	global_load_dwordx4 v[43:46], v[20:21], off offset:16
	global_load_dwordx4 v[47:50], v[20:21], off
	s_waitcnt vmcnt(4)
	v_sub_co_u32_e32 v26, vcc, v26, v1
	v_subb_co_u32_e32 v27, vcc, v27, v2, vcc
	v_lshlrev_b64 v[26:27], 5, v[26:27]
	v_add_co_u32_e32 v26, vcc, s6, v26
	v_addc_co_u32_e32 v27, vcc, v28, v27, vcc
	global_load_dwordx4 v[51:54], v[26:27], off offset:16
	global_load_dwordx4 v[55:58], v[26:27], off
	s_waitcnt vmcnt(0)
	v_fmac_f32_e32 v34, v47, v55
	global_load_dwordx2 v[26:27], v[24:25], off offset:-256
	v_fmac_f32_e32 v7, 0, v55
	v_fmac_f32_e32 v33, v43, v55
	;; [unrolled: 1-line block ×63, first 2 shown]
	global_load_dwordx4 v[35:38], v[20:21], off offset:2096
	global_load_dwordx4 v[39:42], v[20:21], off offset:2080
	;; [unrolled: 1-line block ×4, first 2 shown]
	s_waitcnt vmcnt(4)
	v_sub_co_u32_e32 v26, vcc, v26, v1
	v_subb_co_u32_e32 v27, vcc, v27, v2, vcc
	v_lshlrev_b64 v[26:27], 5, v[26:27]
	v_add_co_u32_e32 v26, vcc, s6, v26
	v_addc_co_u32_e32 v27, vcc, v28, v27, vcc
	global_load_dwordx4 v[51:54], v[26:27], off offset:16
	global_load_dwordx4 v[55:58], v[26:27], off
	v_add_co_u32_e32 v26, vcc, s16, v20
	v_addc_co_u32_e32 v27, vcc, 0, v21, vcc
	s_waitcnt vmcnt(0)
	v_fmac_f32_e32 v16, 0, v55
	v_fmac_f32_e32 v17, v35, v55
	;; [unrolled: 1-line block ×7, first 2 shown]
	global_load_dwordx2 v[35:36], v[24:25], off
	v_fmac_f32_e32 v34, v47, v55
	v_fmac_f32_e32 v7, 0, v55
	;; [unrolled: 1-line block ×57, first 2 shown]
	s_waitcnt vmcnt(0)
	v_sub_co_u32_e32 v51, vcc, v35, v1
	v_subb_co_u32_e32 v52, vcc, v36, v2, vcc
	v_lshlrev_b64 v[51:52], 5, v[51:52]
	global_load_dwordx4 v[35:38], v[26:27], off
	global_load_dwordx4 v[39:42], v[26:27], off offset:48
	global_load_dwordx4 v[43:46], v[26:27], off offset:32
	global_load_dwordx4 v[47:50], v[26:27], off offset:16
	v_add_co_u32_e32 v59, vcc, s6, v51
	v_addc_co_u32_e32 v60, vcc, v28, v52, vcc
	global_load_dwordx4 v[51:54], v[59:60], off offset:16
	global_load_dwordx4 v[55:58], v[59:60], off
	s_waitcnt vmcnt(0)
	v_fmac_f32_e32 v7, 0, v55
	v_fmac_f32_e32 v34, v35, v55
	;; [unrolled: 1-line block ×7, first 2 shown]
	global_load_dwordx2 v[35:36], v[24:25], off offset:256
	v_fmac_f32_e32 v31, 0, v55
	v_fmac_f32_e32 v30, 0, v55
	;; [unrolled: 1-line block ×57, first 2 shown]
	s_waitcnt vmcnt(0)
	v_sub_co_u32_e32 v51, vcc, v35, v1
	v_subb_co_u32_e32 v52, vcc, v36, v2, vcc
	global_load_dwordx4 v[35:38], v[26:27], off offset:2096
	global_load_dwordx4 v[39:42], v[26:27], off offset:2080
	;; [unrolled: 1-line block ×4, first 2 shown]
	v_lshlrev_b64 v[26:27], 5, v[51:52]
	v_add_co_u32_e32 v26, vcc, s6, v26
	v_addc_co_u32_e32 v27, vcc, v28, v27, vcc
	global_load_dwordx4 v[51:54], v[26:27], off offset:16
	global_load_dwordx4 v[55:58], v[26:27], off
	v_add_co_u32_e32 v22, vcc, 0x80, v22
	v_addc_co_u32_e32 v23, vcc, 0, v23, vcc
	v_add_co_u32_e32 v24, vcc, 0x400, v24
	v_addc_co_u32_e32 v25, vcc, 0, v25, vcc
	v_cmp_ge_i64_e64 s[2:3], v[22:23], v[5:6]
	v_add_co_u32_e32 v20, vcc, 0x2000, v20
	v_addc_co_u32_e32 v21, vcc, 0, v21, vcc
	s_or_b64 s[14:15], s[2:3], s[14:15]
	s_waitcnt vmcnt(0)
	v_fmac_f32_e32 v34, v47, v55
	v_fmac_f32_e32 v7, 0, v55
	;; [unrolled: 1-line block ×64, first 2 shown]
	s_andn2_b64 exec, exec, s[14:15]
	s_cbranch_execnz .LBB133_21
; %bb.22:
	s_or_b64 exec, exec, s[14:15]
.LBB133_23:
	s_or_b64 exec, exec, s[10:11]
.LBB133_24:
	s_or_b64 exec, exec, s[8:9]
	s_cbranch_execz .LBB133_26
	s_branch .LBB133_37
.LBB133_25:
                                        ; implicit-def: $vgpr7
                                        ; implicit-def: $vgpr34
                                        ; implicit-def: $vgpr31
                                        ; implicit-def: $vgpr33
                                        ; implicit-def: $vgpr30
                                        ; implicit-def: $vgpr32
                                        ; implicit-def: $vgpr16
                                        ; implicit-def: $vgpr17
.LBB133_26:
	v_mov_b32_e32 v7, 0
	v_mov_b32_e32 v34, 0
	;; [unrolled: 1-line block ×8, first 2 shown]
	s_and_saveexec_b64 s[2:3], s[0:1]
	s_cbranch_execz .LBB133_36
; %bb.27:
	v_or_b32_e32 v7, 32, v0
	v_sub_co_u32_e32 v7, vcc, v7, v1
	v_subb_co_u32_e32 v17, vcc, 0, v2, vcc
	v_add_co_u32_e32 v16, vcc, v7, v18
	v_addc_co_u32_e32 v17, vcc, v17, v19, vcc
	v_cmp_gt_i64_e32 vcc, v[16:17], v[5:6]
	v_not_b32_e32 v18, v18
	v_cndmask_b32_e32 v7, v6, v17, vcc
	v_cndmask_b32_e32 v16, v5, v16, vcc
	v_not_b32_e32 v17, v19
	v_sub_co_u32_e32 v19, vcc, v1, v0
	v_subbrev_co_u32_e32 v20, vcc, 0, v2, vcc
	v_add_co_u32_e32 v18, vcc, v19, v18
	v_addc_co_u32_e32 v17, vcc, v20, v17, vcc
	v_add_co_u32_e32 v18, vcc, v18, v16
	v_addc_co_u32_e32 v19, vcc, v17, v7, vcc
	v_and_b32_e32 v16, 0x60, v18
	v_mov_b32_e32 v17, 0
	s_mov_b64 s[0:1], 0x60
	v_cmp_ne_u64_e32 vcc, s[0:1], v[16:17]
	v_mov_b32_e32 v16, v17
	v_mov_b32_e32 v32, v17
	v_mov_b32_e32 v30, v17
	v_mov_b32_e32 v33, v17
	v_mov_b32_e32 v31, v17
	v_mov_b32_e32 v34, v17
	v_mov_b32_e32 v7, v17
	s_and_saveexec_b64 s[8:9], vcc
	s_cbranch_execz .LBB133_31
; %bb.28:
	v_lshlrev_b64 v[16:17], 3, v[3:4]
	v_lshrrev_b32_e32 v7, 5, v18
	v_add_u32_e32 v7, 1, v7
	v_mov_b32_e32 v21, s13
	v_add_co_u32_e32 v20, vcc, s12, v16
	v_and_b32_e32 v22, 3, v7
	v_addc_co_u32_e32 v21, vcc, v21, v17, vcc
	v_sub_co_u32_e32 v22, vcc, 0, v22
	v_mov_b32_e32 v7, 0
	s_mov_b64 s[10:11], 0
	v_subb_co_u32_e64 v23, s[0:1], 0, 0, vcc
	s_movk_i32 s14, 0x800
	v_mov_b32_e32 v24, s7
	v_mov_b32_e32 v34, 0
	;; [unrolled: 1-line block ×8, first 2 shown]
.LBB133_29:                             ; =>This Inner Loop Header: Depth=1
	global_load_dwordx2 v[43:44], v[20:21], off
	global_load_dwordx4 v[25:28], v[14:15], off offset:32
	global_load_dwordx4 v[35:38], v[14:15], off offset:16
	global_load_dwordx4 v[39:42], v[14:15], off
	v_add_co_u32_e64 v3, s[0:1], 32, v3
	v_addc_co_u32_e64 v4, s[0:1], 0, v4, s[0:1]
	v_add_co_u32_e64 v22, s[0:1], 1, v22
	v_addc_co_u32_e64 v23, s[0:1], 0, v23, s[0:1]
	v_cmp_eq_u64_e64 s[0:1], 0, v[22:23]
	s_or_b64 s[10:11], s[0:1], s[10:11]
	s_waitcnt vmcnt(3)
	v_sub_co_u32_e32 v43, vcc, v43, v1
	v_subb_co_u32_e32 v44, vcc, v44, v2, vcc
	v_lshlrev_b64 v[43:44], 5, v[43:44]
	v_add_co_u32_e32 v55, vcc, s6, v43
	v_addc_co_u32_e32 v56, vcc, v24, v44, vcc
	global_load_dwordx4 v[43:46], v[55:56], off
	global_load_dwordx4 v[47:50], v[55:56], off offset:16
	global_load_dwordx4 v[51:54], v[14:15], off offset:48
	v_add_co_u32_e32 v14, vcc, s14, v14
	v_addc_co_u32_e32 v15, vcc, 0, v15, vcc
	v_add_co_u32_e32 v20, vcc, 0x100, v20
	v_addc_co_u32_e32 v21, vcc, 0, v21, vcc
	s_waitcnt vmcnt(2)
	v_fmac_f32_e32 v34, v39, v43
	v_fmac_f32_e32 v7, 0, v43
	;; [unrolled: 1-line block ×32, first 2 shown]
	s_waitcnt vmcnt(1)
	v_fmac_f32_e32 v34, v25, v47
	v_fmac_f32_e32 v7, 0, v47
	;; [unrolled: 1-line block ×16, first 2 shown]
	s_waitcnt vmcnt(0)
	v_fmac_f32_e32 v34, v51, v49
	v_fmac_f32_e32 v7, 0, v49
	;; [unrolled: 1-line block ×16, first 2 shown]
	s_andn2_b64 exec, exec, s[10:11]
	s_cbranch_execnz .LBB133_29
; %bb.30:
	s_or_b64 exec, exec, s[10:11]
.LBB133_31:
	s_or_b64 exec, exec, s[8:9]
	s_mov_b64 s[0:1], 0x5f
	v_cmp_lt_u64_e32 vcc, s[0:1], v[18:19]
	s_and_saveexec_b64 s[8:9], vcc
	s_cbranch_execz .LBB133_35
; %bb.32:
	v_lshlrev_b64 v[18:19], 3, v[3:4]
	v_mov_b32_e32 v20, s13
	v_add_co_u32_e32 v18, vcc, s12, v18
	v_addc_co_u32_e32 v19, vcc, v20, v19, vcc
	v_add_co_u32_e32 v18, vcc, 0x200, v18
	v_addc_co_u32_e32 v19, vcc, 0, v19, vcc
	s_mov_b64 s[10:11], 0
	v_mov_b32_e32 v22, s7
	s_movk_i32 s7, 0x1000
.LBB133_33:                             ; =>This Inner Loop Header: Depth=1
	global_load_dwordx2 v[20:21], v[18:19], off offset:-512
	global_load_dwordx4 v[23:26], v[14:15], off offset:48
	global_load_dwordx4 v[35:38], v[14:15], off offset:32
	;; [unrolled: 1-line block ×3, first 2 shown]
	global_load_dwordx4 v[43:46], v[14:15], off
	s_waitcnt vmcnt(4)
	v_sub_co_u32_e32 v20, vcc, v20, v1
	v_subb_co_u32_e32 v21, vcc, v21, v2, vcc
	v_lshlrev_b64 v[20:21], 5, v[20:21]
	v_add_co_u32_e32 v20, vcc, s6, v20
	v_addc_co_u32_e32 v21, vcc, v22, v21, vcc
	global_load_dwordx4 v[47:50], v[20:21], off offset:16
	global_load_dwordx4 v[51:54], v[20:21], off
	s_waitcnt vmcnt(0)
	v_fmac_f32_e32 v34, v43, v51
	global_load_dwordx2 v[20:21], v[18:19], off offset:-256
	v_fmac_f32_e32 v7, 0, v51
	v_fmac_f32_e32 v33, v44, v51
	;; [unrolled: 1-line block ×63, first 2 shown]
	global_load_dwordx4 v[23:26], v[14:15], off offset:2096
	global_load_dwordx4 v[35:38], v[14:15], off offset:2080
	;; [unrolled: 1-line block ×4, first 2 shown]
	s_waitcnt vmcnt(4)
	v_sub_co_u32_e32 v20, vcc, v20, v1
	v_subb_co_u32_e32 v21, vcc, v21, v2, vcc
	v_lshlrev_b64 v[20:21], 5, v[20:21]
	v_add_co_u32_e32 v20, vcc, s6, v20
	v_addc_co_u32_e32 v21, vcc, v22, v21, vcc
	global_load_dwordx4 v[47:50], v[20:21], off offset:16
	global_load_dwordx4 v[51:54], v[20:21], off
	v_add_co_u32_e32 v20, vcc, s7, v14
	v_addc_co_u32_e32 v21, vcc, 0, v15, vcc
	s_waitcnt vmcnt(0)
	v_fmac_f32_e32 v7, 0, v51
	v_fmac_f32_e32 v31, 0, v51
	;; [unrolled: 1-line block ×30, first 2 shown]
	global_load_dwordx2 v[23:24], v[18:19], off
	v_fmac_f32_e32 v32, v45, v51
	v_fmac_f32_e32 v30, 0, v51
	v_fmac_f32_e32 v17, v46, v51
	v_fmac_f32_e32 v16, 0, v51
	v_fmac_f32_e32 v32, 0x80000000, v52
	v_fmac_f32_e32 v30, v45, v52
	v_fmac_f32_e32 v17, 0x80000000, v52
	v_fmac_f32_e32 v16, v46, v52
	v_fmac_f32_e32 v32, v41, v53
	v_fmac_f32_e32 v30, 0, v53
	v_fmac_f32_e32 v17, v42, v53
	v_fmac_f32_e32 v16, 0, v53
	v_fmac_f32_e32 v32, 0x80000000, v54
	v_fmac_f32_e32 v30, v41, v54
	v_fmac_f32_e32 v17, 0x80000000, v54
	v_fmac_f32_e32 v16, v42, v54
	v_fmac_f32_e32 v32, v37, v47
	v_fmac_f32_e32 v30, 0, v47
	v_fmac_f32_e32 v17, v38, v47
	v_fmac_f32_e32 v16, 0, v47
	v_fmac_f32_e32 v32, 0x80000000, v48
	v_fmac_f32_e32 v30, v37, v48
	v_fmac_f32_e32 v17, 0x80000000, v48
	v_fmac_f32_e32 v16, v38, v48
	v_fmac_f32_e32 v32, v25, v49
	v_fmac_f32_e32 v30, 0, v49
	v_fmac_f32_e32 v17, v26, v49
	v_fmac_f32_e32 v16, 0, v49
	v_fmac_f32_e32 v34, 0x80000000, v50
	v_fmac_f32_e32 v33, 0x80000000, v50
	v_fmac_f32_e32 v32, 0x80000000, v50
	v_fmac_f32_e32 v30, v25, v50
	v_fmac_f32_e32 v17, 0x80000000, v50
	v_fmac_f32_e32 v16, v26, v50
	s_waitcnt vmcnt(0)
	v_sub_co_u32_e32 v27, vcc, v23, v1
	v_subb_co_u32_e32 v28, vcc, v24, v2, vcc
	v_lshlrev_b64 v[27:28], 5, v[27:28]
	global_load_dwordx4 v[23:26], v[20:21], off
	global_load_dwordx4 v[35:38], v[20:21], off offset:48
	global_load_dwordx4 v[39:42], v[20:21], off offset:32
	;; [unrolled: 1-line block ×3, first 2 shown]
	v_add_co_u32_e32 v27, vcc, s6, v27
	v_addc_co_u32_e32 v28, vcc, v22, v28, vcc
	global_load_dwordx4 v[47:50], v[27:28], off offset:16
	global_load_dwordx4 v[51:54], v[27:28], off
	s_waitcnt vmcnt(0)
	v_fmac_f32_e32 v7, 0, v51
	v_fmac_f32_e32 v31, 0, v51
	v_fmac_f32_e32 v34, v23, v51
	v_fmac_f32_e32 v7, v23, v52
	v_fmac_f32_e32 v33, v24, v51
	v_fmac_f32_e32 v31, v24, v52
	global_load_dwordx2 v[23:24], v[18:19], off offset:256
	v_fmac_f32_e32 v30, 0, v51
	v_fmac_f32_e32 v16, 0, v51
	;; [unrolled: 1-line block ×58, first 2 shown]
	s_waitcnt vmcnt(0)
	v_sub_co_u32_e32 v27, vcc, v23, v1
	v_subb_co_u32_e32 v28, vcc, v24, v2, vcc
	global_load_dwordx4 v[23:26], v[20:21], off offset:2096
	global_load_dwordx4 v[35:38], v[20:21], off offset:2080
	;; [unrolled: 1-line block ×4, first 2 shown]
	v_lshlrev_b64 v[20:21], 5, v[27:28]
	v_add_co_u32_e32 v20, vcc, s6, v20
	v_addc_co_u32_e32 v21, vcc, v22, v21, vcc
	global_load_dwordx4 v[47:50], v[20:21], off offset:16
	global_load_dwordx4 v[51:54], v[20:21], off
	v_add_co_u32_e32 v3, vcc, 0x80, v3
	v_addc_co_u32_e32 v4, vcc, 0, v4, vcc
	v_add_co_u32_e32 v18, vcc, 0x400, v18
	v_addc_co_u32_e32 v19, vcc, 0, v19, vcc
	v_cmp_ge_i64_e64 s[0:1], v[3:4], v[5:6]
	v_add_co_u32_e32 v14, vcc, 0x2000, v14
	v_addc_co_u32_e32 v15, vcc, 0, v15, vcc
	s_or_b64 s[10:11], s[0:1], s[10:11]
	s_waitcnt vmcnt(0)
	v_fmac_f32_e32 v34, v43, v51
	v_fmac_f32_e32 v7, 0, v51
	;; [unrolled: 1-line block ×64, first 2 shown]
	s_andn2_b64 exec, exec, s[10:11]
	s_cbranch_execnz .LBB133_33
; %bb.34:
	s_or_b64 exec, exec, s[10:11]
.LBB133_35:
	s_or_b64 exec, exec, s[8:9]
.LBB133_36:
	s_or_b64 exec, exec, s[2:3]
.LBB133_37:
	v_mov_b32_dpp v3, v7 row_shr:1 row_mask:0xf bank_mask:0xf
	v_mov_b32_dpp v1, v34 row_shr:1 row_mask:0xf bank_mask:0xf
	v_add_f32_e32 v3, v7, v3
	v_mov_b32_dpp v5, v33 row_shr:1 row_mask:0xf bank_mask:0xf
	v_mov_b32_dpp v7, v31 row_shr:1 row_mask:0xf bank_mask:0xf
	;; [unrolled: 1-line block ×6, first 2 shown]
	v_add_f32_e32 v1, v34, v1
	v_add_f32_e32 v5, v33, v5
	v_add_f32_e32 v7, v31, v7
	v_add_f32_e32 v15, v32, v15
	v_add_f32_e32 v19, v30, v19
	v_add_f32_e32 v17, v17, v21
	v_add_f32_e32 v16, v16, v22
	v_mov_b32_dpp v2, v1 row_shr:2 row_mask:0xf bank_mask:0xf
	v_mov_b32_dpp v4, v3 row_shr:2 row_mask:0xf bank_mask:0xf
	v_mov_b32_dpp v6, v5 row_shr:2 row_mask:0xf bank_mask:0xf
	v_mov_b32_dpp v14, v7 row_shr:2 row_mask:0xf bank_mask:0xf
	v_mov_b32_dpp v18, v15 row_shr:2 row_mask:0xf bank_mask:0xf
	v_mov_b32_dpp v20, v19 row_shr:2 row_mask:0xf bank_mask:0xf
	v_mov_b32_dpp v21, v17 row_shr:2 row_mask:0xf bank_mask:0xf
	v_mov_b32_dpp v22, v16 row_shr:2 row_mask:0xf bank_mask:0xf
	v_add_f32_e32 v1, v1, v2
	v_add_f32_e32 v3, v3, v4
	v_add_f32_e32 v5, v5, v6
	v_add_f32_e32 v7, v7, v14
	v_add_f32_e32 v15, v15, v18
	v_add_f32_e32 v19, v19, v20
	v_add_f32_e32 v17, v17, v21
	v_add_f32_e32 v16, v16, v22
	v_mov_b32_dpp v2, v1 row_shr:4 row_mask:0xf bank_mask:0xe
	v_mov_b32_dpp v4, v3 row_shr:4 row_mask:0xf bank_mask:0xe
	v_mov_b32_dpp v6, v5 row_shr:4 row_mask:0xf bank_mask:0xe
	v_mov_b32_dpp v14, v7 row_shr:4 row_mask:0xf bank_mask:0xe
	v_mov_b32_dpp v18, v15 row_shr:4 row_mask:0xf bank_mask:0xe
	v_mov_b32_dpp v20, v19 row_shr:4 row_mask:0xf bank_mask:0xe
	v_mov_b32_dpp v21, v17 row_shr:4 row_mask:0xf bank_mask:0xe
	v_mov_b32_dpp v22, v16 row_shr:4 row_mask:0xf bank_mask:0xe
	v_add_f32_e32 v1, v1, v2
	;; [unrolled: 16-line block ×3, first 2 shown]
	v_add_f32_e32 v3, v3, v4
	v_add_f32_e32 v5, v5, v6
	;; [unrolled: 1-line block ×7, first 2 shown]
	v_mov_b32_dpp v2, v1 row_bcast:15 row_mask:0xa bank_mask:0xf
	v_mov_b32_dpp v4, v3 row_bcast:15 row_mask:0xa bank_mask:0xf
	;; [unrolled: 1-line block ×8, first 2 shown]
	v_cmp_eq_u32_e32 vcc, 31, v0
	s_and_b64 exec, exec, vcc
	s_cbranch_execz .LBB133_8
; %bb.38:
	s_load_dwordx2 s[2:3], s[4:5], 0x58
	v_add_f32_e32 v23, v1, v2
	v_add_f32_e32 v0, v3, v4
	;; [unrolled: 1-line block ×8, first 2 shown]
	v_cmp_eq_f32_e32 vcc, 0, v8
	v_cmp_eq_f32_e64 s[0:1], 0, v9
	v_mul_f32_e64 v4, v0, -v11
	v_mul_f32_e32 v5, v10, v0
	v_mul_f32_e64 v6, v1, -v11
	v_mul_f32_e32 v7, v10, v1
	v_mul_f32_e64 v0, v2, -v11
	v_mul_f32_e32 v1, v10, v2
	v_mul_f32_e64 v2, v3, -v11
	v_mul_f32_e32 v3, v10, v3
	v_lshlrev_b64 v[12:13], 5, v[12:13]
	s_and_b64 s[0:1], vcc, s[0:1]
	v_fmac_f32_e32 v4, v10, v23
	v_fmac_f32_e32 v5, v11, v23
	;; [unrolled: 1-line block ×8, first 2 shown]
	s_and_saveexec_b64 s[4:5], s[0:1]
	s_xor_b64 s[0:1], exec, s[4:5]
	s_cbranch_execz .LBB133_40
; %bb.39:
	s_waitcnt lgkmcnt(0)
	v_mov_b32_e32 v9, s3
	v_add_co_u32_e32 v8, vcc, s2, v12
	v_addc_co_u32_e32 v9, vcc, v9, v13, vcc
	global_store_dwordx4 v[8:9], v[4:7], off
	global_store_dwordx4 v[8:9], v[0:3], off offset:16
                                        ; implicit-def: $vgpr8_vgpr9
                                        ; implicit-def: $vgpr4
                                        ; implicit-def: $vgpr12_vgpr13
                                        ; implicit-def: $vgpr0
.LBB133_40:
	s_andn2_saveexec_b64 s[0:1], s[0:1]
	s_cbranch_execz .LBB133_8
; %bb.41:
	s_waitcnt lgkmcnt(0)
	v_mov_b32_e32 v10, s3
	v_add_co_u32_e32 v18, vcc, s2, v12
	v_addc_co_u32_e32 v19, vcc, v10, v13, vcc
	global_load_dwordx4 v[10:13], v[18:19], off
	global_load_dwordx4 v[14:17], v[18:19], off offset:16
	s_waitcnt vmcnt(1)
	v_fmac_f32_e32 v4, v8, v10
	v_fmac_f32_e32 v5, v9, v10
	;; [unrolled: 1-line block ×4, first 2 shown]
	s_waitcnt vmcnt(0)
	v_fmac_f32_e32 v0, v8, v14
	v_fmac_f32_e32 v1, v9, v14
	;; [unrolled: 1-line block ×4, first 2 shown]
	v_fma_f32 v4, -v9, v11, v4
	v_fmac_f32_e32 v5, v8, v11
	v_fma_f32 v6, -v9, v13, v6
	v_fmac_f32_e32 v7, v8, v13
	;; [unrolled: 2-line block ×4, first 2 shown]
	global_store_dwordx4 v[18:19], v[4:7], off
	global_store_dwordx4 v[18:19], v[0:3], off offset:16
	s_endpgm
	.section	.rodata,"a",@progbits
	.p2align	6, 0x0
	.amdhsa_kernel _ZN9rocsparseL18bsrxmvn_4x4_kernelILj128ELj32E21rocsparse_complex_numIfEllfS2_S2_EEvT3_20rocsparse_direction_NS_24const_host_device_scalarIT1_EES3_PKS3_PKT2_SC_S9_PKT4_PKT5_S7_PT6_21rocsparse_index_base_b
		.amdhsa_group_segment_fixed_size 0
		.amdhsa_private_segment_fixed_size 0
		.amdhsa_kernarg_size 104
		.amdhsa_user_sgpr_count 6
		.amdhsa_user_sgpr_private_segment_buffer 1
		.amdhsa_user_sgpr_dispatch_ptr 0
		.amdhsa_user_sgpr_queue_ptr 0
		.amdhsa_user_sgpr_kernarg_segment_ptr 1
		.amdhsa_user_sgpr_dispatch_id 0
		.amdhsa_user_sgpr_flat_scratch_init 0
		.amdhsa_user_sgpr_private_segment_size 0
		.amdhsa_uses_dynamic_stack 0
		.amdhsa_system_sgpr_private_segment_wavefront_offset 0
		.amdhsa_system_sgpr_workgroup_id_x 1
		.amdhsa_system_sgpr_workgroup_id_y 0
		.amdhsa_system_sgpr_workgroup_id_z 0
		.amdhsa_system_sgpr_workgroup_info 0
		.amdhsa_system_vgpr_workitem_id 0
		.amdhsa_next_free_vgpr 62
		.amdhsa_next_free_sgpr 17
		.amdhsa_reserve_vcc 1
		.amdhsa_reserve_flat_scratch 0
		.amdhsa_float_round_mode_32 0
		.amdhsa_float_round_mode_16_64 0
		.amdhsa_float_denorm_mode_32 3
		.amdhsa_float_denorm_mode_16_64 3
		.amdhsa_dx10_clamp 1
		.amdhsa_ieee_mode 1
		.amdhsa_fp16_overflow 0
		.amdhsa_exception_fp_ieee_invalid_op 0
		.amdhsa_exception_fp_denorm_src 0
		.amdhsa_exception_fp_ieee_div_zero 0
		.amdhsa_exception_fp_ieee_overflow 0
		.amdhsa_exception_fp_ieee_underflow 0
		.amdhsa_exception_fp_ieee_inexact 0
		.amdhsa_exception_int_div_zero 0
	.end_amdhsa_kernel
	.section	.text._ZN9rocsparseL18bsrxmvn_4x4_kernelILj128ELj32E21rocsparse_complex_numIfEllfS2_S2_EEvT3_20rocsparse_direction_NS_24const_host_device_scalarIT1_EES3_PKS3_PKT2_SC_S9_PKT4_PKT5_S7_PT6_21rocsparse_index_base_b,"axG",@progbits,_ZN9rocsparseL18bsrxmvn_4x4_kernelILj128ELj32E21rocsparse_complex_numIfEllfS2_S2_EEvT3_20rocsparse_direction_NS_24const_host_device_scalarIT1_EES3_PKS3_PKT2_SC_S9_PKT4_PKT5_S7_PT6_21rocsparse_index_base_b,comdat
.Lfunc_end133:
	.size	_ZN9rocsparseL18bsrxmvn_4x4_kernelILj128ELj32E21rocsparse_complex_numIfEllfS2_S2_EEvT3_20rocsparse_direction_NS_24const_host_device_scalarIT1_EES3_PKS3_PKT2_SC_S9_PKT4_PKT5_S7_PT6_21rocsparse_index_base_b, .Lfunc_end133-_ZN9rocsparseL18bsrxmvn_4x4_kernelILj128ELj32E21rocsparse_complex_numIfEllfS2_S2_EEvT3_20rocsparse_direction_NS_24const_host_device_scalarIT1_EES3_PKS3_PKT2_SC_S9_PKT4_PKT5_S7_PT6_21rocsparse_index_base_b
                                        ; -- End function
	.set _ZN9rocsparseL18bsrxmvn_4x4_kernelILj128ELj32E21rocsparse_complex_numIfEllfS2_S2_EEvT3_20rocsparse_direction_NS_24const_host_device_scalarIT1_EES3_PKS3_PKT2_SC_S9_PKT4_PKT5_S7_PT6_21rocsparse_index_base_b.num_vgpr, 62
	.set _ZN9rocsparseL18bsrxmvn_4x4_kernelILj128ELj32E21rocsparse_complex_numIfEllfS2_S2_EEvT3_20rocsparse_direction_NS_24const_host_device_scalarIT1_EES3_PKS3_PKT2_SC_S9_PKT4_PKT5_S7_PT6_21rocsparse_index_base_b.num_agpr, 0
	.set _ZN9rocsparseL18bsrxmvn_4x4_kernelILj128ELj32E21rocsparse_complex_numIfEllfS2_S2_EEvT3_20rocsparse_direction_NS_24const_host_device_scalarIT1_EES3_PKS3_PKT2_SC_S9_PKT4_PKT5_S7_PT6_21rocsparse_index_base_b.numbered_sgpr, 17
	.set _ZN9rocsparseL18bsrxmvn_4x4_kernelILj128ELj32E21rocsparse_complex_numIfEllfS2_S2_EEvT3_20rocsparse_direction_NS_24const_host_device_scalarIT1_EES3_PKS3_PKT2_SC_S9_PKT4_PKT5_S7_PT6_21rocsparse_index_base_b.num_named_barrier, 0
	.set _ZN9rocsparseL18bsrxmvn_4x4_kernelILj128ELj32E21rocsparse_complex_numIfEllfS2_S2_EEvT3_20rocsparse_direction_NS_24const_host_device_scalarIT1_EES3_PKS3_PKT2_SC_S9_PKT4_PKT5_S7_PT6_21rocsparse_index_base_b.private_seg_size, 0
	.set _ZN9rocsparseL18bsrxmvn_4x4_kernelILj128ELj32E21rocsparse_complex_numIfEllfS2_S2_EEvT3_20rocsparse_direction_NS_24const_host_device_scalarIT1_EES3_PKS3_PKT2_SC_S9_PKT4_PKT5_S7_PT6_21rocsparse_index_base_b.uses_vcc, 1
	.set _ZN9rocsparseL18bsrxmvn_4x4_kernelILj128ELj32E21rocsparse_complex_numIfEllfS2_S2_EEvT3_20rocsparse_direction_NS_24const_host_device_scalarIT1_EES3_PKS3_PKT2_SC_S9_PKT4_PKT5_S7_PT6_21rocsparse_index_base_b.uses_flat_scratch, 0
	.set _ZN9rocsparseL18bsrxmvn_4x4_kernelILj128ELj32E21rocsparse_complex_numIfEllfS2_S2_EEvT3_20rocsparse_direction_NS_24const_host_device_scalarIT1_EES3_PKS3_PKT2_SC_S9_PKT4_PKT5_S7_PT6_21rocsparse_index_base_b.has_dyn_sized_stack, 0
	.set _ZN9rocsparseL18bsrxmvn_4x4_kernelILj128ELj32E21rocsparse_complex_numIfEllfS2_S2_EEvT3_20rocsparse_direction_NS_24const_host_device_scalarIT1_EES3_PKS3_PKT2_SC_S9_PKT4_PKT5_S7_PT6_21rocsparse_index_base_b.has_recursion, 0
	.set _ZN9rocsparseL18bsrxmvn_4x4_kernelILj128ELj32E21rocsparse_complex_numIfEllfS2_S2_EEvT3_20rocsparse_direction_NS_24const_host_device_scalarIT1_EES3_PKS3_PKT2_SC_S9_PKT4_PKT5_S7_PT6_21rocsparse_index_base_b.has_indirect_call, 0
	.section	.AMDGPU.csdata,"",@progbits
; Kernel info:
; codeLenInByte = 6388
; TotalNumSgprs: 21
; NumVgprs: 62
; ScratchSize: 0
; MemoryBound: 0
; FloatMode: 240
; IeeeMode: 1
; LDSByteSize: 0 bytes/workgroup (compile time only)
; SGPRBlocks: 2
; VGPRBlocks: 15
; NumSGPRsForWavesPerEU: 21
; NumVGPRsForWavesPerEU: 62
; Occupancy: 4
; WaveLimiterHint : 1
; COMPUTE_PGM_RSRC2:SCRATCH_EN: 0
; COMPUTE_PGM_RSRC2:USER_SGPR: 6
; COMPUTE_PGM_RSRC2:TRAP_HANDLER: 0
; COMPUTE_PGM_RSRC2:TGID_X_EN: 1
; COMPUTE_PGM_RSRC2:TGID_Y_EN: 0
; COMPUTE_PGM_RSRC2:TGID_Z_EN: 0
; COMPUTE_PGM_RSRC2:TIDIG_COMP_CNT: 0
	.section	.text._ZN9rocsparseL18bsrxmvn_4x4_kernelILj128ELj64E21rocsparse_complex_numIfEllfS2_S2_EEvT3_20rocsparse_direction_NS_24const_host_device_scalarIT1_EES3_PKS3_PKT2_SC_S9_PKT4_PKT5_S7_PT6_21rocsparse_index_base_b,"axG",@progbits,_ZN9rocsparseL18bsrxmvn_4x4_kernelILj128ELj64E21rocsparse_complex_numIfEllfS2_S2_EEvT3_20rocsparse_direction_NS_24const_host_device_scalarIT1_EES3_PKS3_PKT2_SC_S9_PKT4_PKT5_S7_PT6_21rocsparse_index_base_b,comdat
	.globl	_ZN9rocsparseL18bsrxmvn_4x4_kernelILj128ELj64E21rocsparse_complex_numIfEllfS2_S2_EEvT3_20rocsparse_direction_NS_24const_host_device_scalarIT1_EES3_PKS3_PKT2_SC_S9_PKT4_PKT5_S7_PT6_21rocsparse_index_base_b ; -- Begin function _ZN9rocsparseL18bsrxmvn_4x4_kernelILj128ELj64E21rocsparse_complex_numIfEllfS2_S2_EEvT3_20rocsparse_direction_NS_24const_host_device_scalarIT1_EES3_PKS3_PKT2_SC_S9_PKT4_PKT5_S7_PT6_21rocsparse_index_base_b
	.p2align	8
	.type	_ZN9rocsparseL18bsrxmvn_4x4_kernelILj128ELj64E21rocsparse_complex_numIfEllfS2_S2_EEvT3_20rocsparse_direction_NS_24const_host_device_scalarIT1_EES3_PKS3_PKT2_SC_S9_PKT4_PKT5_S7_PT6_21rocsparse_index_base_b,@function
_ZN9rocsparseL18bsrxmvn_4x4_kernelILj128ELj64E21rocsparse_complex_numIfEllfS2_S2_EEvT3_20rocsparse_direction_NS_24const_host_device_scalarIT1_EES3_PKS3_PKT2_SC_S9_PKT4_PKT5_S7_PT6_21rocsparse_index_base_b: ; @_ZN9rocsparseL18bsrxmvn_4x4_kernelILj128ELj64E21rocsparse_complex_numIfEllfS2_S2_EEvT3_20rocsparse_direction_NS_24const_host_device_scalarIT1_EES3_PKS3_PKT2_SC_S9_PKT4_PKT5_S7_PT6_21rocsparse_index_base_b
; %bb.0:
	s_load_dwordx4 s[0:3], s[4:5], 0x10
	s_load_dwordx2 s[8:9], s[4:5], 0x60
	s_add_u32 s7, s4, 16
	s_addc_u32 s12, s5, 0
	s_add_u32 s13, s4, 0x50
	s_load_dwordx2 s[10:11], s[4:5], 0x50
	s_addc_u32 s14, s5, 0
	s_waitcnt lgkmcnt(0)
	s_bitcmp1_b32 s9, 0
	s_cselect_b32 s1, s12, s1
	s_cselect_b32 s0, s7, s0
	v_mov_b32_e32 v1, s0
	v_mov_b32_e32 v2, s1
	flat_load_dwordx2 v[10:11], v[1:2]
	s_cselect_b32 s0, s14, s11
	s_cselect_b32 s1, s13, s10
	v_mov_b32_e32 v1, s1
	v_mov_b32_e32 v2, s0
	flat_load_dwordx2 v[8:9], v[1:2]
	s_waitcnt vmcnt(0) lgkmcnt(0)
	v_cmp_eq_f32_e32 vcc, 0, v10
	v_cmp_eq_f32_e64 s[0:1], 0, v11
	s_and_b64 s[12:13], vcc, s[0:1]
	s_mov_b64 s[0:1], -1
	s_and_saveexec_b64 s[10:11], s[12:13]
; %bb.1:
	v_cmp_neq_f32_e32 vcc, 1.0, v8
	v_cmp_neq_f32_e64 s[0:1], 0, v9
	s_or_b64 s[0:1], vcc, s[0:1]
	s_orn2_b64 s[0:1], s[0:1], exec
; %bb.2:
	s_or_b64 exec, exec, s[10:11]
	s_and_saveexec_b64 s[10:11], s[0:1]
	s_cbranch_execz .LBB134_8
; %bb.3:
	s_load_dwordx2 s[10:11], s[4:5], 0x20
	v_lshrrev_b32_e32 v1, 6, v0
	v_lshl_or_b32 v3, s6, 1, v1
	v_mov_b32_e32 v4, 0
	s_mov_b64 s[0:1], 0
	s_waitcnt lgkmcnt(0)
	s_cmp_lg_u64 s[10:11], 0
	s_cbranch_scc0 .LBB134_9
; %bb.4:
	v_cmp_gt_i64_e32 vcc, s[2:3], v[3:4]
                                        ; implicit-def: $vgpr12_vgpr13
                                        ; implicit-def: $vgpr1_vgpr2
	s_and_saveexec_b64 s[2:3], vcc
	s_xor_b64 s[2:3], exec, s[2:3]
	s_cbranch_execz .LBB134_6
; %bb.5:
	v_lshlrev_b64 v[1:2], 3, v[3:4]
	v_mov_b32_e32 v5, s11
	v_add_co_u32_e32 v1, vcc, s10, v1
	v_addc_co_u32_e32 v2, vcc, v5, v2, vcc
	global_load_dwordx2 v[1:2], v[1:2], off
	s_mov_b32 s9, 0
	s_mov_b64 s[0:1], exec
	s_waitcnt vmcnt(0)
	v_subrev_co_u32_e32 v12, vcc, s8, v1
	v_subbrev_co_u32_e32 v13, vcc, 0, v2, vcc
	v_mov_b32_e32 v1, s8
	v_mov_b32_e32 v2, s9
.LBB134_6:
	s_or_b64 exec, exec, s[2:3]
.LBB134_7:
	s_and_b64 exec, exec, s[0:1]
	s_cbranch_execnz .LBB134_13
.LBB134_8:
	s_endpgm
.LBB134_9:
                                        ; implicit-def: $vgpr12_vgpr13
                                        ; implicit-def: $vgpr1_vgpr2
	s_cbranch_execz .LBB134_7
; %bb.10:
	s_load_dwordx2 s[2:3], s[4:5], 0x0
	s_waitcnt lgkmcnt(0)
	v_cmp_gt_i64_e32 vcc, s[2:3], v[3:4]
	s_and_saveexec_b64 s[2:3], vcc
; %bb.11:
	s_mov_b32 s9, 0
	s_or_b64 s[0:1], s[0:1], exec
; %bb.12:
	s_or_b64 exec, exec, s[2:3]
	v_mov_b32_e32 v1, s8
	v_mov_b32_e32 v13, v4
	;; [unrolled: 1-line block ×4, first 2 shown]
	s_and_b64 exec, exec, s[0:1]
	s_cbranch_execz .LBB134_8
.LBB134_13:
	s_load_dwordx8 s[8:15], s[4:5], 0x28
	v_lshlrev_b64 v[3:4], 3, v[12:13]
	v_and_b32_e32 v0, 63, v0
	s_waitcnt lgkmcnt(0)
	v_mov_b32_e32 v6, s9
	v_add_co_u32_e32 v5, vcc, s8, v3
	v_addc_co_u32_e32 v6, vcc, v6, v4, vcc
	global_load_dwordx2 v[18:19], v[5:6], off
	v_add_co_u32_e32 v5, vcc, 8, v5
	v_addc_co_u32_e32 v6, vcc, 0, v6, vcc
	v_mov_b32_e32 v7, s11
	v_add_co_u32_e32 v3, vcc, s10, v3
	s_cmp_eq_u64 s[10:11], 0
	v_addc_co_u32_e32 v4, vcc, v7, v4, vcc
	s_cselect_b64 vcc, -1, 0
	v_cndmask_b32_e32 v4, v4, v6, vcc
	v_cndmask_b32_e32 v3, v3, v5, vcc
	global_load_dwordx2 v[5:6], v[3:4], off
	s_load_dword s0, s[4:5], 0x8
	s_load_dwordx2 s[6:7], s[4:5], 0x48
	v_mov_b32_e32 v16, s15
	v_mov_b32_e32 v7, 0
	s_waitcnt lgkmcnt(0)
	s_cmp_eq_u32 s0, 1
	s_waitcnt vmcnt(1)
	v_sub_co_u32_e32 v3, vcc, v18, v1
	v_subb_co_u32_e32 v4, vcc, v19, v2, vcc
	v_add_co_u32_e32 v3, vcc, v3, v0
	v_addc_co_u32_e32 v4, vcc, 0, v4, vcc
	v_lshlrev_b64 v[14:15], 6, v[3:4]
	s_waitcnt vmcnt(0)
	v_sub_co_u32_e32 v5, vcc, v5, v1
	v_subb_co_u32_e32 v6, vcc, v6, v2, vcc
	v_cmp_lt_i64_e64 s[0:1], v[3:4], v[5:6]
	v_add_co_u32_e32 v14, vcc, s14, v14
	v_addc_co_u32_e32 v15, vcc, v16, v15, vcc
	s_cbranch_scc1 .LBB134_25
; %bb.14:
	v_mov_b32_e32 v34, 0
	v_mov_b32_e32 v32, 0
	;; [unrolled: 1-line block ×7, first 2 shown]
	s_and_saveexec_b64 s[8:9], s[0:1]
	s_cbranch_execz .LBB134_24
; %bb.15:
	v_or_b32_e32 v7, 64, v0
	v_sub_co_u32_e32 v7, vcc, v7, v1
	v_subb_co_u32_e32 v17, vcc, 0, v2, vcc
	v_add_co_u32_e32 v16, vcc, v7, v18
	v_addc_co_u32_e32 v17, vcc, v17, v19, vcc
	v_cmp_gt_i64_e32 vcc, v[16:17], v[5:6]
	v_not_b32_e32 v20, v18
	v_cndmask_b32_e32 v7, v6, v17, vcc
	v_cndmask_b32_e32 v16, v5, v16, vcc
	v_sub_co_u32_e32 v21, vcc, v1, v0
	v_subbrev_co_u32_e32 v22, vcc, 0, v2, vcc
	v_not_b32_e32 v17, v19
	v_add_co_u32_e32 v20, vcc, v21, v20
	v_addc_co_u32_e32 v17, vcc, v22, v17, vcc
	v_add_co_u32_e32 v24, vcc, v20, v16
	v_addc_co_u32_e32 v25, vcc, v17, v7, vcc
	v_and_b32_e32 v16, 0xc0, v24
	v_mov_b32_e32 v17, 0
	s_mov_b64 s[2:3], 0xc0
	v_cmp_ne_u64_e32 vcc, s[2:3], v[16:17]
	v_mov_b32_e32 v21, v15
	v_mov_b32_e32 v23, v4
	;; [unrolled: 1-line block ×11, first 2 shown]
	s_and_saveexec_b64 s[10:11], vcc
	s_cbranch_execz .LBB134_19
; %bb.16:
	v_lshlrev_b64 v[16:17], 3, v[3:4]
	v_lshrrev_b32_e32 v7, 6, v24
	v_add_u32_e32 v7, 1, v7
	v_mov_b32_e32 v21, s13
	v_add_co_u32_e32 v26, vcc, s12, v16
	v_and_b32_e32 v20, 3, v7
	v_addc_co_u32_e32 v27, vcc, v21, v17, vcc
	v_sub_co_u32_e32 v28, vcc, 0, v20
	v_mov_b32_e32 v23, v4
	v_mov_b32_e32 v21, v15
	;; [unrolled: 1-line block ×3, first 2 shown]
	s_mov_b64 s[14:15], 0
	v_subb_co_u32_e64 v29, s[2:3], 0, 0, vcc
	s_movk_i32 s16, 0x1000
	v_mov_b32_e32 v35, s7
	v_mov_b32_e32 v22, v3
	;; [unrolled: 1-line block ×10, first 2 shown]
.LBB134_17:                             ; =>This Inner Loop Header: Depth=1
	global_load_dwordx2 v[52:53], v[26:27], off
	global_load_dwordx4 v[36:39], v[20:21], off
	global_load_dwordx4 v[40:43], v[20:21], off offset:16
	global_load_dwordx4 v[44:47], v[20:21], off offset:32
	;; [unrolled: 1-line block ×3, first 2 shown]
	s_waitcnt vmcnt(4)
	v_sub_co_u32_e32 v52, vcc, v52, v1
	v_subb_co_u32_e32 v53, vcc, v53, v2, vcc
	v_lshlrev_b64 v[52:53], 5, v[52:53]
	v_add_co_u32_e32 v60, vcc, s6, v52
	v_addc_co_u32_e32 v61, vcc, v35, v53, vcc
	global_load_dwordx4 v[52:55], v[60:61], off
	global_load_dwordx4 v[56:59], v[60:61], off offset:16
	v_add_co_u32_e32 v20, vcc, s16, v20
	s_mov_b64 s[2:3], vcc
	v_add_co_u32_e32 v22, vcc, 64, v22
	v_addc_co_u32_e32 v23, vcc, 0, v23, vcc
	v_add_co_u32_e32 v28, vcc, 1, v28
	v_addc_co_u32_e32 v29, vcc, 0, v29, vcc
	v_addc_co_u32_e64 v21, s[2:3], 0, v21, s[2:3]
	v_cmp_eq_u64_e64 s[2:3], 0, v[28:29]
	v_add_co_u32_e32 v26, vcc, 0x200, v26
	v_addc_co_u32_e32 v27, vcc, 0, v27, vcc
	s_or_b64 s[14:15], s[2:3], s[14:15]
	s_waitcnt vmcnt(1)
	v_fmac_f32_e32 v34, v36, v52
	v_fmac_f32_e32 v7, 0, v52
	v_fmac_f32_e32 v33, v40, v52
	v_fmac_f32_e32 v32, 0, v52
	v_fmac_f32_e32 v31, v44, v52
	v_fmac_f32_e32 v30, 0, v52
	v_fmac_f32_e32 v17, v48, v52
	v_fmac_f32_e32 v16, 0, v52
	v_fmac_f32_e32 v34, 0x80000000, v53
	v_fmac_f32_e32 v7, v36, v53
	v_fmac_f32_e32 v33, 0x80000000, v53
	v_fmac_f32_e32 v32, v40, v53
	v_fmac_f32_e32 v31, 0x80000000, v53
	v_fmac_f32_e32 v30, v44, v53
	v_fmac_f32_e32 v17, 0x80000000, v53
	v_fmac_f32_e32 v16, v48, v53
	v_fmac_f32_e32 v34, v37, v54
	v_fmac_f32_e32 v7, 0, v54
	v_fmac_f32_e32 v33, v41, v54
	v_fmac_f32_e32 v32, 0, v54
	v_fmac_f32_e32 v31, v45, v54
	v_fmac_f32_e32 v30, 0, v54
	v_fmac_f32_e32 v17, v49, v54
	v_fmac_f32_e32 v16, 0, v54
	v_fmac_f32_e32 v34, 0x80000000, v55
	v_fmac_f32_e32 v7, v37, v55
	v_fmac_f32_e32 v33, 0x80000000, v55
	v_fmac_f32_e32 v32, v41, v55
	v_fmac_f32_e32 v31, 0x80000000, v55
	v_fmac_f32_e32 v30, v45, v55
	v_fmac_f32_e32 v17, 0x80000000, v55
	v_fmac_f32_e32 v16, v49, v55
	s_waitcnt vmcnt(0)
	v_fmac_f32_e32 v34, v38, v56
	v_fmac_f32_e32 v7, 0, v56
	;; [unrolled: 1-line block ×32, first 2 shown]
	s_andn2_b64 exec, exec, s[14:15]
	s_cbranch_execnz .LBB134_17
; %bb.18:
	s_or_b64 exec, exec, s[14:15]
.LBB134_19:
	s_or_b64 exec, exec, s[10:11]
	s_mov_b64 s[2:3], 0xbf
	v_cmp_lt_u64_e32 vcc, s[2:3], v[24:25]
	s_and_saveexec_b64 s[10:11], vcc
	s_cbranch_execz .LBB134_23
; %bb.20:
	v_lshlrev_b64 v[24:25], 3, v[22:23]
	v_mov_b32_e32 v26, s13
	v_add_co_u32_e32 v24, vcc, s12, v24
	v_addc_co_u32_e32 v25, vcc, v26, v25, vcc
	v_add_co_u32_e32 v24, vcc, 0x400, v24
	v_addc_co_u32_e32 v25, vcc, 0, v25, vcc
	s_mov_b64 s[14:15], 0
	v_mov_b32_e32 v26, s7
	s_movk_i32 s16, 0x1000
	s_movk_i32 s17, 0x2000
	;; [unrolled: 1-line block ×3, first 2 shown]
.LBB134_21:                             ; =>This Inner Loop Header: Depth=1
	global_load_dwordx2 v[27:28], v[24:25], off offset:-1024
	global_load_dwordx4 v[35:38], v[20:21], off offset:48
	global_load_dwordx4 v[39:42], v[20:21], off offset:32
	;; [unrolled: 1-line block ×3, first 2 shown]
	global_load_dwordx4 v[47:50], v[20:21], off
	s_waitcnt vmcnt(4)
	v_sub_co_u32_e32 v27, vcc, v27, v1
	v_subb_co_u32_e32 v28, vcc, v28, v2, vcc
	v_lshlrev_b64 v[27:28], 5, v[27:28]
	v_add_co_u32_e32 v27, vcc, s6, v27
	v_addc_co_u32_e32 v28, vcc, v26, v28, vcc
	global_load_dwordx4 v[51:54], v[27:28], off offset:16
	global_load_dwordx4 v[55:58], v[27:28], off
	v_add_co_u32_e32 v27, vcc, s16, v20
	v_addc_co_u32_e32 v28, vcc, 0, v21, vcc
	s_waitcnt vmcnt(0)
	v_fmac_f32_e32 v16, 0, v55
	v_fmac_f32_e32 v17, v35, v55
	v_fmac_f32_e32 v16, v35, v56
	v_fmac_f32_e32 v17, 0x80000000, v56
	v_fmac_f32_e32 v16, 0, v57
	v_fmac_f32_e32 v17, v36, v57
	v_fmac_f32_e32 v16, v36, v58
	global_load_dwordx2 v[35:36], v[24:25], off offset:-512
	v_fmac_f32_e32 v34, v47, v55
	v_fmac_f32_e32 v7, 0, v55
	;; [unrolled: 1-line block ×57, first 2 shown]
	s_waitcnt vmcnt(0)
	v_sub_co_u32_e32 v51, vcc, v35, v1
	v_subb_co_u32_e32 v52, vcc, v36, v2, vcc
	v_add_co_u32_e32 v59, vcc, s17, v20
	v_addc_co_u32_e32 v60, vcc, 0, v21, vcc
	global_load_dwordx4 v[35:38], v[59:60], off offset:-4096
	global_load_dwordx4 v[39:42], v[27:28], off offset:48
	global_load_dwordx4 v[43:46], v[27:28], off offset:32
	;; [unrolled: 1-line block ×3, first 2 shown]
	v_lshlrev_b64 v[27:28], 5, v[51:52]
	v_add_co_u32_e32 v27, vcc, s6, v27
	v_addc_co_u32_e32 v28, vcc, v26, v28, vcc
	global_load_dwordx4 v[51:54], v[27:28], off offset:16
	global_load_dwordx4 v[55:58], v[27:28], off
	s_waitcnt vmcnt(0)
	v_fmac_f32_e32 v34, v35, v55
	global_load_dwordx2 v[27:28], v[24:25], off
	v_fmac_f32_e32 v7, 0, v55
	v_fmac_f32_e32 v33, v47, v55
	v_fmac_f32_e32 v32, 0, v55
	v_fmac_f32_e32 v31, v43, v55
	v_fmac_f32_e32 v30, 0, v55
	v_fmac_f32_e32 v17, v39, v55
	v_fmac_f32_e32 v16, 0, v55
	v_fmac_f32_e32 v34, 0x80000000, v56
	v_fmac_f32_e32 v7, v35, v56
	v_fmac_f32_e32 v33, 0x80000000, v56
	v_fmac_f32_e32 v32, v47, v56
	v_fmac_f32_e32 v31, 0x80000000, v56
	v_fmac_f32_e32 v30, v43, v56
	v_fmac_f32_e32 v17, 0x80000000, v56
	v_fmac_f32_e32 v16, v39, v56
	v_fmac_f32_e32 v34, v36, v57
	v_fmac_f32_e32 v7, 0, v57
	v_fmac_f32_e32 v33, v48, v57
	v_fmac_f32_e32 v32, 0, v57
	v_fmac_f32_e32 v31, v44, v57
	v_fmac_f32_e32 v30, 0, v57
	v_fmac_f32_e32 v17, v40, v57
	v_fmac_f32_e32 v16, 0, v57
	v_fmac_f32_e32 v34, 0x80000000, v58
	v_fmac_f32_e32 v7, v36, v58
	v_fmac_f32_e32 v33, 0x80000000, v58
	v_fmac_f32_e32 v32, v48, v58
	v_fmac_f32_e32 v31, 0x80000000, v58
	v_fmac_f32_e32 v30, v44, v58
	v_fmac_f32_e32 v17, 0x80000000, v58
	v_fmac_f32_e32 v16, v40, v58
	v_fmac_f32_e32 v34, v37, v51
	v_fmac_f32_e32 v7, 0, v51
	v_fmac_f32_e32 v33, v49, v51
	v_fmac_f32_e32 v32, 0, v51
	v_fmac_f32_e32 v31, v45, v51
	v_fmac_f32_e32 v30, 0, v51
	v_fmac_f32_e32 v17, v41, v51
	v_fmac_f32_e32 v16, 0, v51
	v_fmac_f32_e32 v34, 0x80000000, v52
	v_fmac_f32_e32 v7, v37, v52
	v_fmac_f32_e32 v33, 0x80000000, v52
	v_fmac_f32_e32 v32, v49, v52
	v_fmac_f32_e32 v31, 0x80000000, v52
	v_fmac_f32_e32 v30, v45, v52
	v_fmac_f32_e32 v17, 0x80000000, v52
	v_fmac_f32_e32 v16, v41, v52
	v_fmac_f32_e32 v34, v38, v53
	v_fmac_f32_e32 v7, 0, v53
	v_fmac_f32_e32 v33, v50, v53
	v_fmac_f32_e32 v32, 0, v53
	v_fmac_f32_e32 v31, v46, v53
	v_fmac_f32_e32 v30, 0, v53
	v_fmac_f32_e32 v17, v42, v53
	v_fmac_f32_e32 v16, 0, v53
	v_fmac_f32_e32 v34, 0x80000000, v54
	v_fmac_f32_e32 v7, v38, v54
	v_fmac_f32_e32 v33, 0x80000000, v54
	v_fmac_f32_e32 v32, v50, v54
	v_fmac_f32_e32 v31, 0x80000000, v54
	v_fmac_f32_e32 v30, v46, v54
	v_fmac_f32_e32 v17, 0x80000000, v54
	v_fmac_f32_e32 v16, v42, v54
	global_load_dwordx4 v[35:38], v[59:60], off
	global_load_dwordx4 v[39:42], v[59:60], off offset:48
	global_load_dwordx4 v[43:46], v[59:60], off offset:32
	;; [unrolled: 1-line block ×3, first 2 shown]
	s_waitcnt vmcnt(4)
	v_sub_co_u32_e32 v27, vcc, v27, v1
	v_subb_co_u32_e32 v28, vcc, v28, v2, vcc
	v_lshlrev_b64 v[27:28], 5, v[27:28]
	v_add_co_u32_e32 v27, vcc, s6, v27
	v_addc_co_u32_e32 v28, vcc, v26, v28, vcc
	global_load_dwordx4 v[51:54], v[27:28], off offset:16
	global_load_dwordx4 v[55:58], v[27:28], off
	s_waitcnt vmcnt(0)
	v_fmac_f32_e32 v34, v35, v55
	global_load_dwordx2 v[27:28], v[24:25], off offset:512
	v_fmac_f32_e32 v7, 0, v55
	v_fmac_f32_e32 v33, v47, v55
	;; [unrolled: 1-line block ×63, first 2 shown]
	s_waitcnt vmcnt(0)
	v_sub_co_u32_e32 v27, vcc, v27, v1
	v_subb_co_u32_e32 v28, vcc, v28, v2, vcc
	v_add_co_u32_e32 v51, vcc, s18, v20
	v_lshlrev_b64 v[27:28], 5, v[27:28]
	v_addc_co_u32_e32 v52, vcc, 0, v21, vcc
	v_add_co_u32_e32 v27, vcc, s6, v27
	v_addc_co_u32_e32 v28, vcc, v26, v28, vcc
	global_load_dwordx4 v[35:38], v[51:52], off
	global_load_dwordx4 v[39:42], v[51:52], off offset:48
	global_load_dwordx4 v[43:46], v[51:52], off offset:32
	;; [unrolled: 1-line block ×3, first 2 shown]
	s_nop 0
	global_load_dwordx4 v[51:54], v[27:28], off offset:16
	global_load_dwordx4 v[55:58], v[27:28], off
	v_add_co_u32_e32 v22, vcc, 0x100, v22
	v_addc_co_u32_e32 v23, vcc, 0, v23, vcc
	v_add_co_u32_e32 v24, vcc, 0x800, v24
	v_addc_co_u32_e32 v25, vcc, 0, v25, vcc
	v_cmp_ge_i64_e64 s[2:3], v[22:23], v[5:6]
	v_add_co_u32_e32 v20, vcc, 0x4000, v20
	v_addc_co_u32_e32 v21, vcc, 0, v21, vcc
	s_or_b64 s[14:15], s[2:3], s[14:15]
	s_waitcnt vmcnt(0)
	v_fmac_f32_e32 v34, v35, v55
	v_fmac_f32_e32 v7, 0, v55
	;; [unrolled: 1-line block ×64, first 2 shown]
	s_andn2_b64 exec, exec, s[14:15]
	s_cbranch_execnz .LBB134_21
; %bb.22:
	s_or_b64 exec, exec, s[14:15]
.LBB134_23:
	s_or_b64 exec, exec, s[10:11]
.LBB134_24:
	s_or_b64 exec, exec, s[8:9]
	s_cbranch_execz .LBB134_26
	s_branch .LBB134_37
.LBB134_25:
                                        ; implicit-def: $vgpr7
                                        ; implicit-def: $vgpr34
                                        ; implicit-def: $vgpr32
                                        ; implicit-def: $vgpr33
                                        ; implicit-def: $vgpr30
                                        ; implicit-def: $vgpr31
                                        ; implicit-def: $vgpr16
                                        ; implicit-def: $vgpr17
.LBB134_26:
	v_mov_b32_e32 v7, 0
	v_mov_b32_e32 v34, 0
	;; [unrolled: 1-line block ×8, first 2 shown]
	s_and_saveexec_b64 s[2:3], s[0:1]
	s_cbranch_execz .LBB134_36
; %bb.27:
	v_or_b32_e32 v7, 64, v0
	v_sub_co_u32_e32 v7, vcc, v7, v1
	v_subb_co_u32_e32 v17, vcc, 0, v2, vcc
	v_add_co_u32_e32 v16, vcc, v7, v18
	v_addc_co_u32_e32 v17, vcc, v17, v19, vcc
	v_cmp_gt_i64_e32 vcc, v[16:17], v[5:6]
	v_not_b32_e32 v18, v18
	v_cndmask_b32_e32 v7, v6, v17, vcc
	v_cndmask_b32_e32 v16, v5, v16, vcc
	v_not_b32_e32 v17, v19
	v_sub_co_u32_e32 v19, vcc, v1, v0
	v_subbrev_co_u32_e32 v20, vcc, 0, v2, vcc
	v_add_co_u32_e32 v18, vcc, v19, v18
	v_addc_co_u32_e32 v17, vcc, v20, v17, vcc
	v_add_co_u32_e32 v18, vcc, v18, v16
	v_addc_co_u32_e32 v19, vcc, v17, v7, vcc
	v_and_b32_e32 v16, 0xc0, v18
	v_mov_b32_e32 v17, 0
	s_mov_b64 s[0:1], 0xc0
	v_cmp_ne_u64_e32 vcc, s[0:1], v[16:17]
	v_mov_b32_e32 v16, v17
	v_mov_b32_e32 v31, v17
	;; [unrolled: 1-line block ×7, first 2 shown]
	s_and_saveexec_b64 s[8:9], vcc
	s_cbranch_execz .LBB134_31
; %bb.28:
	v_lshlrev_b64 v[16:17], 3, v[3:4]
	v_lshrrev_b32_e32 v7, 6, v18
	v_add_u32_e32 v7, 1, v7
	v_mov_b32_e32 v21, s13
	v_add_co_u32_e32 v20, vcc, s12, v16
	v_and_b32_e32 v22, 3, v7
	v_addc_co_u32_e32 v21, vcc, v21, v17, vcc
	v_sub_co_u32_e32 v22, vcc, 0, v22
	v_mov_b32_e32 v7, 0
	s_mov_b64 s[10:11], 0
	v_subb_co_u32_e64 v23, s[0:1], 0, 0, vcc
	s_movk_i32 s14, 0x1000
	v_mov_b32_e32 v24, s7
	v_mov_b32_e32 v34, 0
	;; [unrolled: 1-line block ×8, first 2 shown]
.LBB134_29:                             ; =>This Inner Loop Header: Depth=1
	global_load_dwordx2 v[43:44], v[20:21], off
	global_load_dwordx4 v[25:28], v[14:15], off offset:32
	global_load_dwordx4 v[35:38], v[14:15], off offset:16
	global_load_dwordx4 v[39:42], v[14:15], off
	v_add_co_u32_e64 v3, s[0:1], 64, v3
	v_addc_co_u32_e64 v4, s[0:1], 0, v4, s[0:1]
	v_add_co_u32_e64 v22, s[0:1], 1, v22
	v_addc_co_u32_e64 v23, s[0:1], 0, v23, s[0:1]
	v_cmp_eq_u64_e64 s[0:1], 0, v[22:23]
	s_or_b64 s[10:11], s[0:1], s[10:11]
	s_waitcnt vmcnt(3)
	v_sub_co_u32_e32 v43, vcc, v43, v1
	v_subb_co_u32_e32 v44, vcc, v44, v2, vcc
	v_lshlrev_b64 v[43:44], 5, v[43:44]
	v_add_co_u32_e32 v55, vcc, s6, v43
	v_addc_co_u32_e32 v56, vcc, v24, v44, vcc
	global_load_dwordx4 v[43:46], v[55:56], off
	global_load_dwordx4 v[47:50], v[55:56], off offset:16
	global_load_dwordx4 v[51:54], v[14:15], off offset:48
	v_add_co_u32_e32 v14, vcc, s14, v14
	v_addc_co_u32_e32 v15, vcc, 0, v15, vcc
	v_add_co_u32_e32 v20, vcc, 0x200, v20
	v_addc_co_u32_e32 v21, vcc, 0, v21, vcc
	s_waitcnt vmcnt(2)
	v_fmac_f32_e32 v34, v39, v43
	v_fmac_f32_e32 v7, 0, v43
	;; [unrolled: 1-line block ×32, first 2 shown]
	s_waitcnt vmcnt(1)
	v_fmac_f32_e32 v34, v25, v47
	v_fmac_f32_e32 v7, 0, v47
	;; [unrolled: 1-line block ×16, first 2 shown]
	s_waitcnt vmcnt(0)
	v_fmac_f32_e32 v34, v51, v49
	v_fmac_f32_e32 v7, 0, v49
	;; [unrolled: 1-line block ×16, first 2 shown]
	s_andn2_b64 exec, exec, s[10:11]
	s_cbranch_execnz .LBB134_29
; %bb.30:
	s_or_b64 exec, exec, s[10:11]
.LBB134_31:
	s_or_b64 exec, exec, s[8:9]
	s_mov_b64 s[0:1], 0xbf
	v_cmp_lt_u64_e32 vcc, s[0:1], v[18:19]
	s_and_saveexec_b64 s[8:9], vcc
	s_cbranch_execz .LBB134_35
; %bb.32:
	v_lshlrev_b64 v[18:19], 3, v[3:4]
	v_mov_b32_e32 v20, s13
	v_add_co_u32_e32 v18, vcc, s12, v18
	v_addc_co_u32_e32 v19, vcc, v20, v19, vcc
	v_add_co_u32_e32 v18, vcc, 0x400, v18
	v_addc_co_u32_e32 v19, vcc, 0, v19, vcc
	s_mov_b64 s[10:11], 0
	v_mov_b32_e32 v20, s7
	s_movk_i32 s7, 0x1000
	s_movk_i32 s12, 0x2000
	;; [unrolled: 1-line block ×3, first 2 shown]
.LBB134_33:                             ; =>This Inner Loop Header: Depth=1
	global_load_dwordx2 v[21:22], v[18:19], off offset:-1024
	s_waitcnt vmcnt(0)
	v_sub_co_u32_e32 v43, vcc, v21, v1
	v_subb_co_u32_e32 v44, vcc, v22, v2, vcc
	v_lshlrev_b64 v[43:44], 5, v[43:44]
	global_load_dwordx4 v[21:24], v[14:15], off offset:48
	global_load_dwordx4 v[25:28], v[14:15], off offset:32
	global_load_dwordx4 v[35:38], v[14:15], off offset:16
	global_load_dwordx4 v[39:42], v[14:15], off
	v_add_co_u32_e32 v51, vcc, s6, v43
	v_addc_co_u32_e32 v52, vcc, v20, v44, vcc
	global_load_dwordx4 v[43:46], v[51:52], off offset:16
	global_load_dwordx4 v[47:50], v[51:52], off
	s_waitcnt vmcnt(0)
	v_fmac_f32_e32 v7, 0, v47
	v_fmac_f32_e32 v32, 0, v47
	v_fmac_f32_e32 v34, v39, v47
	v_fmac_f32_e32 v7, v39, v48
	v_fmac_f32_e32 v33, v40, v47
	v_fmac_f32_e32 v32, v40, v48
	v_fmac_f32_e32 v34, 0x80000000, v48
	v_fmac_f32_e32 v33, 0x80000000, v48
	v_fmac_f32_e32 v7, 0, v49
	v_fmac_f32_e32 v32, 0, v49
	v_fmac_f32_e32 v34, v35, v49
	v_fmac_f32_e32 v7, v35, v50
	v_fmac_f32_e32 v33, v36, v49
	v_fmac_f32_e32 v32, v36, v50
	v_fmac_f32_e32 v34, 0x80000000, v50
	v_fmac_f32_e32 v33, 0x80000000, v50
	v_fmac_f32_e32 v7, 0, v43
	v_fmac_f32_e32 v32, 0, v43
	v_fmac_f32_e32 v34, v25, v43
	v_fmac_f32_e32 v7, v25, v44
	v_fmac_f32_e32 v33, v26, v43
	v_fmac_f32_e32 v32, v26, v44
	v_fmac_f32_e32 v34, 0x80000000, v44
	v_fmac_f32_e32 v33, 0x80000000, v44
	v_fmac_f32_e32 v7, 0, v45
	v_fmac_f32_e32 v32, 0, v45
	v_fmac_f32_e32 v34, v21, v45
	v_fmac_f32_e32 v7, v21, v46
	v_fmac_f32_e32 v33, v22, v45
	v_fmac_f32_e32 v32, v22, v46
	global_load_dwordx2 v[21:22], v[18:19], off offset:-512
	v_fmac_f32_e32 v31, v41, v47
	v_fmac_f32_e32 v30, 0, v47
	;; [unrolled: 1-line block ×20, first 2 shown]
	v_add_co_u32_e32 v43, vcc, s7, v14
	v_fmac_f32_e32 v31, 0x80000000, v44
	v_fmac_f32_e32 v30, v27, v44
	v_fmac_f32_e32 v17, 0x80000000, v44
	v_fmac_f32_e32 v16, v28, v44
	v_addc_co_u32_e32 v44, vcc, 0, v15, vcc
	v_fmac_f32_e32 v31, v23, v45
	v_fmac_f32_e32 v30, 0, v45
	;; [unrolled: 1-line block ×10, first 2 shown]
	s_waitcnt vmcnt(0)
	v_sub_co_u32_e32 v45, vcc, v21, v1
	v_subb_co_u32_e32 v46, vcc, v22, v2, vcc
	v_add_co_u32_e32 v51, vcc, s12, v14
	v_addc_co_u32_e32 v52, vcc, 0, v15, vcc
	global_load_dwordx4 v[21:24], v[51:52], off offset:-4096
	global_load_dwordx4 v[25:28], v[43:44], off offset:48
	global_load_dwordx4 v[35:38], v[43:44], off offset:32
	;; [unrolled: 1-line block ×3, first 2 shown]
	v_lshlrev_b64 v[43:44], 5, v[45:46]
	v_add_co_u32_e32 v53, vcc, s6, v43
	v_addc_co_u32_e32 v54, vcc, v20, v44, vcc
	global_load_dwordx4 v[43:46], v[53:54], off offset:16
	global_load_dwordx4 v[47:50], v[53:54], off
	s_waitcnt vmcnt(0)
	v_fmac_f32_e32 v7, 0, v47
	v_fmac_f32_e32 v32, 0, v47
	;; [unrolled: 1-line block ×6, first 2 shown]
	global_load_dwordx2 v[21:22], v[18:19], off
	v_fmac_f32_e32 v31, v23, v47
	v_fmac_f32_e32 v30, 0, v47
	v_fmac_f32_e32 v17, v24, v47
	v_fmac_f32_e32 v16, 0, v47
	v_fmac_f32_e32 v34, 0x80000000, v48
	v_fmac_f32_e32 v33, 0x80000000, v48
	v_fmac_f32_e32 v31, 0x80000000, v48
	v_fmac_f32_e32 v30, v23, v48
	v_fmac_f32_e32 v17, 0x80000000, v48
	v_fmac_f32_e32 v16, v24, v48
	v_fmac_f32_e32 v34, v39, v49
	v_fmac_f32_e32 v7, 0, v49
	v_fmac_f32_e32 v33, v40, v49
	v_fmac_f32_e32 v32, 0, v49
	v_fmac_f32_e32 v31, v41, v49
	v_fmac_f32_e32 v30, 0, v49
	v_fmac_f32_e32 v17, v42, v49
	v_fmac_f32_e32 v16, 0, v49
	v_fmac_f32_e32 v34, 0x80000000, v50
	v_fmac_f32_e32 v7, v39, v50
	v_fmac_f32_e32 v33, 0x80000000, v50
	v_fmac_f32_e32 v32, v40, v50
	v_fmac_f32_e32 v31, 0x80000000, v50
	v_fmac_f32_e32 v30, v41, v50
	v_fmac_f32_e32 v17, 0x80000000, v50
	v_fmac_f32_e32 v16, v42, v50
	v_fmac_f32_e32 v34, v35, v43
	v_fmac_f32_e32 v7, 0, v43
	v_fmac_f32_e32 v33, v36, v43
	v_fmac_f32_e32 v32, 0, v43
	v_fmac_f32_e32 v31, v37, v43
	v_fmac_f32_e32 v30, 0, v43
	v_fmac_f32_e32 v17, v38, v43
	v_fmac_f32_e32 v16, 0, v43
	v_fmac_f32_e32 v34, 0x80000000, v44
	v_fmac_f32_e32 v7, v35, v44
	v_fmac_f32_e32 v33, 0x80000000, v44
	v_fmac_f32_e32 v32, v36, v44
	v_fmac_f32_e32 v31, 0x80000000, v44
	v_fmac_f32_e32 v30, v37, v44
	v_fmac_f32_e32 v17, 0x80000000, v44
	v_fmac_f32_e32 v16, v38, v44
	v_fmac_f32_e32 v7, 0, v45
	v_fmac_f32_e32 v32, 0, v45
	v_fmac_f32_e32 v30, 0, v45
	v_fmac_f32_e32 v16, 0, v45
	v_fmac_f32_e32 v34, v25, v45
	v_fmac_f32_e32 v7, v25, v46
	v_fmac_f32_e32 v33, v26, v45
	v_fmac_f32_e32 v32, v26, v46
	v_fmac_f32_e32 v31, v27, v45
	v_fmac_f32_e32 v30, v27, v46
	v_fmac_f32_e32 v17, v28, v45
	v_fmac_f32_e32 v16, v28, v46
	v_fmac_f32_e32 v34, 0x80000000, v46
	v_fmac_f32_e32 v33, 0x80000000, v46
	v_fmac_f32_e32 v31, 0x80000000, v46
	v_fmac_f32_e32 v17, 0x80000000, v46
	s_waitcnt vmcnt(0)
	v_sub_co_u32_e32 v43, vcc, v21, v1
	v_subb_co_u32_e32 v44, vcc, v22, v2, vcc
	v_lshlrev_b64 v[43:44], 5, v[43:44]
	global_load_dwordx4 v[21:24], v[51:52], off
	global_load_dwordx4 v[25:28], v[51:52], off offset:48
	global_load_dwordx4 v[35:38], v[51:52], off offset:32
	;; [unrolled: 1-line block ×3, first 2 shown]
	v_add_co_u32_e32 v51, vcc, s6, v43
	v_addc_co_u32_e32 v52, vcc, v20, v44, vcc
	global_load_dwordx4 v[43:46], v[51:52], off offset:16
	global_load_dwordx4 v[47:50], v[51:52], off
	s_waitcnt vmcnt(0)
	v_fmac_f32_e32 v7, 0, v47
	v_fmac_f32_e32 v32, 0, v47
	;; [unrolled: 1-line block ×6, first 2 shown]
	global_load_dwordx2 v[21:22], v[18:19], off offset:512
	v_fmac_f32_e32 v31, v23, v47
	v_fmac_f32_e32 v30, 0, v47
	;; [unrolled: 1-line block ×58, first 2 shown]
	s_waitcnt vmcnt(0)
	v_sub_co_u32_e32 v43, vcc, v21, v1
	v_subb_co_u32_e32 v44, vcc, v22, v2, vcc
	v_add_co_u32_e32 v45, vcc, s13, v14
	v_lshlrev_b64 v[43:44], 5, v[43:44]
	v_addc_co_u32_e32 v46, vcc, 0, v15, vcc
	v_add_co_u32_e32 v51, vcc, s6, v43
	v_addc_co_u32_e32 v52, vcc, v20, v44, vcc
	global_load_dwordx4 v[21:24], v[45:46], off
	global_load_dwordx4 v[25:28], v[45:46], off offset:48
	global_load_dwordx4 v[35:38], v[45:46], off offset:32
	;; [unrolled: 1-line block ×3, first 2 shown]
	s_nop 0
	global_load_dwordx4 v[43:46], v[51:52], off offset:16
	global_load_dwordx4 v[47:50], v[51:52], off
	v_add_co_u32_e32 v3, vcc, 0x100, v3
	v_addc_co_u32_e32 v4, vcc, 0, v4, vcc
	v_add_co_u32_e32 v18, vcc, 0x800, v18
	v_addc_co_u32_e32 v19, vcc, 0, v19, vcc
	v_cmp_ge_i64_e64 s[0:1], v[3:4], v[5:6]
	v_add_co_u32_e32 v14, vcc, 0x4000, v14
	v_addc_co_u32_e32 v15, vcc, 0, v15, vcc
	s_or_b64 s[10:11], s[0:1], s[10:11]
	s_waitcnt vmcnt(0)
	v_fmac_f32_e32 v34, v21, v47
	v_fmac_f32_e32 v7, 0, v47
	;; [unrolled: 1-line block ×64, first 2 shown]
	s_andn2_b64 exec, exec, s[10:11]
	s_cbranch_execnz .LBB134_33
; %bb.34:
	s_or_b64 exec, exec, s[10:11]
.LBB134_35:
	s_or_b64 exec, exec, s[8:9]
.LBB134_36:
	s_or_b64 exec, exec, s[2:3]
.LBB134_37:
	v_mov_b32_dpp v3, v7 row_shr:1 row_mask:0xf bank_mask:0xf
	v_mov_b32_dpp v1, v34 row_shr:1 row_mask:0xf bank_mask:0xf
	v_add_f32_e32 v3, v7, v3
	v_mov_b32_dpp v5, v33 row_shr:1 row_mask:0xf bank_mask:0xf
	v_mov_b32_dpp v7, v32 row_shr:1 row_mask:0xf bank_mask:0xf
	;; [unrolled: 1-line block ×6, first 2 shown]
	v_add_f32_e32 v1, v34, v1
	v_add_f32_e32 v5, v33, v5
	v_add_f32_e32 v7, v32, v7
	v_add_f32_e32 v15, v31, v15
	v_add_f32_e32 v19, v30, v19
	v_add_f32_e32 v17, v17, v21
	v_add_f32_e32 v16, v16, v22
	v_mov_b32_dpp v2, v1 row_shr:2 row_mask:0xf bank_mask:0xf
	v_mov_b32_dpp v4, v3 row_shr:2 row_mask:0xf bank_mask:0xf
	v_mov_b32_dpp v6, v5 row_shr:2 row_mask:0xf bank_mask:0xf
	v_mov_b32_dpp v14, v7 row_shr:2 row_mask:0xf bank_mask:0xf
	v_mov_b32_dpp v18, v15 row_shr:2 row_mask:0xf bank_mask:0xf
	v_mov_b32_dpp v20, v19 row_shr:2 row_mask:0xf bank_mask:0xf
	v_mov_b32_dpp v21, v17 row_shr:2 row_mask:0xf bank_mask:0xf
	v_mov_b32_dpp v22, v16 row_shr:2 row_mask:0xf bank_mask:0xf
	v_add_f32_e32 v1, v1, v2
	v_add_f32_e32 v3, v3, v4
	v_add_f32_e32 v5, v5, v6
	v_add_f32_e32 v7, v7, v14
	v_add_f32_e32 v15, v15, v18
	v_add_f32_e32 v19, v19, v20
	v_add_f32_e32 v17, v17, v21
	v_add_f32_e32 v16, v16, v22
	v_mov_b32_dpp v2, v1 row_shr:4 row_mask:0xf bank_mask:0xe
	v_mov_b32_dpp v4, v3 row_shr:4 row_mask:0xf bank_mask:0xe
	v_mov_b32_dpp v6, v5 row_shr:4 row_mask:0xf bank_mask:0xe
	v_mov_b32_dpp v14, v7 row_shr:4 row_mask:0xf bank_mask:0xe
	v_mov_b32_dpp v18, v15 row_shr:4 row_mask:0xf bank_mask:0xe
	v_mov_b32_dpp v20, v19 row_shr:4 row_mask:0xf bank_mask:0xe
	v_mov_b32_dpp v21, v17 row_shr:4 row_mask:0xf bank_mask:0xe
	v_mov_b32_dpp v22, v16 row_shr:4 row_mask:0xf bank_mask:0xe
	v_add_f32_e32 v1, v1, v2
	;; [unrolled: 16-line block ×3, first 2 shown]
	v_add_f32_e32 v3, v3, v4
	v_add_f32_e32 v5, v5, v6
	;; [unrolled: 1-line block ×7, first 2 shown]
	v_mov_b32_dpp v2, v1 row_bcast:15 row_mask:0xa bank_mask:0xf
	v_mov_b32_dpp v4, v3 row_bcast:15 row_mask:0xa bank_mask:0xf
	;; [unrolled: 1-line block ×8, first 2 shown]
	v_add_f32_e32 v1, v1, v2
	v_add_f32_e32 v3, v3, v4
	;; [unrolled: 1-line block ×8, first 2 shown]
	v_mov_b32_dpp v2, v1 row_bcast:31 row_mask:0xc bank_mask:0xf
	v_mov_b32_dpp v4, v3 row_bcast:31 row_mask:0xc bank_mask:0xf
	v_mov_b32_dpp v6, v5 row_bcast:31 row_mask:0xc bank_mask:0xf
	v_mov_b32_dpp v14, v7 row_bcast:31 row_mask:0xc bank_mask:0xf
	v_mov_b32_dpp v18, v15 row_bcast:31 row_mask:0xc bank_mask:0xf
	v_mov_b32_dpp v20, v19 row_bcast:31 row_mask:0xc bank_mask:0xf
	v_mov_b32_dpp v21, v17 row_bcast:31 row_mask:0xc bank_mask:0xf
	v_mov_b32_dpp v22, v16 row_bcast:31 row_mask:0xc bank_mask:0xf
	v_cmp_eq_u32_e32 vcc, 63, v0
	s_and_b64 exec, exec, vcc
	s_cbranch_execz .LBB134_8
; %bb.38:
	s_load_dwordx2 s[2:3], s[4:5], 0x58
	v_add_f32_e32 v23, v1, v2
	v_add_f32_e32 v0, v3, v4
	;; [unrolled: 1-line block ×8, first 2 shown]
	v_cmp_eq_f32_e32 vcc, 0, v8
	v_cmp_eq_f32_e64 s[0:1], 0, v9
	v_mul_f32_e64 v4, v0, -v11
	v_mul_f32_e32 v5, v10, v0
	v_mul_f32_e64 v6, v1, -v11
	v_mul_f32_e32 v7, v10, v1
	v_mul_f32_e64 v0, v2, -v11
	v_mul_f32_e32 v1, v10, v2
	v_mul_f32_e64 v2, v3, -v11
	v_mul_f32_e32 v3, v10, v3
	v_lshlrev_b64 v[12:13], 5, v[12:13]
	s_and_b64 s[0:1], vcc, s[0:1]
	v_fmac_f32_e32 v4, v10, v23
	v_fmac_f32_e32 v5, v11, v23
	;; [unrolled: 1-line block ×8, first 2 shown]
	s_and_saveexec_b64 s[4:5], s[0:1]
	s_xor_b64 s[0:1], exec, s[4:5]
	s_cbranch_execz .LBB134_40
; %bb.39:
	s_waitcnt lgkmcnt(0)
	v_mov_b32_e32 v9, s3
	v_add_co_u32_e32 v8, vcc, s2, v12
	v_addc_co_u32_e32 v9, vcc, v9, v13, vcc
	global_store_dwordx4 v[8:9], v[4:7], off
	global_store_dwordx4 v[8:9], v[0:3], off offset:16
                                        ; implicit-def: $vgpr8_vgpr9
                                        ; implicit-def: $vgpr4
                                        ; implicit-def: $vgpr12_vgpr13
                                        ; implicit-def: $vgpr0
.LBB134_40:
	s_andn2_saveexec_b64 s[0:1], s[0:1]
	s_cbranch_execz .LBB134_8
; %bb.41:
	s_waitcnt lgkmcnt(0)
	v_mov_b32_e32 v10, s3
	v_add_co_u32_e32 v18, vcc, s2, v12
	v_addc_co_u32_e32 v19, vcc, v10, v13, vcc
	global_load_dwordx4 v[10:13], v[18:19], off
	global_load_dwordx4 v[14:17], v[18:19], off offset:16
	s_waitcnt vmcnt(1)
	v_fmac_f32_e32 v4, v8, v10
	v_fmac_f32_e32 v5, v9, v10
	;; [unrolled: 1-line block ×4, first 2 shown]
	s_waitcnt vmcnt(0)
	v_fmac_f32_e32 v0, v8, v14
	v_fmac_f32_e32 v1, v9, v14
	;; [unrolled: 1-line block ×4, first 2 shown]
	v_fma_f32 v4, -v9, v11, v4
	v_fmac_f32_e32 v5, v8, v11
	v_fma_f32 v6, -v9, v13, v6
	v_fmac_f32_e32 v7, v8, v13
	;; [unrolled: 2-line block ×4, first 2 shown]
	global_store_dwordx4 v[18:19], v[4:7], off
	global_store_dwordx4 v[18:19], v[0:3], off offset:16
	s_endpgm
	.section	.rodata,"a",@progbits
	.p2align	6, 0x0
	.amdhsa_kernel _ZN9rocsparseL18bsrxmvn_4x4_kernelILj128ELj64E21rocsparse_complex_numIfEllfS2_S2_EEvT3_20rocsparse_direction_NS_24const_host_device_scalarIT1_EES3_PKS3_PKT2_SC_S9_PKT4_PKT5_S7_PT6_21rocsparse_index_base_b
		.amdhsa_group_segment_fixed_size 0
		.amdhsa_private_segment_fixed_size 0
		.amdhsa_kernarg_size 104
		.amdhsa_user_sgpr_count 6
		.amdhsa_user_sgpr_private_segment_buffer 1
		.amdhsa_user_sgpr_dispatch_ptr 0
		.amdhsa_user_sgpr_queue_ptr 0
		.amdhsa_user_sgpr_kernarg_segment_ptr 1
		.amdhsa_user_sgpr_dispatch_id 0
		.amdhsa_user_sgpr_flat_scratch_init 0
		.amdhsa_user_sgpr_private_segment_size 0
		.amdhsa_uses_dynamic_stack 0
		.amdhsa_system_sgpr_private_segment_wavefront_offset 0
		.amdhsa_system_sgpr_workgroup_id_x 1
		.amdhsa_system_sgpr_workgroup_id_y 0
		.amdhsa_system_sgpr_workgroup_id_z 0
		.amdhsa_system_sgpr_workgroup_info 0
		.amdhsa_system_vgpr_workitem_id 0
		.amdhsa_next_free_vgpr 62
		.amdhsa_next_free_sgpr 19
		.amdhsa_reserve_vcc 1
		.amdhsa_reserve_flat_scratch 0
		.amdhsa_float_round_mode_32 0
		.amdhsa_float_round_mode_16_64 0
		.amdhsa_float_denorm_mode_32 3
		.amdhsa_float_denorm_mode_16_64 3
		.amdhsa_dx10_clamp 1
		.amdhsa_ieee_mode 1
		.amdhsa_fp16_overflow 0
		.amdhsa_exception_fp_ieee_invalid_op 0
		.amdhsa_exception_fp_denorm_src 0
		.amdhsa_exception_fp_ieee_div_zero 0
		.amdhsa_exception_fp_ieee_overflow 0
		.amdhsa_exception_fp_ieee_underflow 0
		.amdhsa_exception_fp_ieee_inexact 0
		.amdhsa_exception_int_div_zero 0
	.end_amdhsa_kernel
	.section	.text._ZN9rocsparseL18bsrxmvn_4x4_kernelILj128ELj64E21rocsparse_complex_numIfEllfS2_S2_EEvT3_20rocsparse_direction_NS_24const_host_device_scalarIT1_EES3_PKS3_PKT2_SC_S9_PKT4_PKT5_S7_PT6_21rocsparse_index_base_b,"axG",@progbits,_ZN9rocsparseL18bsrxmvn_4x4_kernelILj128ELj64E21rocsparse_complex_numIfEllfS2_S2_EEvT3_20rocsparse_direction_NS_24const_host_device_scalarIT1_EES3_PKS3_PKT2_SC_S9_PKT4_PKT5_S7_PT6_21rocsparse_index_base_b,comdat
.Lfunc_end134:
	.size	_ZN9rocsparseL18bsrxmvn_4x4_kernelILj128ELj64E21rocsparse_complex_numIfEllfS2_S2_EEvT3_20rocsparse_direction_NS_24const_host_device_scalarIT1_EES3_PKS3_PKT2_SC_S9_PKT4_PKT5_S7_PT6_21rocsparse_index_base_b, .Lfunc_end134-_ZN9rocsparseL18bsrxmvn_4x4_kernelILj128ELj64E21rocsparse_complex_numIfEllfS2_S2_EEvT3_20rocsparse_direction_NS_24const_host_device_scalarIT1_EES3_PKS3_PKT2_SC_S9_PKT4_PKT5_S7_PT6_21rocsparse_index_base_b
                                        ; -- End function
	.set _ZN9rocsparseL18bsrxmvn_4x4_kernelILj128ELj64E21rocsparse_complex_numIfEllfS2_S2_EEvT3_20rocsparse_direction_NS_24const_host_device_scalarIT1_EES3_PKS3_PKT2_SC_S9_PKT4_PKT5_S7_PT6_21rocsparse_index_base_b.num_vgpr, 62
	.set _ZN9rocsparseL18bsrxmvn_4x4_kernelILj128ELj64E21rocsparse_complex_numIfEllfS2_S2_EEvT3_20rocsparse_direction_NS_24const_host_device_scalarIT1_EES3_PKS3_PKT2_SC_S9_PKT4_PKT5_S7_PT6_21rocsparse_index_base_b.num_agpr, 0
	.set _ZN9rocsparseL18bsrxmvn_4x4_kernelILj128ELj64E21rocsparse_complex_numIfEllfS2_S2_EEvT3_20rocsparse_direction_NS_24const_host_device_scalarIT1_EES3_PKS3_PKT2_SC_S9_PKT4_PKT5_S7_PT6_21rocsparse_index_base_b.numbered_sgpr, 19
	.set _ZN9rocsparseL18bsrxmvn_4x4_kernelILj128ELj64E21rocsparse_complex_numIfEllfS2_S2_EEvT3_20rocsparse_direction_NS_24const_host_device_scalarIT1_EES3_PKS3_PKT2_SC_S9_PKT4_PKT5_S7_PT6_21rocsparse_index_base_b.num_named_barrier, 0
	.set _ZN9rocsparseL18bsrxmvn_4x4_kernelILj128ELj64E21rocsparse_complex_numIfEllfS2_S2_EEvT3_20rocsparse_direction_NS_24const_host_device_scalarIT1_EES3_PKS3_PKT2_SC_S9_PKT4_PKT5_S7_PT6_21rocsparse_index_base_b.private_seg_size, 0
	.set _ZN9rocsparseL18bsrxmvn_4x4_kernelILj128ELj64E21rocsparse_complex_numIfEllfS2_S2_EEvT3_20rocsparse_direction_NS_24const_host_device_scalarIT1_EES3_PKS3_PKT2_SC_S9_PKT4_PKT5_S7_PT6_21rocsparse_index_base_b.uses_vcc, 1
	.set _ZN9rocsparseL18bsrxmvn_4x4_kernelILj128ELj64E21rocsparse_complex_numIfEllfS2_S2_EEvT3_20rocsparse_direction_NS_24const_host_device_scalarIT1_EES3_PKS3_PKT2_SC_S9_PKT4_PKT5_S7_PT6_21rocsparse_index_base_b.uses_flat_scratch, 0
	.set _ZN9rocsparseL18bsrxmvn_4x4_kernelILj128ELj64E21rocsparse_complex_numIfEllfS2_S2_EEvT3_20rocsparse_direction_NS_24const_host_device_scalarIT1_EES3_PKS3_PKT2_SC_S9_PKT4_PKT5_S7_PT6_21rocsparse_index_base_b.has_dyn_sized_stack, 0
	.set _ZN9rocsparseL18bsrxmvn_4x4_kernelILj128ELj64E21rocsparse_complex_numIfEllfS2_S2_EEvT3_20rocsparse_direction_NS_24const_host_device_scalarIT1_EES3_PKS3_PKT2_SC_S9_PKT4_PKT5_S7_PT6_21rocsparse_index_base_b.has_recursion, 0
	.set _ZN9rocsparseL18bsrxmvn_4x4_kernelILj128ELj64E21rocsparse_complex_numIfEllfS2_S2_EEvT3_20rocsparse_direction_NS_24const_host_device_scalarIT1_EES3_PKS3_PKT2_SC_S9_PKT4_PKT5_S7_PT6_21rocsparse_index_base_b.has_indirect_call, 0
	.section	.AMDGPU.csdata,"",@progbits
; Kernel info:
; codeLenInByte = 6540
; TotalNumSgprs: 23
; NumVgprs: 62
; ScratchSize: 0
; MemoryBound: 0
; FloatMode: 240
; IeeeMode: 1
; LDSByteSize: 0 bytes/workgroup (compile time only)
; SGPRBlocks: 2
; VGPRBlocks: 15
; NumSGPRsForWavesPerEU: 23
; NumVGPRsForWavesPerEU: 62
; Occupancy: 4
; WaveLimiterHint : 1
; COMPUTE_PGM_RSRC2:SCRATCH_EN: 0
; COMPUTE_PGM_RSRC2:USER_SGPR: 6
; COMPUTE_PGM_RSRC2:TRAP_HANDLER: 0
; COMPUTE_PGM_RSRC2:TGID_X_EN: 1
; COMPUTE_PGM_RSRC2:TGID_Y_EN: 0
; COMPUTE_PGM_RSRC2:TGID_Z_EN: 0
; COMPUTE_PGM_RSRC2:TIDIG_COMP_CNT: 0
	.section	.text._ZN9rocsparseL18bsrxmvn_4x4_kernelILj128ELj4E21rocsparse_complex_numIdEiidS2_S2_EEvT3_20rocsparse_direction_NS_24const_host_device_scalarIT1_EES3_PKS3_PKT2_SC_S9_PKT4_PKT5_S7_PT6_21rocsparse_index_base_b,"axG",@progbits,_ZN9rocsparseL18bsrxmvn_4x4_kernelILj128ELj4E21rocsparse_complex_numIdEiidS2_S2_EEvT3_20rocsparse_direction_NS_24const_host_device_scalarIT1_EES3_PKS3_PKT2_SC_S9_PKT4_PKT5_S7_PT6_21rocsparse_index_base_b,comdat
	.globl	_ZN9rocsparseL18bsrxmvn_4x4_kernelILj128ELj4E21rocsparse_complex_numIdEiidS2_S2_EEvT3_20rocsparse_direction_NS_24const_host_device_scalarIT1_EES3_PKS3_PKT2_SC_S9_PKT4_PKT5_S7_PT6_21rocsparse_index_base_b ; -- Begin function _ZN9rocsparseL18bsrxmvn_4x4_kernelILj128ELj4E21rocsparse_complex_numIdEiidS2_S2_EEvT3_20rocsparse_direction_NS_24const_host_device_scalarIT1_EES3_PKS3_PKT2_SC_S9_PKT4_PKT5_S7_PT6_21rocsparse_index_base_b
	.p2align	8
	.type	_ZN9rocsparseL18bsrxmvn_4x4_kernelILj128ELj4E21rocsparse_complex_numIdEiidS2_S2_EEvT3_20rocsparse_direction_NS_24const_host_device_scalarIT1_EES3_PKS3_PKT2_SC_S9_PKT4_PKT5_S7_PT6_21rocsparse_index_base_b,@function
_ZN9rocsparseL18bsrxmvn_4x4_kernelILj128ELj4E21rocsparse_complex_numIdEiidS2_S2_EEvT3_20rocsparse_direction_NS_24const_host_device_scalarIT1_EES3_PKS3_PKT2_SC_S9_PKT4_PKT5_S7_PT6_21rocsparse_index_base_b: ; @_ZN9rocsparseL18bsrxmvn_4x4_kernelILj128ELj4E21rocsparse_complex_numIdEiidS2_S2_EEvT3_20rocsparse_direction_NS_24const_host_device_scalarIT1_EES3_PKS3_PKT2_SC_S9_PKT4_PKT5_S7_PT6_21rocsparse_index_base_b
; %bb.0:
	s_load_dwordx2 s[0:1], s[4:5], 0x8
	s_load_dwordx2 s[16:17], s[4:5], 0x68
	s_add_u32 s7, s4, 8
	s_addc_u32 s8, s5, 0
	s_add_u32 s9, s4, 0x50
	s_addc_u32 s10, s5, 0
	s_waitcnt lgkmcnt(0)
	s_bitcmp1_b32 s17, 0
	s_cselect_b32 s1, s8, s1
	s_cselect_b32 s0, s7, s0
	v_mov_b32_e32 v1, s0
	v_mov_b32_e32 v2, s1
	flat_load_dwordx4 v[5:8], v[1:2]
	s_load_dwordx2 s[2:3], s[4:5], 0x50
	s_waitcnt lgkmcnt(0)
	s_cselect_b32 s0, s10, s3
	s_cselect_b32 s1, s9, s2
	v_mov_b32_e32 v1, s1
	v_mov_b32_e32 v2, s0
	flat_load_dwordx4 v[1:4], v[1:2]
	s_waitcnt vmcnt(0)
	v_cmp_eq_f64_e32 vcc, 0, v[5:6]
	v_cmp_eq_f64_e64 s[0:1], 0, v[7:8]
	s_and_b64 s[8:9], vcc, s[0:1]
	s_mov_b64 s[0:1], -1
	s_and_saveexec_b64 s[2:3], s[8:9]
	s_cbranch_execz .LBB135_2
; %bb.1:
	s_waitcnt lgkmcnt(0)
	v_cmp_neq_f64_e32 vcc, 1.0, v[1:2]
	v_cmp_neq_f64_e64 s[0:1], 0, v[3:4]
	s_or_b64 s[0:1], vcc, s[0:1]
	s_orn2_b64 s[0:1], s[0:1], exec
.LBB135_2:
	s_or_b64 exec, exec, s[2:3]
	s_and_saveexec_b64 s[2:3], s[0:1]
	s_cbranch_execz .LBB135_8
; %bb.3:
	s_load_dwordx2 s[8:9], s[4:5], 0x20
	s_load_dwordx2 s[0:1], s[4:5], 0x0
	v_lshrrev_b32_e32 v9, 2, v0
	v_lshl_or_b32 v21, s6, 5, v9
	s_mov_b64 s[2:3], 0
	s_waitcnt lgkmcnt(0)
	s_cmp_lg_u64 s[8:9], 0
	s_cbranch_scc0 .LBB135_9
; %bb.4:
	s_load_dword s6, s[4:5], 0x18
                                        ; implicit-def: $vgpr9
	s_waitcnt lgkmcnt(0)
	v_cmp_gt_i32_e32 vcc, s6, v21
	s_and_saveexec_b64 s[6:7], vcc
	s_xor_b64 s[6:7], exec, s[6:7]
	s_cbranch_execz .LBB135_6
; %bb.5:
	v_ashrrev_i32_e32 v22, 31, v21
	v_lshlrev_b64 v[9:10], 2, v[21:22]
	v_mov_b32_e32 v11, s9
	v_add_co_u32_e32 v9, vcc, s8, v9
	v_addc_co_u32_e32 v10, vcc, v11, v10, vcc
	global_load_dword v9, v[9:10], off
	s_mov_b64 s[2:3], exec
	s_waitcnt vmcnt(0)
	v_subrev_u32_e32 v9, s16, v9
.LBB135_6:
	s_or_b64 exec, exec, s[6:7]
	s_branch .LBB135_10
.LBB135_7:
	v_cmp_gt_i32_e32 vcc, s0, v21
	s_andn2_b64 s[2:3], s[2:3], exec
	s_and_b64 s[6:7], vcc, exec
	s_or_b64 s[2:3], s[2:3], s[6:7]
	s_and_b64 exec, exec, s[2:3]
	s_cbranch_execnz .LBB135_11
.LBB135_8:
	s_endpgm
.LBB135_9:
                                        ; implicit-def: $vgpr9
	s_cbranch_execnz .LBB135_7
.LBB135_10:
	v_mov_b32_e32 v21, v9
	s_and_b64 exec, exec, s[2:3]
	s_cbranch_execz .LBB135_8
.LBB135_11:
	s_load_dwordx8 s[8:15], s[4:5], 0x28
	v_ashrrev_i32_e32 v22, 31, v21
	v_lshlrev_b64 v[9:10], 2, v[21:22]
	v_and_b32_e32 v0, 3, v0
	s_load_dwordx2 s[6:7], s[4:5], 0x48
	s_waitcnt lgkmcnt(0)
	v_mov_b32_e32 v12, s9
	v_add_co_u32_e32 v11, vcc, s8, v9
	v_addc_co_u32_e32 v12, vcc, v12, v10, vcc
	global_load_dword v41, v[11:12], off
	v_add_co_u32_e32 v11, vcc, 4, v11
	v_addc_co_u32_e32 v12, vcc, 0, v12, vcc
	v_mov_b32_e32 v13, s11
	v_add_co_u32_e32 v9, vcc, s10, v9
	s_cmp_eq_u64 s[10:11], 0
	v_addc_co_u32_e32 v10, vcc, v13, v10, vcc
	s_cselect_b64 vcc, -1, 0
	v_cndmask_b32_e32 v10, v10, v12, vcc
	v_cndmask_b32_e32 v9, v9, v11, vcc
	global_load_dword v9, v[9:10], off
	v_mov_b32_e32 v11, s15
	s_cmp_eq_u32 s1, 1
	s_waitcnt vmcnt(1)
	v_subrev_u32_e32 v10, s16, v41
	v_add_u32_e32 v13, v10, v0
	v_ashrrev_i32_e32 v14, 31, v13
	s_waitcnt vmcnt(0)
	v_subrev_u32_e32 v40, s16, v9
	v_lshlrev_b64 v[9:10], 7, v[13:14]
	v_cmp_lt_i32_e64 s[0:1], v13, v40
	v_add_co_u32_e32 v15, vcc, s14, v9
	v_addc_co_u32_e32 v16, vcc, v11, v10, vcc
	s_cbranch_scc1 .LBB135_23
; %bb.12:
	v_mov_b32_e32 v24, 0
	v_mov_b32_e32 v28, 0
	;; [unrolled: 1-line block ×16, first 2 shown]
	s_and_saveexec_b64 s[8:9], s[0:1]
	s_cbranch_execz .LBB135_22
; %bb.13:
	v_add_u32_e32 v9, v41, v0
	v_subrev_u32_e32 v9, s16, v9
	v_add_u32_e32 v9, 4, v9
	v_max_i32_e32 v9, v9, v40
	v_not_b32_e32 v10, v41
	v_add3_u32 v9, s16, v9, v10
	v_sub_u32_e32 v11, v9, v0
	v_and_b32_e32 v9, 12, v11
	v_cmp_ne_u32_e32 vcc, 12, v9
	v_mov_b32_e32 v34, 0
	v_mov_b32_e32 v9, 0
	;; [unrolled: 1-line block ×19, first 2 shown]
	s_and_saveexec_b64 s[10:11], vcc
	s_cbranch_execz .LBB135_17
; %bb.14:
	v_lshrrev_b32_e32 v9, 2, v11
	v_add_u32_e32 v9, 1, v9
	v_and_b32_e32 v9, 3, v9
	v_sub_u32_e32 v12, 0, v9
	v_mov_b32_e32 v24, 0
	s_mov_b32 s18, 0
	v_mov_b32_e32 v28, 0
	v_mov_b32_e32 v22, 0
	;; [unrolled: 1-line block ×9, first 2 shown]
	s_mov_b64 s[14:15], 0
	v_mov_b32_e32 v14, s13
	v_mov_b32_e32 v36, s7
	s_brev_b32 s19, 1
	v_mov_b32_e32 v17, v13
	v_mov_b32_e32 v29, 0
	;; [unrolled: 1-line block ×9, first 2 shown]
.LBB135_15:                             ; =>This Inner Loop Header: Depth=1
	v_ashrrev_i32_e32 v18, 31, v17
	v_lshlrev_b64 v[37:38], 2, v[17:18]
	global_load_dwordx4 v[42:45], v[19:20], off
	global_load_dwordx4 v[50:53], v[19:20], off offset:32
	v_add_co_u32_e32 v37, vcc, s12, v37
	v_addc_co_u32_e32 v38, vcc, v14, v38, vcc
	global_load_dword v18, v[37:38], off
	v_add_co_u32_e64 v12, s[2:3], 1, v12
	s_or_b64 s[14:15], s[2:3], s[14:15]
	v_add_u32_e32 v17, 4, v17
	s_waitcnt vmcnt(0)
	v_subrev_u32_e32 v18, s16, v18
	v_lshlrev_b32_e32 v37, 2, v18
	v_ashrrev_i32_e32 v38, 31, v37
	v_lshlrev_b64 v[37:38], 4, v[37:38]
	v_add_co_u32_e32 v37, vcc, s6, v37
	v_addc_co_u32_e32 v38, vcc, v36, v38, vcc
	global_load_dwordx4 v[46:49], v[37:38], off
	s_waitcnt vmcnt(0)
	v_fma_f64 v[56:57], v[46:47], 0, v[24:25]
	v_fma_f64 v[60:61], v[46:47], 0, v[22:23]
	global_load_dwordx4 v[22:25], v[19:20], off offset:64
	v_fma_f64 v[54:55], v[42:43], v[46:47], v[28:29]
	v_fma_f64 v[58:59], v[50:51], v[46:47], v[26:27]
	;; [unrolled: 1-line block ×3, first 2 shown]
	global_load_dwordx4 v[26:29], v[19:20], off offset:96
	v_fma_f64 v[9:10], v[46:47], 0, v[9:10]
	v_fma_f64 v[42:43], v[42:43], v[48:49], v[56:57]
	;; [unrolled: 1-line block ×3, first 2 shown]
	s_waitcnt vmcnt(1)
	v_fma_f64 v[32:33], v[22:23], v[46:47], v[32:33]
	v_fma_f64 v[22:23], v[22:23], v[48:49], v[30:31]
	s_waitcnt vmcnt(0)
	v_fma_f64 v[34:35], v[26:27], v[46:47], v[34:35]
	v_fma_f64 v[46:47], v[48:49], s[18:19], v[54:55]
	;; [unrolled: 1-line block ×5, first 2 shown]
	global_load_dwordx4 v[30:33], v[37:38], off offset:16
	v_fma_f64 v[34:35], v[48:49], s[18:19], v[34:35]
	s_waitcnt vmcnt(0)
	v_fma_f64 v[26:27], v[30:31], 0, v[42:43]
	v_fma_f64 v[42:43], v[44:45], v[30:31], v[46:47]
	;; [unrolled: 1-line block ×12, first 2 shown]
	global_load_dwordx4 v[22:25], v[19:20], off offset:16
	v_fma_f64 v[34:35], v[32:33], s[18:19], v[42:43]
	v_fma_f64 v[42:43], v[32:33], s[18:19], v[46:47]
	;; [unrolled: 1-line block ×4, first 2 shown]
	global_load_dwordx4 v[26:29], v[37:38], off offset:32
	global_load_dwordx4 v[30:33], v[19:20], off offset:48
	s_waitcnt vmcnt(1)
	v_fma_f64 v[54:55], v[26:27], 0, v[44:45]
	s_waitcnt vmcnt(0)
	v_fma_f64 v[56:57], v[30:31], v[26:27], v[42:43]
	global_load_dwordx4 v[42:45], v[19:20], off offset:80
	v_fma_f64 v[58:59], v[26:27], 0, v[48:49]
	v_fma_f64 v[34:35], v[22:23], v[26:27], v[34:35]
	;; [unrolled: 1-line block ×6, first 2 shown]
	s_waitcnt vmcnt(0)
	v_fma_f64 v[60:61], v[42:43], v[26:27], v[46:47]
	global_load_dwordx4 v[46:49], v[19:20], off offset:112
	v_fma_f64 v[42:43], v[42:43], v[28:29], v[50:51]
	v_add_co_u32_e32 v19, vcc, 0x200, v19
	v_addc_co_u32_e32 v20, vcc, 0, v20, vcc
	v_fma_f64 v[54:55], v[28:29], s[18:19], v[60:61]
	s_waitcnt vmcnt(0)
	v_fma_f64 v[52:53], v[46:47], v[26:27], v[52:53]
	v_fma_f64 v[26:27], v[28:29], s[18:19], v[34:35]
	;; [unrolled: 1-line block ×5, first 2 shown]
	global_load_dwordx4 v[50:53], v[37:38], off offset:48
	s_waitcnt vmcnt(0)
	v_fma_f64 v[22:23], v[50:51], 0, v[22:23]
	v_fma_f64 v[26:27], v[24:25], v[50:51], v[26:27]
	;; [unrolled: 1-line block ×16, first 2 shown]
	s_andn2_b64 exec, exec, s[14:15]
	s_cbranch_execnz .LBB135_15
; %bb.16:
	s_or_b64 exec, exec, s[14:15]
.LBB135_17:
	s_or_b64 exec, exec, s[10:11]
	v_cmp_lt_u32_e32 vcc, 11, v11
	s_and_saveexec_b64 s[2:3], vcc
	s_cbranch_execz .LBB135_21
; %bb.18:
	s_mov_b32 s14, 0
	s_mov_b64 s[10:11], 0
	v_mov_b32_e32 v14, s13
	s_brev_b32 s15, 1
	v_mov_b32_e32 v42, s7
.LBB135_19:                             ; =>This Inner Loop Header: Depth=1
	v_ashrrev_i32_e32 v18, 31, v17
	v_lshlrev_b64 v[11:12], 2, v[17:18]
	v_add_u32_e32 v17, 16, v17
	v_add_co_u32_e32 v11, vcc, s12, v11
	v_addc_co_u32_e32 v12, vcc, v14, v12, vcc
	global_load_dword v18, v[11:12], off
	global_load_dwordx4 v[36:39], v[19:20], off offset:48
	global_load_dwordx4 v[43:46], v[19:20], off offset:32
	;; [unrolled: 1-line block ×3, first 2 shown]
	global_load_dwordx4 v[51:54], v[19:20], off
	s_waitcnt vmcnt(4)
	v_subrev_u32_e32 v18, s16, v18
	v_lshlrev_b32_e32 v55, 2, v18
	v_ashrrev_i32_e32 v56, 31, v55
	v_lshlrev_b64 v[55:56], 4, v[55:56]
	v_add_co_u32_e32 v71, vcc, s6, v55
	v_addc_co_u32_e32 v72, vcc, v42, v56, vcc
	global_load_dwordx4 v[55:58], v[71:72], off offset:48
	global_load_dwordx4 v[59:62], v[71:72], off offset:32
	;; [unrolled: 1-line block ×3, first 2 shown]
	global_load_dwordx4 v[67:70], v[71:72], off
	s_waitcnt vmcnt(0)
	v_fma_f64 v[24:25], v[67:68], 0, v[24:25]
	v_fma_f64 v[28:29], v[51:52], v[67:68], v[28:29]
	;; [unrolled: 1-line block ×34, first 2 shown]
	global_load_dwordx4 v[22:25], v[19:20], off offset:112
	global_load_dwordx4 v[26:29], v[19:20], off offset:96
	;; [unrolled: 1-line block ×4, first 2 shown]
	global_load_dword v18, v[11:12], off offset:16
	s_waitcnt vmcnt(3)
	v_fma_f64 v[9:10], v[26:27], v[69:70], v[9:10]
	s_waitcnt vmcnt(1)
	v_fma_f64 v[32:33], v[43:44], v[67:68], v[32:33]
	v_fma_f64 v[30:31], v[43:44], v[69:70], v[30:31]
	s_waitcnt vmcnt(0)
	v_subrev_u32_e32 v18, s16, v18
	v_lshlrev_b32_e32 v43, 2, v18
	v_ashrrev_i32_e32 v44, 31, v43
	v_lshlrev_b64 v[43:44], 4, v[43:44]
	v_fma_f64 v[9:10], v[63:64], 0, v[9:10]
	v_fma_f64 v[32:33], v[69:70], s[14:15], v[32:33]
	;; [unrolled: 1-line block ×25, first 2 shown]
	v_add_co_u32_e32 v61, vcc, s6, v43
	v_addc_co_u32_e32 v62, vcc, v42, v44, vcc
	v_fma_f64 v[22:23], v[24:25], v[55:56], v[26:27]
	v_fma_f64 v[59:60], v[57:58], s[14:15], v[22:23]
	global_load_dwordx4 v[22:25], v[19:20], off offset:560
	global_load_dwordx4 v[26:29], v[19:20], off offset:544
	global_load_dwordx4 v[30:33], v[19:20], off offset:528
	global_load_dwordx4 v[34:37], v[19:20], off offset:512
	global_load_dwordx4 v[43:46], v[61:62], off offset:48
	global_load_dwordx4 v[47:50], v[61:62], off offset:32
	global_load_dwordx4 v[51:54], v[61:62], off offset:16
	global_load_dwordx4 v[55:58], v[61:62], off
	s_waitcnt vmcnt(0)
	v_fma_f64 v[63:64], v[55:56], 0, v[73:74]
	v_fma_f64 v[61:62], v[34:35], v[55:56], v[71:72]
	;; [unrolled: 1-line block ×34, first 2 shown]
	global_load_dwordx4 v[22:25], v[19:20], off offset:624
	global_load_dwordx4 v[26:29], v[19:20], off offset:608
	;; [unrolled: 1-line block ×4, first 2 shown]
	global_load_dword v18, v[11:12], off offset:32
	s_waitcnt vmcnt(3)
	v_fma_f64 v[9:10], v[26:27], v[57:58], v[9:10]
	s_waitcnt vmcnt(1)
	v_fma_f64 v[69:70], v[34:35], v[55:56], v[79:80]
	v_fma_f64 v[34:35], v[34:35], v[57:58], v[38:39]
	s_waitcnt vmcnt(0)
	v_subrev_u32_e32 v18, s16, v18
	v_fma_f64 v[9:10], v[51:52], 0, v[9:10]
	v_fma_f64 v[69:70], v[57:58], s[14:15], v[69:70]
	;; [unrolled: 1-line block ×12, first 2 shown]
	v_lshlrev_b32_e32 v38, 2, v18
	v_ashrrev_i32_e32 v39, 31, v38
	v_lshlrev_b64 v[38:39], 4, v[38:39]
	v_fma_f64 v[9:10], v[43:44], 0, v[9:10]
	v_add_co_u32_e32 v38, vcc, s6, v38
	v_fma_f64 v[30:31], v[43:44], 0, v[30:31]
	v_fma_f64 v[36:37], v[49:50], s[14:15], v[36:37]
	v_addc_co_u32_e32 v39, vcc, v42, v39, vcc
	v_fma_f64 v[9:10], v[24:25], v[45:46], v[9:10]
	v_fma_f64 v[71:72], v[32:33], v[45:46], v[30:31]
	;; [unrolled: 1-line block ×12, first 2 shown]
	global_load_dwordx4 v[26:29], v[19:20], off offset:1072
	global_load_dwordx4 v[30:33], v[19:20], off offset:1056
	;; [unrolled: 1-line block ×7, first 2 shown]
	global_load_dwordx4 v[55:58], v[38:39], off
	s_waitcnt vmcnt(0)
	v_fma_f64 v[38:39], v[34:35], v[55:56], v[61:62]
	v_fma_f64 v[59:60], v[55:56], 0, v[63:64]
	;; [unrolled: 1-line block ×33, first 2 shown]
	global_load_dwordx4 v[59:62], v[19:20], off offset:1136
	global_load_dwordx4 v[34:37], v[19:20], off offset:1120
	;; [unrolled: 1-line block ×4, first 2 shown]
	v_fma_f64 v[26:27], v[45:46], s[14:15], v[26:27]
	s_waitcnt vmcnt(2)
	v_fma_f64 v[9:10], v[34:35], v[57:58], v[9:10]
	s_waitcnt vmcnt(0)
	v_fma_f64 v[32:33], v[63:64], v[55:56], v[69:70]
	v_fma_f64 v[63:64], v[63:64], v[57:58], v[67:68]
	;; [unrolled: 1-line block ×21, first 2 shown]
	global_load_dword v9, v[11:12], off offset:48
	v_fma_f64 v[32:33], v[45:46], s[14:15], v[32:33]
	v_fma_f64 v[28:29], v[57:58], s[14:15], v[28:29]
	;; [unrolled: 1-line block ×8, first 2 shown]
	global_load_dwordx4 v[43:46], v[19:20], off offset:1584
	global_load_dwordx4 v[47:50], v[19:20], off offset:1568
	;; [unrolled: 1-line block ×4, first 2 shown]
	s_waitcnt vmcnt(4)
	v_subrev_u32_e32 v9, s16, v9
	v_lshlrev_b32_e32 v9, 2, v9
	v_ashrrev_i32_e32 v10, 31, v9
	v_lshlrev_b64 v[9:10], 4, v[9:10]
	v_add_co_u32_e32 v28, vcc, s6, v9
	v_addc_co_u32_e32 v29, vcc, v42, v10, vcc
	global_load_dwordx4 v[9:12], v[28:29], off offset:48
	global_load_dwordx4 v[59:62], v[28:29], off offset:32
	global_load_dwordx4 v[63:66], v[28:29], off offset:16
	global_load_dwordx4 v[67:70], v[28:29], off
	s_waitcnt vmcnt(0)
	v_fma_f64 v[22:23], v[55:56], v[67:68], v[22:23]
	v_fma_f64 v[24:25], v[67:68], 0, v[24:25]
	;; [unrolled: 1-line block ×34, first 2 shown]
	global_load_dwordx4 v[43:46], v[19:20], off offset:1648
	global_load_dwordx4 v[47:50], v[19:20], off offset:1632
	;; [unrolled: 1-line block ×4, first 2 shown]
	v_add_co_u32_e32 v19, vcc, 0x800, v19
	v_addc_co_u32_e32 v20, vcc, 0, v20, vcc
	v_cmp_ge_i32_e32 vcc, v17, v40
	s_or_b64 s[10:11], vcc, s[10:11]
	s_waitcnt vmcnt(2)
	v_fma_f64 v[36:37], v[47:48], v[67:68], v[36:37]
	v_fma_f64 v[34:35], v[47:48], v[69:70], v[34:35]
	s_waitcnt vmcnt(0)
	v_fma_f64 v[32:33], v[55:56], v[67:68], v[32:33]
	v_fma_f64 v[30:31], v[55:56], v[69:70], v[30:31]
	;; [unrolled: 1-line block ×28, first 2 shown]
	s_andn2_b64 exec, exec, s[10:11]
	s_cbranch_execnz .LBB135_19
; %bb.20:
	s_or_b64 exec, exec, s[10:11]
.LBB135_21:
	s_or_b64 exec, exec, s[2:3]
.LBB135_22:
	s_or_b64 exec, exec, s[8:9]
	s_cbranch_execz .LBB135_24
	s_branch .LBB135_35
.LBB135_23:
                                        ; implicit-def: $vgpr24_vgpr25
                                        ; implicit-def: $vgpr28_vgpr29
                                        ; implicit-def: $vgpr22_vgpr23
                                        ; implicit-def: $vgpr26_vgpr27
                                        ; implicit-def: $vgpr30_vgpr31
                                        ; implicit-def: $vgpr32_vgpr33
                                        ; implicit-def: $vgpr9_vgpr10
                                        ; implicit-def: $vgpr34_vgpr35
.LBB135_24:
	v_mov_b32_e32 v24, 0
	v_mov_b32_e32 v28, 0
	;; [unrolled: 1-line block ×16, first 2 shown]
	s_and_saveexec_b64 s[2:3], s[0:1]
	s_cbranch_execz .LBB135_34
; %bb.25:
	v_add_u32_e32 v9, v41, v0
	v_subrev_u32_e32 v9, s16, v9
	v_add_u32_e32 v9, 4, v9
	v_max_i32_e32 v9, v9, v40
	v_not_b32_e32 v10, v41
	v_add3_u32 v9, s16, v9, v10
	v_sub_u32_e32 v11, v9, v0
	v_and_b32_e32 v12, 12, v11
	v_mov_b32_e32 v34, 0
	v_mov_b32_e32 v9, 0
	;; [unrolled: 1-line block ×16, first 2 shown]
	v_cmp_ne_u32_e32 vcc, 12, v12
	s_and_saveexec_b64 s[8:9], vcc
	s_cbranch_execz .LBB135_29
; %bb.26:
	v_lshrrev_b32_e32 v9, 2, v11
	v_add_u32_e32 v9, 1, v9
	v_and_b32_e32 v9, 3, v9
	v_sub_u32_e32 v12, 0, v9
	v_mov_b32_e32 v24, 0
	s_mov_b32 s14, 0
	v_mov_b32_e32 v28, 0
	v_mov_b32_e32 v22, 0
	v_mov_b32_e32 v26, 0
	v_mov_b32_e32 v30, 0
	v_mov_b32_e32 v32, 0
	v_mov_b32_e32 v9, 0
	v_mov_b32_e32 v34, 0
	v_mov_b32_e32 v25, 0
	s_mov_b64 s[10:11], 0
	v_mov_b32_e32 v17, s13
	s_brev_b32 s15, 1
	v_mov_b32_e32 v29, 0
	v_mov_b32_e32 v23, 0
	;; [unrolled: 1-line block ×8, first 2 shown]
.LBB135_27:                             ; =>This Inner Loop Header: Depth=1
	v_ashrrev_i32_e32 v14, 31, v13
	v_lshlrev_b64 v[19:20], 2, v[13:14]
	v_add_co_u32_e64 v12, s[0:1], 1, v12
	v_add_co_u32_e32 v19, vcc, s12, v19
	v_addc_co_u32_e32 v20, vcc, v17, v20, vcc
	global_load_dword v14, v[19:20], off
	global_load_dwordx4 v[36:39], v[15:16], off offset:16
	global_load_dwordx4 v[41:44], v[15:16], off
	s_or_b64 s[10:11], s[0:1], s[10:11]
	v_add_u32_e32 v13, 4, v13
	s_waitcnt vmcnt(2)
	v_subrev_u32_e32 v14, s16, v14
	v_lshlrev_b32_e32 v19, 2, v14
	v_ashrrev_i32_e32 v20, 31, v19
	v_lshlrev_b64 v[19:20], 4, v[19:20]
	v_add_co_u32_e32 v19, vcc, s6, v19
	v_addc_co_u32_e32 v20, vcc, v18, v20, vcc
	global_load_dwordx4 v[45:48], v[19:20], off
	global_load_dwordx4 v[49:52], v[15:16], off offset:32
	global_load_dwordx4 v[53:56], v[15:16], off offset:48
	;; [unrolled: 1-line block ×9, first 2 shown]
	v_add_co_u32_e32 v15, vcc, 0x200, v15
	v_addc_co_u32_e32 v16, vcc, 0, v16, vcc
	s_waitcnt vmcnt(9)
	v_fma_f64 v[19:20], v[41:42], v[45:46], v[28:29]
	v_fma_f64 v[24:25], v[45:46], 0, v[24:25]
	v_fma_f64 v[26:27], v[43:44], v[45:46], v[26:27]
	v_fma_f64 v[22:23], v[45:46], 0, v[22:23]
	v_fma_f64 v[28:29], v[36:37], v[45:46], v[32:33]
	v_fma_f64 v[30:31], v[45:46], 0, v[30:31]
	v_fma_f64 v[32:33], v[38:39], v[45:46], v[34:35]
	v_fma_f64 v[9:10], v[45:46], 0, v[9:10]
	v_fma_f64 v[19:20], v[47:48], s[14:15], v[19:20]
	v_fma_f64 v[24:25], v[41:42], v[47:48], v[24:25]
	v_fma_f64 v[26:27], v[47:48], s[14:15], v[26:27]
	v_fma_f64 v[22:23], v[43:44], v[47:48], v[22:23]
	v_fma_f64 v[28:29], v[47:48], s[14:15], v[28:29]
	v_fma_f64 v[30:31], v[36:37], v[47:48], v[30:31]
	v_fma_f64 v[32:33], v[47:48], s[14:15], v[32:33]
	v_fma_f64 v[9:10], v[38:39], v[47:48], v[9:10]
	s_waitcnt vmcnt(6)
	v_fma_f64 v[19:20], v[49:50], v[57:58], v[19:20]
	v_fma_f64 v[24:25], v[57:58], 0, v[24:25]
	v_fma_f64 v[26:27], v[51:52], v[57:58], v[26:27]
	v_fma_f64 v[22:23], v[57:58], 0, v[22:23]
	v_fma_f64 v[28:29], v[53:54], v[57:58], v[28:29]
	v_fma_f64 v[30:31], v[57:58], 0, v[30:31]
	v_fma_f64 v[32:33], v[55:56], v[57:58], v[32:33]
	v_fma_f64 v[9:10], v[57:58], 0, v[9:10]
	v_fma_f64 v[19:20], v[59:60], s[14:15], v[19:20]
	v_fma_f64 v[24:25], v[49:50], v[59:60], v[24:25]
	v_fma_f64 v[26:27], v[59:60], s[14:15], v[26:27]
	v_fma_f64 v[22:23], v[51:52], v[59:60], v[22:23]
	v_fma_f64 v[28:29], v[59:60], s[14:15], v[28:29]
	v_fma_f64 v[30:31], v[53:54], v[59:60], v[30:31]
	v_fma_f64 v[32:33], v[59:60], s[14:15], v[32:33]
	v_fma_f64 v[9:10], v[55:56], v[59:60], v[9:10]
	s_waitcnt vmcnt(3)
	v_fma_f64 v[19:20], v[65:66], v[69:70], v[19:20]
	v_fma_f64 v[24:25], v[69:70], 0, v[24:25]
	v_fma_f64 v[26:27], v[67:68], v[69:70], v[26:27]
	v_fma_f64 v[22:23], v[69:70], 0, v[22:23]
	v_fma_f64 v[28:29], v[61:62], v[69:70], v[28:29]
	v_fma_f64 v[30:31], v[69:70], 0, v[30:31]
	v_fma_f64 v[32:33], v[63:64], v[69:70], v[32:33]
	v_fma_f64 v[9:10], v[69:70], 0, v[9:10]
	v_fma_f64 v[19:20], v[71:72], s[14:15], v[19:20]
	v_fma_f64 v[24:25], v[65:66], v[71:72], v[24:25]
	v_fma_f64 v[26:27], v[71:72], s[14:15], v[26:27]
	v_fma_f64 v[22:23], v[67:68], v[71:72], v[22:23]
	v_fma_f64 v[28:29], v[71:72], s[14:15], v[28:29]
	v_fma_f64 v[30:31], v[61:62], v[71:72], v[30:31]
	v_fma_f64 v[32:33], v[71:72], s[14:15], v[32:33]
	v_fma_f64 v[9:10], v[63:64], v[71:72], v[9:10]
	s_waitcnt vmcnt(0)
	v_fma_f64 v[19:20], v[73:74], v[81:82], v[19:20]
	v_fma_f64 v[24:25], v[81:82], 0, v[24:25]
	v_fma_f64 v[26:27], v[75:76], v[81:82], v[26:27]
	v_fma_f64 v[22:23], v[81:82], 0, v[22:23]
	v_fma_f64 v[34:35], v[77:78], v[81:82], v[28:29]
	v_fma_f64 v[30:31], v[81:82], 0, v[30:31]
	v_fma_f64 v[36:37], v[79:80], v[81:82], v[32:33]
	v_fma_f64 v[9:10], v[81:82], 0, v[9:10]
	v_fma_f64 v[28:29], v[83:84], s[14:15], v[19:20]
	v_fma_f64 v[24:25], v[73:74], v[83:84], v[24:25]
	v_fma_f64 v[26:27], v[83:84], s[14:15], v[26:27]
	v_fma_f64 v[22:23], v[75:76], v[83:84], v[22:23]
	v_fma_f64 v[32:33], v[83:84], s[14:15], v[34:35]
	v_fma_f64 v[30:31], v[77:78], v[83:84], v[30:31]
	v_fma_f64 v[34:35], v[83:84], s[14:15], v[36:37]
	v_fma_f64 v[9:10], v[79:80], v[83:84], v[9:10]
	s_andn2_b64 exec, exec, s[10:11]
	s_cbranch_execnz .LBB135_27
; %bb.28:
	s_or_b64 exec, exec, s[10:11]
.LBB135_29:
	s_or_b64 exec, exec, s[8:9]
	v_cmp_lt_u32_e32 vcc, 11, v11
	s_and_saveexec_b64 s[0:1], vcc
	s_cbranch_execz .LBB135_33
; %bb.30:
	s_mov_b32 s10, 0
	s_mov_b64 s[8:9], 0
	v_mov_b32_e32 v36, s13
	s_brev_b32 s11, 1
	v_mov_b32_e32 v37, s7
.LBB135_31:                             ; =>This Inner Loop Header: Depth=1
	v_ashrrev_i32_e32 v14, 31, v13
	v_lshlrev_b64 v[11:12], 2, v[13:14]
	v_add_u32_e32 v13, 16, v13
	v_add_co_u32_e32 v11, vcc, s12, v11
	v_addc_co_u32_e32 v12, vcc, v36, v12, vcc
	global_load_dword v14, v[11:12], off
	global_load_dwordx4 v[17:20], v[15:16], off offset:48
	global_load_dwordx4 v[41:44], v[15:16], off offset:32
	;; [unrolled: 1-line block ×3, first 2 shown]
	global_load_dwordx4 v[49:52], v[15:16], off
	s_waitcnt vmcnt(4)
	v_subrev_u32_e32 v14, s16, v14
	v_lshlrev_b32_e32 v38, 2, v14
	v_ashrrev_i32_e32 v39, 31, v38
	v_lshlrev_b64 v[38:39], 4, v[38:39]
	v_add_co_u32_e32 v38, vcc, s6, v38
	v_addc_co_u32_e32 v39, vcc, v37, v39, vcc
	global_load_dwordx4 v[53:56], v[38:39], off offset:48
	global_load_dwordx4 v[57:60], v[38:39], off offset:32
	global_load_dwordx4 v[61:64], v[38:39], off offset:16
	global_load_dwordx4 v[65:68], v[38:39], off
	s_waitcnt vmcnt(0)
	v_fma_f64 v[24:25], v[65:66], 0, v[24:25]
	v_fma_f64 v[22:23], v[65:66], 0, v[22:23]
	;; [unrolled: 1-line block ×35, first 2 shown]
	global_load_dwordx4 v[17:20], v[15:16], off offset:112
	global_load_dwordx4 v[22:25], v[15:16], off offset:96
	;; [unrolled: 1-line block ×4, first 2 shown]
	global_load_dword v14, v[11:12], off offset:16
	s_waitcnt vmcnt(2)
	v_fma_f64 v[34:35], v[28:29], v[57:58], v[34:35]
	s_waitcnt vmcnt(1)
	v_fma_f64 v[38:39], v[30:31], v[57:58], v[38:39]
	v_fma_f64 v[30:31], v[30:31], v[59:60], v[41:42]
	;; [unrolled: 1-line block ×9, first 2 shown]
	s_waitcnt vmcnt(0)
	v_subrev_u32_e32 v14, s16, v14
	v_fma_f64 v[41:42], v[59:60], s[10:11], v[41:42]
	v_fma_f64 v[9:10], v[53:54], 0, v[9:10]
	;; [unrolled: 1-line block ×10, first 2 shown]
	v_lshlrev_b32_e32 v41, 2, v14
	v_ashrrev_i32_e32 v42, 31, v41
	v_lshlrev_b64 v[41:42], 4, v[41:42]
	v_add_co_u32_e32 v67, vcc, s6, v41
	v_addc_co_u32_e32 v68, vcc, v37, v42, vcc
	v_fma_f64 v[59:60], v[55:56], s[10:11], v[22:23]
	v_fma_f64 v[22:23], v[53:54], 0, v[32:33]
	;; [unrolled: 1-line block ×9, first 2 shown]
	global_load_dwordx4 v[17:20], v[15:16], off offset:560
	global_load_dwordx4 v[22:25], v[15:16], off offset:544
	;; [unrolled: 1-line block ×7, first 2 shown]
	global_load_dwordx4 v[53:56], v[67:68], off
	s_waitcnt vmcnt(0)
	v_fma_f64 v[38:39], v[30:31], v[53:54], v[38:39]
	v_fma_f64 v[57:58], v[53:54], 0, v[57:58]
	;; [unrolled: 1-line block ×35, first 2 shown]
	global_load_dwordx4 v[17:20], v[15:16], off offset:624
	global_load_dwordx4 v[22:25], v[15:16], off offset:608
	global_load_dwordx4 v[26:29], v[15:16], off offset:592
	global_load_dwordx4 v[30:33], v[15:16], off offset:576
	global_load_dword v14, v[11:12], off offset:32
	v_fma_f64 v[51:52], v[45:46], 0, v[57:58]
	s_waitcnt vmcnt(2)
	v_fma_f64 v[34:35], v[28:29], v[45:46], v[34:35]
	s_waitcnt vmcnt(1)
	v_fma_f64 v[38:39], v[30:31], v[45:46], v[38:39]
	v_fma_f64 v[30:31], v[30:31], v[47:48], v[49:50]
	;; [unrolled: 1-line block ×9, first 2 shown]
	s_waitcnt vmcnt(0)
	v_subrev_u32_e32 v14, s16, v14
	v_fma_f64 v[49:50], v[47:48], s[10:11], v[49:50]
	v_fma_f64 v[9:10], v[41:42], 0, v[9:10]
	;; [unrolled: 1-line block ×17, first 2 shown]
	v_lshlrev_b32_e32 v41, 2, v14
	v_ashrrev_i32_e32 v42, 31, v41
	v_lshlrev_b64 v[41:42], 4, v[41:42]
	v_add_co_u32_e32 v67, vcc, s6, v41
	v_addc_co_u32_e32 v68, vcc, v37, v42, vcc
	v_fma_f64 v[34:35], v[43:44], s[10:11], v[17:18]
	global_load_dwordx4 v[17:20], v[15:16], off offset:1072
	global_load_dwordx4 v[22:25], v[15:16], off offset:1056
	global_load_dwordx4 v[26:29], v[15:16], off offset:1040
	global_load_dwordx4 v[30:33], v[15:16], off offset:1024
	global_load_dwordx4 v[41:44], v[67:68], off offset:48
	global_load_dwordx4 v[45:48], v[67:68], off offset:32
	global_load_dwordx4 v[49:52], v[67:68], off offset:16
	global_load_dwordx4 v[53:56], v[67:68], off
	s_waitcnt vmcnt(0)
	v_fma_f64 v[38:39], v[30:31], v[53:54], v[38:39]
	v_fma_f64 v[57:58], v[53:54], 0, v[57:58]
	;; [unrolled: 1-line block ×35, first 2 shown]
	global_load_dwordx4 v[28:31], v[15:16], off offset:1136
	global_load_dwordx4 v[22:25], v[15:16], off offset:1120
	;; [unrolled: 1-line block ×4, first 2 shown]
	v_fma_f64 v[51:52], v[45:46], 0, v[57:58]
	global_load_dword v11, v[11:12], off offset:48
	s_waitcnt vmcnt(2)
	v_fma_f64 v[26:27], v[17:18], v[47:48], v[26:27]
	s_waitcnt vmcnt(1)
	v_fma_f64 v[38:39], v[32:33], v[45:46], v[38:39]
	v_fma_f64 v[32:33], v[32:33], v[47:48], v[49:50]
	;; [unrolled: 1-line block ×9, first 2 shown]
	s_waitcnt vmcnt(0)
	v_subrev_u32_e32 v11, s16, v11
	v_fma_f64 v[49:50], v[47:48], s[10:11], v[49:50]
	v_lshlrev_b32_e32 v11, 2, v11
	v_fma_f64 v[51:52], v[47:48], s[10:11], v[51:52]
	v_fma_f64 v[53:54], v[47:48], s[10:11], v[17:18]
	;; [unrolled: 1-line block ×7, first 2 shown]
	v_ashrrev_i32_e32 v12, 31, v11
	v_lshlrev_b64 v[11:12], 4, v[11:12]
	v_fma_f64 v[17:18], v[22:23], v[43:44], v[17:18]
	v_fma_f64 v[22:23], v[41:42], 0, v[34:35]
	v_add_co_u32_e32 v11, vcc, s6, v11
	v_addc_co_u32_e32 v12, vcc, v37, v12, vcc
	v_fma_f64 v[9:10], v[43:44], s[10:11], v[9:10]
	v_fma_f64 v[19:20], v[43:44], s[10:11], v[19:20]
	;; [unrolled: 1-line block ×8, first 2 shown]
	global_load_dwordx4 v[32:35], v[15:16], off offset:1584
	global_load_dwordx4 v[41:44], v[15:16], off offset:1568
	;; [unrolled: 1-line block ×7, first 2 shown]
	global_load_dwordx4 v[65:68], v[11:12], off
	s_waitcnt vmcnt(0)
	v_fma_f64 v[9:10], v[49:50], v[65:66], v[9:10]
	v_fma_f64 v[11:12], v[65:66], 0, v[17:18]
	;; [unrolled: 1-line block ×33, first 2 shown]
	global_load_dwordx4 v[9:12], v[15:16], off offset:1648
	global_load_dwordx4 v[17:20], v[15:16], off offset:1632
	;; [unrolled: 1-line block ×4, first 2 shown]
	v_add_co_u32_e32 v15, vcc, 0x800, v15
	v_addc_co_u32_e32 v16, vcc, 0, v16, vcc
	v_cmp_ge_i32_e32 vcc, v13, v40
	s_or_b64 s[8:9], vcc, s[8:9]
	s_waitcnt vmcnt(0)
	v_fma_f64 v[30:31], v[26:27], v[57:58], v[30:31]
	v_fma_f64 v[26:27], v[26:27], v[59:60], v[38:39]
	;; [unrolled: 1-line block ×31, first 2 shown]
	s_andn2_b64 exec, exec, s[8:9]
	s_cbranch_execnz .LBB135_31
; %bb.32:
	s_or_b64 exec, exec, s[8:9]
.LBB135_33:
	s_or_b64 exec, exec, s[0:1]
.LBB135_34:
	s_or_b64 exec, exec, s[2:3]
.LBB135_35:
	v_mov_b32_dpp v15, v26 row_shr:1 row_mask:0xf bank_mask:0xf
	v_mov_b32_dpp v16, v27 row_shr:1 row_mask:0xf bank_mask:0xf
	v_add_f64 v[15:16], v[26:27], v[15:16]
	v_mov_b32_dpp v26, v32 row_shr:1 row_mask:0xf bank_mask:0xf
	v_mov_b32_dpp v27, v33 row_shr:1 row_mask:0xf bank_mask:0xf
	v_add_f64 v[26:27], v[32:33], v[26:27]
	;; [unrolled: 3-line block ×3, first 2 shown]
	v_mov_b32_dpp v32, v34 row_shr:1 row_mask:0xf bank_mask:0xf
	v_mov_b32_dpp v33, v35 row_shr:1 row_mask:0xf bank_mask:0xf
	;; [unrolled: 1-line block ×8, first 2 shown]
	v_add_f64 v[32:33], v[34:35], v[32:33]
	v_mov_b32_dpp v34, v9 row_shr:1 row_mask:0xf bank_mask:0xf
	v_mov_b32_dpp v35, v10 row_shr:1 row_mask:0xf bank_mask:0xf
	v_add_f64 v[11:12], v[28:29], v[11:12]
	v_add_f64 v[13:14], v[24:25], v[13:14]
	;; [unrolled: 1-line block ×4, first 2 shown]
	v_mov_b32_dpp v22, v15 row_shr:2 row_mask:0xf bank_mask:0xf
	v_mov_b32_dpp v23, v16 row_shr:2 row_mask:0xf bank_mask:0xf
	;; [unrolled: 1-line block ×16, first 2 shown]
	v_cmp_eq_u32_e32 vcc, 3, v0
	s_and_b64 exec, exec, vcc
	s_cbranch_execz .LBB135_8
; %bb.36:
	v_add_f64 v[13:14], v[13:14], v[24:25]
	v_add_f64 v[17:18], v[17:18], v[19:20]
	;; [unrolled: 1-line block ×8, first 2 shown]
	v_mul_f64 v[26:27], v[13:14], -v[7:8]
	v_mul_f64 v[13:14], v[5:6], v[13:14]
	v_mul_f64 v[28:29], v[17:18], -v[7:8]
	v_mul_f64 v[30:31], v[5:6], v[17:18]
	;; [unrolled: 2-line block ×4, first 2 shown]
	v_cmp_eq_f64_e32 vcc, 0, v[1:2]
	v_cmp_eq_f64_e64 s[0:1], 0, v[3:4]
	v_fma_f64 v[17:18], v[5:6], v[11:12], v[26:27]
	v_fma_f64 v[19:20], v[7:8], v[11:12], v[13:14]
	;; [unrolled: 1-line block ×8, first 2 shown]
	s_load_dwordx2 s[2:3], s[4:5], 0x60
	s_and_b64 s[0:1], vcc, s[0:1]
	v_lshlrev_b32_e32 v21, 2, v21
	s_and_saveexec_b64 s[4:5], s[0:1]
	s_xor_b64 s[0:1], exec, s[4:5]
	s_cbranch_execz .LBB135_38
; %bb.37:
	v_ashrrev_i32_e32 v22, 31, v21
	v_lshlrev_b64 v[0:1], 4, v[21:22]
	s_waitcnt lgkmcnt(0)
	v_mov_b32_e32 v2, s3
	v_add_co_u32_e32 v0, vcc, s2, v0
	v_addc_co_u32_e32 v1, vcc, v2, v1, vcc
	global_store_dwordx4 v[0:1], v[17:20], off
	global_store_dwordx4 v[0:1], v[13:16], off offset:16
	global_store_dwordx4 v[0:1], v[9:12], off offset:32
	;; [unrolled: 1-line block ×3, first 2 shown]
                                        ; implicit-def: $vgpr3_vgpr4
                                        ; implicit-def: $vgpr17_vgpr18
                                        ; implicit-def: $vgpr21
                                        ; implicit-def: $vgpr13_vgpr14
                                        ; implicit-def: $vgpr9_vgpr10
                                        ; implicit-def: $vgpr5_vgpr6
.LBB135_38:
	s_andn2_saveexec_b64 s[0:1], s[0:1]
	s_cbranch_execz .LBB135_8
; %bb.39:
	v_ashrrev_i32_e32 v22, 31, v21
	v_lshlrev_b64 v[21:22], 4, v[21:22]
	s_waitcnt lgkmcnt(0)
	v_mov_b32_e32 v0, s3
	v_add_co_u32_e32 v37, vcc, s2, v21
	v_addc_co_u32_e32 v38, vcc, v0, v22, vcc
	global_load_dwordx4 v[21:24], v[37:38], off
	global_load_dwordx4 v[25:28], v[37:38], off offset:16
	global_load_dwordx4 v[29:32], v[37:38], off offset:32
	;; [unrolled: 1-line block ×3, first 2 shown]
	s_waitcnt vmcnt(3)
	v_fma_f64 v[17:18], v[1:2], v[21:22], v[17:18]
	v_fma_f64 v[19:20], v[3:4], v[21:22], v[19:20]
	s_waitcnt vmcnt(2)
	v_fma_f64 v[13:14], v[1:2], v[25:26], v[13:14]
	v_fma_f64 v[15:16], v[3:4], v[25:26], v[15:16]
	;; [unrolled: 3-line block ×4, first 2 shown]
	v_fma_f64 v[5:6], -v[3:4], v[23:24], v[17:18]
	v_fma_f64 v[7:8], v[1:2], v[23:24], v[19:20]
	v_fma_f64 v[9:10], -v[3:4], v[27:28], v[13:14]
	v_fma_f64 v[11:12], v[1:2], v[27:28], v[15:16]
	v_fma_f64 v[13:14], -v[3:4], v[31:32], v[21:22]
	v_fma_f64 v[15:16], v[1:2], v[31:32], v[25:26]
	v_fma_f64 v[17:18], -v[3:4], v[35:36], v[29:30]
	v_fma_f64 v[19:20], v[1:2], v[35:36], v[33:34]
	global_store_dwordx4 v[37:38], v[5:8], off
	global_store_dwordx4 v[37:38], v[9:12], off offset:16
	global_store_dwordx4 v[37:38], v[13:16], off offset:32
	;; [unrolled: 1-line block ×3, first 2 shown]
	s_endpgm
	.section	.rodata,"a",@progbits
	.p2align	6, 0x0
	.amdhsa_kernel _ZN9rocsparseL18bsrxmvn_4x4_kernelILj128ELj4E21rocsparse_complex_numIdEiidS2_S2_EEvT3_20rocsparse_direction_NS_24const_host_device_scalarIT1_EES3_PKS3_PKT2_SC_S9_PKT4_PKT5_S7_PT6_21rocsparse_index_base_b
		.amdhsa_group_segment_fixed_size 0
		.amdhsa_private_segment_fixed_size 0
		.amdhsa_kernarg_size 112
		.amdhsa_user_sgpr_count 6
		.amdhsa_user_sgpr_private_segment_buffer 1
		.amdhsa_user_sgpr_dispatch_ptr 0
		.amdhsa_user_sgpr_queue_ptr 0
		.amdhsa_user_sgpr_kernarg_segment_ptr 1
		.amdhsa_user_sgpr_dispatch_id 0
		.amdhsa_user_sgpr_flat_scratch_init 0
		.amdhsa_user_sgpr_private_segment_size 0
		.amdhsa_uses_dynamic_stack 0
		.amdhsa_system_sgpr_private_segment_wavefront_offset 0
		.amdhsa_system_sgpr_workgroup_id_x 1
		.amdhsa_system_sgpr_workgroup_id_y 0
		.amdhsa_system_sgpr_workgroup_id_z 0
		.amdhsa_system_sgpr_workgroup_info 0
		.amdhsa_system_vgpr_workitem_id 0
		.amdhsa_next_free_vgpr 85
		.amdhsa_next_free_sgpr 20
		.amdhsa_reserve_vcc 1
		.amdhsa_reserve_flat_scratch 0
		.amdhsa_float_round_mode_32 0
		.amdhsa_float_round_mode_16_64 0
		.amdhsa_float_denorm_mode_32 3
		.amdhsa_float_denorm_mode_16_64 3
		.amdhsa_dx10_clamp 1
		.amdhsa_ieee_mode 1
		.amdhsa_fp16_overflow 0
		.amdhsa_exception_fp_ieee_invalid_op 0
		.amdhsa_exception_fp_denorm_src 0
		.amdhsa_exception_fp_ieee_div_zero 0
		.amdhsa_exception_fp_ieee_overflow 0
		.amdhsa_exception_fp_ieee_underflow 0
		.amdhsa_exception_fp_ieee_inexact 0
		.amdhsa_exception_int_div_zero 0
	.end_amdhsa_kernel
	.section	.text._ZN9rocsparseL18bsrxmvn_4x4_kernelILj128ELj4E21rocsparse_complex_numIdEiidS2_S2_EEvT3_20rocsparse_direction_NS_24const_host_device_scalarIT1_EES3_PKS3_PKT2_SC_S9_PKT4_PKT5_S7_PT6_21rocsparse_index_base_b,"axG",@progbits,_ZN9rocsparseL18bsrxmvn_4x4_kernelILj128ELj4E21rocsparse_complex_numIdEiidS2_S2_EEvT3_20rocsparse_direction_NS_24const_host_device_scalarIT1_EES3_PKS3_PKT2_SC_S9_PKT4_PKT5_S7_PT6_21rocsparse_index_base_b,comdat
.Lfunc_end135:
	.size	_ZN9rocsparseL18bsrxmvn_4x4_kernelILj128ELj4E21rocsparse_complex_numIdEiidS2_S2_EEvT3_20rocsparse_direction_NS_24const_host_device_scalarIT1_EES3_PKS3_PKT2_SC_S9_PKT4_PKT5_S7_PT6_21rocsparse_index_base_b, .Lfunc_end135-_ZN9rocsparseL18bsrxmvn_4x4_kernelILj128ELj4E21rocsparse_complex_numIdEiidS2_S2_EEvT3_20rocsparse_direction_NS_24const_host_device_scalarIT1_EES3_PKS3_PKT2_SC_S9_PKT4_PKT5_S7_PT6_21rocsparse_index_base_b
                                        ; -- End function
	.set _ZN9rocsparseL18bsrxmvn_4x4_kernelILj128ELj4E21rocsparse_complex_numIdEiidS2_S2_EEvT3_20rocsparse_direction_NS_24const_host_device_scalarIT1_EES3_PKS3_PKT2_SC_S9_PKT4_PKT5_S7_PT6_21rocsparse_index_base_b.num_vgpr, 85
	.set _ZN9rocsparseL18bsrxmvn_4x4_kernelILj128ELj4E21rocsparse_complex_numIdEiidS2_S2_EEvT3_20rocsparse_direction_NS_24const_host_device_scalarIT1_EES3_PKS3_PKT2_SC_S9_PKT4_PKT5_S7_PT6_21rocsparse_index_base_b.num_agpr, 0
	.set _ZN9rocsparseL18bsrxmvn_4x4_kernelILj128ELj4E21rocsparse_complex_numIdEiidS2_S2_EEvT3_20rocsparse_direction_NS_24const_host_device_scalarIT1_EES3_PKS3_PKT2_SC_S9_PKT4_PKT5_S7_PT6_21rocsparse_index_base_b.numbered_sgpr, 20
	.set _ZN9rocsparseL18bsrxmvn_4x4_kernelILj128ELj4E21rocsparse_complex_numIdEiidS2_S2_EEvT3_20rocsparse_direction_NS_24const_host_device_scalarIT1_EES3_PKS3_PKT2_SC_S9_PKT4_PKT5_S7_PT6_21rocsparse_index_base_b.num_named_barrier, 0
	.set _ZN9rocsparseL18bsrxmvn_4x4_kernelILj128ELj4E21rocsparse_complex_numIdEiidS2_S2_EEvT3_20rocsparse_direction_NS_24const_host_device_scalarIT1_EES3_PKS3_PKT2_SC_S9_PKT4_PKT5_S7_PT6_21rocsparse_index_base_b.private_seg_size, 0
	.set _ZN9rocsparseL18bsrxmvn_4x4_kernelILj128ELj4E21rocsparse_complex_numIdEiidS2_S2_EEvT3_20rocsparse_direction_NS_24const_host_device_scalarIT1_EES3_PKS3_PKT2_SC_S9_PKT4_PKT5_S7_PT6_21rocsparse_index_base_b.uses_vcc, 1
	.set _ZN9rocsparseL18bsrxmvn_4x4_kernelILj128ELj4E21rocsparse_complex_numIdEiidS2_S2_EEvT3_20rocsparse_direction_NS_24const_host_device_scalarIT1_EES3_PKS3_PKT2_SC_S9_PKT4_PKT5_S7_PT6_21rocsparse_index_base_b.uses_flat_scratch, 0
	.set _ZN9rocsparseL18bsrxmvn_4x4_kernelILj128ELj4E21rocsparse_complex_numIdEiidS2_S2_EEvT3_20rocsparse_direction_NS_24const_host_device_scalarIT1_EES3_PKS3_PKT2_SC_S9_PKT4_PKT5_S7_PT6_21rocsparse_index_base_b.has_dyn_sized_stack, 0
	.set _ZN9rocsparseL18bsrxmvn_4x4_kernelILj128ELj4E21rocsparse_complex_numIdEiidS2_S2_EEvT3_20rocsparse_direction_NS_24const_host_device_scalarIT1_EES3_PKS3_PKT2_SC_S9_PKT4_PKT5_S7_PT6_21rocsparse_index_base_b.has_recursion, 0
	.set _ZN9rocsparseL18bsrxmvn_4x4_kernelILj128ELj4E21rocsparse_complex_numIdEiidS2_S2_EEvT3_20rocsparse_direction_NS_24const_host_device_scalarIT1_EES3_PKS3_PKT2_SC_S9_PKT4_PKT5_S7_PT6_21rocsparse_index_base_b.has_indirect_call, 0
	.section	.AMDGPU.csdata,"",@progbits
; Kernel info:
; codeLenInByte = 8916
; TotalNumSgprs: 24
; NumVgprs: 85
; ScratchSize: 0
; MemoryBound: 0
; FloatMode: 240
; IeeeMode: 1
; LDSByteSize: 0 bytes/workgroup (compile time only)
; SGPRBlocks: 2
; VGPRBlocks: 21
; NumSGPRsForWavesPerEU: 24
; NumVGPRsForWavesPerEU: 85
; Occupancy: 2
; WaveLimiterHint : 1
; COMPUTE_PGM_RSRC2:SCRATCH_EN: 0
; COMPUTE_PGM_RSRC2:USER_SGPR: 6
; COMPUTE_PGM_RSRC2:TRAP_HANDLER: 0
; COMPUTE_PGM_RSRC2:TGID_X_EN: 1
; COMPUTE_PGM_RSRC2:TGID_Y_EN: 0
; COMPUTE_PGM_RSRC2:TGID_Z_EN: 0
; COMPUTE_PGM_RSRC2:TIDIG_COMP_CNT: 0
	.section	.text._ZN9rocsparseL18bsrxmvn_4x4_kernelILj128ELj8E21rocsparse_complex_numIdEiidS2_S2_EEvT3_20rocsparse_direction_NS_24const_host_device_scalarIT1_EES3_PKS3_PKT2_SC_S9_PKT4_PKT5_S7_PT6_21rocsparse_index_base_b,"axG",@progbits,_ZN9rocsparseL18bsrxmvn_4x4_kernelILj128ELj8E21rocsparse_complex_numIdEiidS2_S2_EEvT3_20rocsparse_direction_NS_24const_host_device_scalarIT1_EES3_PKS3_PKT2_SC_S9_PKT4_PKT5_S7_PT6_21rocsparse_index_base_b,comdat
	.globl	_ZN9rocsparseL18bsrxmvn_4x4_kernelILj128ELj8E21rocsparse_complex_numIdEiidS2_S2_EEvT3_20rocsparse_direction_NS_24const_host_device_scalarIT1_EES3_PKS3_PKT2_SC_S9_PKT4_PKT5_S7_PT6_21rocsparse_index_base_b ; -- Begin function _ZN9rocsparseL18bsrxmvn_4x4_kernelILj128ELj8E21rocsparse_complex_numIdEiidS2_S2_EEvT3_20rocsparse_direction_NS_24const_host_device_scalarIT1_EES3_PKS3_PKT2_SC_S9_PKT4_PKT5_S7_PT6_21rocsparse_index_base_b
	.p2align	8
	.type	_ZN9rocsparseL18bsrxmvn_4x4_kernelILj128ELj8E21rocsparse_complex_numIdEiidS2_S2_EEvT3_20rocsparse_direction_NS_24const_host_device_scalarIT1_EES3_PKS3_PKT2_SC_S9_PKT4_PKT5_S7_PT6_21rocsparse_index_base_b,@function
_ZN9rocsparseL18bsrxmvn_4x4_kernelILj128ELj8E21rocsparse_complex_numIdEiidS2_S2_EEvT3_20rocsparse_direction_NS_24const_host_device_scalarIT1_EES3_PKS3_PKT2_SC_S9_PKT4_PKT5_S7_PT6_21rocsparse_index_base_b: ; @_ZN9rocsparseL18bsrxmvn_4x4_kernelILj128ELj8E21rocsparse_complex_numIdEiidS2_S2_EEvT3_20rocsparse_direction_NS_24const_host_device_scalarIT1_EES3_PKS3_PKT2_SC_S9_PKT4_PKT5_S7_PT6_21rocsparse_index_base_b
; %bb.0:
	s_load_dwordx2 s[0:1], s[4:5], 0x8
	s_load_dwordx2 s[16:17], s[4:5], 0x68
	s_add_u32 s7, s4, 8
	s_addc_u32 s8, s5, 0
	s_add_u32 s9, s4, 0x50
	s_addc_u32 s10, s5, 0
	s_waitcnt lgkmcnt(0)
	s_bitcmp1_b32 s17, 0
	s_cselect_b32 s1, s8, s1
	s_cselect_b32 s0, s7, s0
	v_mov_b32_e32 v1, s0
	v_mov_b32_e32 v2, s1
	flat_load_dwordx4 v[5:8], v[1:2]
	s_load_dwordx2 s[2:3], s[4:5], 0x50
	s_waitcnt lgkmcnt(0)
	s_cselect_b32 s0, s10, s3
	s_cselect_b32 s1, s9, s2
	v_mov_b32_e32 v1, s1
	v_mov_b32_e32 v2, s0
	flat_load_dwordx4 v[1:4], v[1:2]
	s_waitcnt vmcnt(0)
	v_cmp_eq_f64_e32 vcc, 0, v[5:6]
	v_cmp_eq_f64_e64 s[0:1], 0, v[7:8]
	s_and_b64 s[8:9], vcc, s[0:1]
	s_mov_b64 s[0:1], -1
	s_and_saveexec_b64 s[2:3], s[8:9]
	s_cbranch_execz .LBB136_2
; %bb.1:
	s_waitcnt lgkmcnt(0)
	v_cmp_neq_f64_e32 vcc, 1.0, v[1:2]
	v_cmp_neq_f64_e64 s[0:1], 0, v[3:4]
	s_or_b64 s[0:1], vcc, s[0:1]
	s_orn2_b64 s[0:1], s[0:1], exec
.LBB136_2:
	s_or_b64 exec, exec, s[2:3]
	s_and_saveexec_b64 s[2:3], s[0:1]
	s_cbranch_execz .LBB136_8
; %bb.3:
	s_load_dwordx2 s[8:9], s[4:5], 0x20
	s_load_dwordx2 s[0:1], s[4:5], 0x0
	v_lshrrev_b32_e32 v9, 3, v0
	v_lshl_or_b32 v21, s6, 4, v9
	s_mov_b64 s[2:3], 0
	s_waitcnt lgkmcnt(0)
	s_cmp_lg_u64 s[8:9], 0
	s_cbranch_scc0 .LBB136_9
; %bb.4:
	s_load_dword s6, s[4:5], 0x18
                                        ; implicit-def: $vgpr9
	s_waitcnt lgkmcnt(0)
	v_cmp_gt_i32_e32 vcc, s6, v21
	s_and_saveexec_b64 s[6:7], vcc
	s_xor_b64 s[6:7], exec, s[6:7]
	s_cbranch_execz .LBB136_6
; %bb.5:
	v_ashrrev_i32_e32 v22, 31, v21
	v_lshlrev_b64 v[9:10], 2, v[21:22]
	v_mov_b32_e32 v11, s9
	v_add_co_u32_e32 v9, vcc, s8, v9
	v_addc_co_u32_e32 v10, vcc, v11, v10, vcc
	global_load_dword v9, v[9:10], off
	s_mov_b64 s[2:3], exec
	s_waitcnt vmcnt(0)
	v_subrev_u32_e32 v9, s16, v9
.LBB136_6:
	s_or_b64 exec, exec, s[6:7]
	s_branch .LBB136_10
.LBB136_7:
	v_cmp_gt_i32_e32 vcc, s0, v21
	s_andn2_b64 s[2:3], s[2:3], exec
	s_and_b64 s[6:7], vcc, exec
	s_or_b64 s[2:3], s[2:3], s[6:7]
	s_and_b64 exec, exec, s[2:3]
	s_cbranch_execnz .LBB136_11
.LBB136_8:
	s_endpgm
.LBB136_9:
                                        ; implicit-def: $vgpr9
	s_cbranch_execnz .LBB136_7
.LBB136_10:
	v_mov_b32_e32 v21, v9
	s_and_b64 exec, exec, s[2:3]
	s_cbranch_execz .LBB136_8
.LBB136_11:
	s_load_dwordx8 s[8:15], s[4:5], 0x28
	v_ashrrev_i32_e32 v22, 31, v21
	v_lshlrev_b64 v[9:10], 2, v[21:22]
	v_and_b32_e32 v0, 7, v0
	s_load_dwordx2 s[6:7], s[4:5], 0x48
	s_waitcnt lgkmcnt(0)
	v_mov_b32_e32 v12, s9
	v_add_co_u32_e32 v11, vcc, s8, v9
	v_addc_co_u32_e32 v12, vcc, v12, v10, vcc
	global_load_dword v41, v[11:12], off
	v_add_co_u32_e32 v11, vcc, 4, v11
	v_addc_co_u32_e32 v12, vcc, 0, v12, vcc
	v_mov_b32_e32 v13, s11
	v_add_co_u32_e32 v9, vcc, s10, v9
	s_cmp_eq_u64 s[10:11], 0
	v_addc_co_u32_e32 v10, vcc, v13, v10, vcc
	s_cselect_b64 vcc, -1, 0
	v_cndmask_b32_e32 v10, v10, v12, vcc
	v_cndmask_b32_e32 v9, v9, v11, vcc
	global_load_dword v9, v[9:10], off
	v_mov_b32_e32 v11, s15
	s_cmp_eq_u32 s1, 1
	s_waitcnt vmcnt(1)
	v_subrev_u32_e32 v10, s16, v41
	v_add_u32_e32 v13, v10, v0
	v_ashrrev_i32_e32 v14, 31, v13
	s_waitcnt vmcnt(0)
	v_subrev_u32_e32 v40, s16, v9
	v_lshlrev_b64 v[9:10], 7, v[13:14]
	v_cmp_lt_i32_e64 s[0:1], v13, v40
	v_add_co_u32_e32 v15, vcc, s14, v9
	v_addc_co_u32_e32 v16, vcc, v11, v10, vcc
	s_cbranch_scc1 .LBB136_23
; %bb.12:
	v_mov_b32_e32 v24, 0
	v_mov_b32_e32 v28, 0
	;; [unrolled: 1-line block ×16, first 2 shown]
	s_and_saveexec_b64 s[8:9], s[0:1]
	s_cbranch_execz .LBB136_22
; %bb.13:
	v_add_u32_e32 v9, v41, v0
	v_subrev_u32_e32 v9, s16, v9
	v_add_u32_e32 v9, 8, v9
	v_max_i32_e32 v9, v9, v40
	v_not_b32_e32 v10, v41
	v_add3_u32 v9, s16, v9, v10
	v_sub_u32_e32 v11, v9, v0
	v_and_b32_e32 v9, 24, v11
	v_cmp_ne_u32_e32 vcc, 24, v9
	v_mov_b32_e32 v34, 0
	v_mov_b32_e32 v9, 0
	;; [unrolled: 1-line block ×19, first 2 shown]
	s_and_saveexec_b64 s[10:11], vcc
	s_cbranch_execz .LBB136_17
; %bb.14:
	v_lshrrev_b32_e32 v9, 3, v11
	v_add_u32_e32 v9, 1, v9
	v_and_b32_e32 v9, 3, v9
	v_sub_u32_e32 v12, 0, v9
	v_mov_b32_e32 v24, 0
	s_mov_b32 s18, 0
	v_mov_b32_e32 v28, 0
	v_mov_b32_e32 v22, 0
	;; [unrolled: 1-line block ×9, first 2 shown]
	s_mov_b64 s[14:15], 0
	v_mov_b32_e32 v14, s13
	v_mov_b32_e32 v36, s7
	s_brev_b32 s19, 1
	v_mov_b32_e32 v17, v13
	v_mov_b32_e32 v29, 0
	;; [unrolled: 1-line block ×9, first 2 shown]
.LBB136_15:                             ; =>This Inner Loop Header: Depth=1
	v_ashrrev_i32_e32 v18, 31, v17
	v_lshlrev_b64 v[37:38], 2, v[17:18]
	global_load_dwordx4 v[42:45], v[19:20], off
	global_load_dwordx4 v[50:53], v[19:20], off offset:32
	v_add_co_u32_e32 v37, vcc, s12, v37
	v_addc_co_u32_e32 v38, vcc, v14, v38, vcc
	global_load_dword v18, v[37:38], off
	v_add_co_u32_e64 v12, s[2:3], 1, v12
	s_or_b64 s[14:15], s[2:3], s[14:15]
	v_add_u32_e32 v17, 8, v17
	s_waitcnt vmcnt(0)
	v_subrev_u32_e32 v18, s16, v18
	v_lshlrev_b32_e32 v37, 2, v18
	v_ashrrev_i32_e32 v38, 31, v37
	v_lshlrev_b64 v[37:38], 4, v[37:38]
	v_add_co_u32_e32 v37, vcc, s6, v37
	v_addc_co_u32_e32 v38, vcc, v36, v38, vcc
	global_load_dwordx4 v[46:49], v[37:38], off
	s_waitcnt vmcnt(0)
	v_fma_f64 v[56:57], v[46:47], 0, v[24:25]
	v_fma_f64 v[60:61], v[46:47], 0, v[22:23]
	global_load_dwordx4 v[22:25], v[19:20], off offset:64
	v_fma_f64 v[54:55], v[42:43], v[46:47], v[28:29]
	v_fma_f64 v[58:59], v[50:51], v[46:47], v[26:27]
	;; [unrolled: 1-line block ×3, first 2 shown]
	global_load_dwordx4 v[26:29], v[19:20], off offset:96
	v_fma_f64 v[9:10], v[46:47], 0, v[9:10]
	v_fma_f64 v[42:43], v[42:43], v[48:49], v[56:57]
	;; [unrolled: 1-line block ×3, first 2 shown]
	s_waitcnt vmcnt(1)
	v_fma_f64 v[32:33], v[22:23], v[46:47], v[32:33]
	v_fma_f64 v[22:23], v[22:23], v[48:49], v[30:31]
	s_waitcnt vmcnt(0)
	v_fma_f64 v[34:35], v[26:27], v[46:47], v[34:35]
	v_fma_f64 v[46:47], v[48:49], s[18:19], v[54:55]
	;; [unrolled: 1-line block ×5, first 2 shown]
	global_load_dwordx4 v[30:33], v[37:38], off offset:16
	v_fma_f64 v[34:35], v[48:49], s[18:19], v[34:35]
	s_waitcnt vmcnt(0)
	v_fma_f64 v[26:27], v[30:31], 0, v[42:43]
	v_fma_f64 v[42:43], v[44:45], v[30:31], v[46:47]
	;; [unrolled: 1-line block ×12, first 2 shown]
	global_load_dwordx4 v[22:25], v[19:20], off offset:16
	v_fma_f64 v[34:35], v[32:33], s[18:19], v[42:43]
	v_fma_f64 v[42:43], v[32:33], s[18:19], v[46:47]
	;; [unrolled: 1-line block ×4, first 2 shown]
	global_load_dwordx4 v[26:29], v[37:38], off offset:32
	global_load_dwordx4 v[30:33], v[19:20], off offset:48
	s_waitcnt vmcnt(1)
	v_fma_f64 v[54:55], v[26:27], 0, v[44:45]
	s_waitcnt vmcnt(0)
	v_fma_f64 v[56:57], v[30:31], v[26:27], v[42:43]
	global_load_dwordx4 v[42:45], v[19:20], off offset:80
	v_fma_f64 v[58:59], v[26:27], 0, v[48:49]
	v_fma_f64 v[34:35], v[22:23], v[26:27], v[34:35]
	;; [unrolled: 1-line block ×6, first 2 shown]
	s_waitcnt vmcnt(0)
	v_fma_f64 v[60:61], v[42:43], v[26:27], v[46:47]
	global_load_dwordx4 v[46:49], v[19:20], off offset:112
	v_fma_f64 v[42:43], v[42:43], v[28:29], v[50:51]
	v_add_co_u32_e32 v19, vcc, 0x400, v19
	v_addc_co_u32_e32 v20, vcc, 0, v20, vcc
	v_fma_f64 v[54:55], v[28:29], s[18:19], v[60:61]
	s_waitcnt vmcnt(0)
	v_fma_f64 v[52:53], v[46:47], v[26:27], v[52:53]
	v_fma_f64 v[26:27], v[28:29], s[18:19], v[34:35]
	;; [unrolled: 1-line block ×5, first 2 shown]
	global_load_dwordx4 v[50:53], v[37:38], off offset:48
	s_waitcnt vmcnt(0)
	v_fma_f64 v[22:23], v[50:51], 0, v[22:23]
	v_fma_f64 v[26:27], v[24:25], v[50:51], v[26:27]
	;; [unrolled: 1-line block ×16, first 2 shown]
	s_andn2_b64 exec, exec, s[14:15]
	s_cbranch_execnz .LBB136_15
; %bb.16:
	s_or_b64 exec, exec, s[14:15]
.LBB136_17:
	s_or_b64 exec, exec, s[10:11]
	v_cmp_lt_u32_e32 vcc, 23, v11
	s_and_saveexec_b64 s[2:3], vcc
	s_cbranch_execz .LBB136_21
; %bb.18:
	s_mov_b32 s14, 0
	s_mov_b64 s[10:11], 0
	v_mov_b32_e32 v14, s13
	s_brev_b32 s15, 1
	v_mov_b32_e32 v42, s7
.LBB136_19:                             ; =>This Inner Loop Header: Depth=1
	v_ashrrev_i32_e32 v18, 31, v17
	v_lshlrev_b64 v[11:12], 2, v[17:18]
	v_add_u32_e32 v17, 32, v17
	v_add_co_u32_e32 v11, vcc, s12, v11
	v_addc_co_u32_e32 v12, vcc, v14, v12, vcc
	global_load_dword v18, v[11:12], off
	global_load_dwordx4 v[36:39], v[19:20], off offset:48
	global_load_dwordx4 v[43:46], v[19:20], off offset:32
	global_load_dwordx4 v[47:50], v[19:20], off offset:16
	global_load_dwordx4 v[51:54], v[19:20], off
	s_waitcnt vmcnt(4)
	v_subrev_u32_e32 v18, s16, v18
	v_lshlrev_b32_e32 v55, 2, v18
	v_ashrrev_i32_e32 v56, 31, v55
	v_lshlrev_b64 v[55:56], 4, v[55:56]
	v_add_co_u32_e32 v71, vcc, s6, v55
	v_addc_co_u32_e32 v72, vcc, v42, v56, vcc
	global_load_dwordx4 v[55:58], v[71:72], off offset:48
	global_load_dwordx4 v[59:62], v[71:72], off offset:32
	;; [unrolled: 1-line block ×3, first 2 shown]
	global_load_dwordx4 v[67:70], v[71:72], off
	s_waitcnt vmcnt(0)
	v_fma_f64 v[24:25], v[67:68], 0, v[24:25]
	v_fma_f64 v[28:29], v[51:52], v[67:68], v[28:29]
	;; [unrolled: 1-line block ×34, first 2 shown]
	global_load_dwordx4 v[22:25], v[19:20], off offset:112
	global_load_dwordx4 v[26:29], v[19:20], off offset:96
	;; [unrolled: 1-line block ×4, first 2 shown]
	global_load_dword v18, v[11:12], off offset:32
	s_waitcnt vmcnt(3)
	v_fma_f64 v[9:10], v[26:27], v[69:70], v[9:10]
	s_waitcnt vmcnt(1)
	v_fma_f64 v[32:33], v[43:44], v[67:68], v[32:33]
	v_fma_f64 v[30:31], v[43:44], v[69:70], v[30:31]
	s_waitcnt vmcnt(0)
	v_subrev_u32_e32 v18, s16, v18
	v_lshlrev_b32_e32 v43, 2, v18
	v_ashrrev_i32_e32 v44, 31, v43
	v_lshlrev_b64 v[43:44], 4, v[43:44]
	v_fma_f64 v[9:10], v[63:64], 0, v[9:10]
	v_fma_f64 v[32:33], v[69:70], s[14:15], v[32:33]
	;; [unrolled: 1-line block ×25, first 2 shown]
	v_add_co_u32_e32 v61, vcc, s6, v43
	v_addc_co_u32_e32 v62, vcc, v42, v44, vcc
	v_fma_f64 v[22:23], v[24:25], v[55:56], v[26:27]
	v_fma_f64 v[59:60], v[57:58], s[14:15], v[22:23]
	global_load_dwordx4 v[22:25], v[19:20], off offset:1072
	global_load_dwordx4 v[26:29], v[19:20], off offset:1056
	;; [unrolled: 1-line block ×7, first 2 shown]
	global_load_dwordx4 v[55:58], v[61:62], off
	s_waitcnt vmcnt(0)
	v_fma_f64 v[63:64], v[55:56], 0, v[73:74]
	v_fma_f64 v[61:62], v[34:35], v[55:56], v[71:72]
	v_fma_f64 v[38:39], v[55:56], 0, v[38:39]
	v_fma_f64 v[9:10], v[55:56], 0, v[9:10]
	v_fma_f64 v[34:35], v[34:35], v[57:58], v[63:64]
	v_fma_f64 v[61:62], v[57:58], s[14:15], v[61:62]
	v_fma_f64 v[34:35], v[51:52], 0, v[34:35]
	v_fma_f64 v[61:62], v[36:37], v[51:52], v[61:62]
	v_fma_f64 v[34:35], v[36:37], v[53:54], v[34:35]
	v_fma_f64 v[61:62], v[53:54], s[14:15], v[61:62]
	v_fma_f64 v[34:35], v[47:48], 0, v[34:35]
	v_fma_f64 v[36:37], v[30:31], v[47:48], v[61:62]
	v_fma_f64 v[30:31], v[30:31], v[49:50], v[34:35]
	v_fma_f64 v[36:37], v[49:50], s[14:15], v[36:37]
	v_fma_f64 v[30:31], v[43:44], 0, v[30:31]
	v_fma_f64 v[34:35], v[32:33], v[43:44], v[36:37]
	v_fma_f64 v[63:64], v[32:33], v[45:46], v[30:31]
	v_fma_f64 v[30:31], v[26:27], v[55:56], v[75:76]
	v_fma_f64 v[32:33], v[55:56], 0, v[77:78]
	v_fma_f64 v[61:62], v[45:46], s[14:15], v[34:35]
	v_fma_f64 v[30:31], v[57:58], s[14:15], v[30:31]
	v_fma_f64 v[26:27], v[26:27], v[57:58], v[32:33]
	v_fma_f64 v[30:31], v[28:29], v[51:52], v[30:31]
	v_fma_f64 v[26:27], v[51:52], 0, v[26:27]
	v_fma_f64 v[30:31], v[53:54], s[14:15], v[30:31]
	v_fma_f64 v[26:27], v[28:29], v[53:54], v[26:27]
	v_fma_f64 v[28:29], v[22:23], v[47:48], v[30:31]
	v_fma_f64 v[26:27], v[47:48], 0, v[26:27]
	v_fma_f64 v[28:29], v[49:50], s[14:15], v[28:29]
	v_fma_f64 v[22:23], v[22:23], v[49:50], v[26:27]
	v_fma_f64 v[26:27], v[24:25], v[43:44], v[28:29]
	v_fma_f64 v[22:23], v[43:44], 0, v[22:23]
	v_fma_f64 v[65:66], v[45:46], s[14:15], v[26:27]
	v_fma_f64 v[67:68], v[24:25], v[45:46], v[22:23]
	global_load_dwordx4 v[22:25], v[19:20], off offset:1136
	global_load_dwordx4 v[26:29], v[19:20], off offset:1120
	;; [unrolled: 1-line block ×4, first 2 shown]
	global_load_dword v18, v[11:12], off offset:64
	s_waitcnt vmcnt(3)
	v_fma_f64 v[9:10], v[26:27], v[57:58], v[9:10]
	s_waitcnt vmcnt(1)
	v_fma_f64 v[69:70], v[34:35], v[55:56], v[79:80]
	v_fma_f64 v[34:35], v[34:35], v[57:58], v[38:39]
	s_waitcnt vmcnt(0)
	v_subrev_u32_e32 v18, s16, v18
	v_fma_f64 v[9:10], v[51:52], 0, v[9:10]
	v_fma_f64 v[69:70], v[57:58], s[14:15], v[69:70]
	;; [unrolled: 1-line block ×12, first 2 shown]
	v_lshlrev_b32_e32 v38, 2, v18
	v_ashrrev_i32_e32 v39, 31, v38
	v_lshlrev_b64 v[38:39], 4, v[38:39]
	v_fma_f64 v[9:10], v[43:44], 0, v[9:10]
	v_add_co_u32_e32 v38, vcc, s6, v38
	v_fma_f64 v[30:31], v[43:44], 0, v[30:31]
	v_fma_f64 v[36:37], v[49:50], s[14:15], v[36:37]
	v_addc_co_u32_e32 v39, vcc, v42, v39, vcc
	v_fma_f64 v[9:10], v[24:25], v[45:46], v[9:10]
	v_fma_f64 v[71:72], v[32:33], v[45:46], v[30:31]
	;; [unrolled: 1-line block ×12, first 2 shown]
	global_load_dwordx4 v[26:29], v[19:20], off offset:2096
	global_load_dwordx4 v[30:33], v[19:20], off offset:2080
	;; [unrolled: 1-line block ×7, first 2 shown]
	global_load_dwordx4 v[55:58], v[38:39], off
	s_waitcnt vmcnt(0)
	v_fma_f64 v[38:39], v[34:35], v[55:56], v[61:62]
	v_fma_f64 v[59:60], v[55:56], 0, v[63:64]
	;; [unrolled: 1-line block ×33, first 2 shown]
	global_load_dwordx4 v[59:62], v[19:20], off offset:2160
	global_load_dwordx4 v[34:37], v[19:20], off offset:2144
	;; [unrolled: 1-line block ×4, first 2 shown]
	v_fma_f64 v[26:27], v[45:46], s[14:15], v[26:27]
	s_waitcnt vmcnt(2)
	v_fma_f64 v[9:10], v[34:35], v[57:58], v[9:10]
	s_waitcnt vmcnt(0)
	v_fma_f64 v[32:33], v[63:64], v[55:56], v[69:70]
	v_fma_f64 v[63:64], v[63:64], v[57:58], v[67:68]
	;; [unrolled: 1-line block ×21, first 2 shown]
	global_load_dword v9, v[11:12], off offset:96
	v_fma_f64 v[32:33], v[45:46], s[14:15], v[32:33]
	v_fma_f64 v[28:29], v[57:58], s[14:15], v[28:29]
	;; [unrolled: 1-line block ×8, first 2 shown]
	global_load_dwordx4 v[43:46], v[19:20], off offset:3120
	global_load_dwordx4 v[47:50], v[19:20], off offset:3104
	;; [unrolled: 1-line block ×4, first 2 shown]
	s_waitcnt vmcnt(4)
	v_subrev_u32_e32 v9, s16, v9
	v_lshlrev_b32_e32 v9, 2, v9
	v_ashrrev_i32_e32 v10, 31, v9
	v_lshlrev_b64 v[9:10], 4, v[9:10]
	v_add_co_u32_e32 v28, vcc, s6, v9
	v_addc_co_u32_e32 v29, vcc, v42, v10, vcc
	global_load_dwordx4 v[9:12], v[28:29], off offset:48
	global_load_dwordx4 v[59:62], v[28:29], off offset:32
	;; [unrolled: 1-line block ×3, first 2 shown]
	global_load_dwordx4 v[67:70], v[28:29], off
	s_waitcnt vmcnt(0)
	v_fma_f64 v[22:23], v[55:56], v[67:68], v[22:23]
	v_fma_f64 v[24:25], v[67:68], 0, v[24:25]
	;; [unrolled: 1-line block ×34, first 2 shown]
	global_load_dwordx4 v[43:46], v[19:20], off offset:3184
	global_load_dwordx4 v[47:50], v[19:20], off offset:3168
	;; [unrolled: 1-line block ×4, first 2 shown]
	v_add_co_u32_e32 v19, vcc, 0x1000, v19
	v_addc_co_u32_e32 v20, vcc, 0, v20, vcc
	v_cmp_ge_i32_e32 vcc, v17, v40
	s_or_b64 s[10:11], vcc, s[10:11]
	s_waitcnt vmcnt(2)
	v_fma_f64 v[36:37], v[47:48], v[67:68], v[36:37]
	v_fma_f64 v[34:35], v[47:48], v[69:70], v[34:35]
	s_waitcnt vmcnt(0)
	v_fma_f64 v[32:33], v[55:56], v[67:68], v[32:33]
	v_fma_f64 v[30:31], v[55:56], v[69:70], v[30:31]
	;; [unrolled: 1-line block ×28, first 2 shown]
	s_andn2_b64 exec, exec, s[10:11]
	s_cbranch_execnz .LBB136_19
; %bb.20:
	s_or_b64 exec, exec, s[10:11]
.LBB136_21:
	s_or_b64 exec, exec, s[2:3]
.LBB136_22:
	s_or_b64 exec, exec, s[8:9]
	s_cbranch_execz .LBB136_24
	s_branch .LBB136_35
.LBB136_23:
                                        ; implicit-def: $vgpr24_vgpr25
                                        ; implicit-def: $vgpr28_vgpr29
                                        ; implicit-def: $vgpr22_vgpr23
                                        ; implicit-def: $vgpr26_vgpr27
                                        ; implicit-def: $vgpr30_vgpr31
                                        ; implicit-def: $vgpr32_vgpr33
                                        ; implicit-def: $vgpr9_vgpr10
                                        ; implicit-def: $vgpr34_vgpr35
.LBB136_24:
	v_mov_b32_e32 v24, 0
	v_mov_b32_e32 v28, 0
	;; [unrolled: 1-line block ×16, first 2 shown]
	s_and_saveexec_b64 s[2:3], s[0:1]
	s_cbranch_execz .LBB136_34
; %bb.25:
	v_add_u32_e32 v9, v41, v0
	v_subrev_u32_e32 v9, s16, v9
	v_add_u32_e32 v9, 8, v9
	v_max_i32_e32 v9, v9, v40
	v_not_b32_e32 v10, v41
	v_add3_u32 v9, s16, v9, v10
	v_sub_u32_e32 v11, v9, v0
	v_and_b32_e32 v12, 24, v11
	v_mov_b32_e32 v34, 0
	v_mov_b32_e32 v9, 0
	;; [unrolled: 1-line block ×16, first 2 shown]
	v_cmp_ne_u32_e32 vcc, 24, v12
	s_and_saveexec_b64 s[8:9], vcc
	s_cbranch_execz .LBB136_29
; %bb.26:
	v_lshrrev_b32_e32 v9, 3, v11
	v_add_u32_e32 v9, 1, v9
	v_and_b32_e32 v9, 3, v9
	v_sub_u32_e32 v12, 0, v9
	v_mov_b32_e32 v24, 0
	s_mov_b32 s14, 0
	v_mov_b32_e32 v28, 0
	v_mov_b32_e32 v22, 0
	;; [unrolled: 1-line block ×8, first 2 shown]
	s_mov_b64 s[10:11], 0
	v_mov_b32_e32 v17, s13
	s_brev_b32 s15, 1
	v_mov_b32_e32 v29, 0
	v_mov_b32_e32 v23, 0
	;; [unrolled: 1-line block ×8, first 2 shown]
.LBB136_27:                             ; =>This Inner Loop Header: Depth=1
	v_ashrrev_i32_e32 v14, 31, v13
	v_lshlrev_b64 v[19:20], 2, v[13:14]
	v_add_co_u32_e64 v12, s[0:1], 1, v12
	v_add_co_u32_e32 v19, vcc, s12, v19
	v_addc_co_u32_e32 v20, vcc, v17, v20, vcc
	global_load_dword v14, v[19:20], off
	global_load_dwordx4 v[36:39], v[15:16], off offset:16
	global_load_dwordx4 v[41:44], v[15:16], off
	s_or_b64 s[10:11], s[0:1], s[10:11]
	v_add_u32_e32 v13, 8, v13
	s_waitcnt vmcnt(2)
	v_subrev_u32_e32 v14, s16, v14
	v_lshlrev_b32_e32 v19, 2, v14
	v_ashrrev_i32_e32 v20, 31, v19
	v_lshlrev_b64 v[19:20], 4, v[19:20]
	v_add_co_u32_e32 v19, vcc, s6, v19
	v_addc_co_u32_e32 v20, vcc, v18, v20, vcc
	global_load_dwordx4 v[45:48], v[19:20], off
	global_load_dwordx4 v[49:52], v[15:16], off offset:32
	global_load_dwordx4 v[53:56], v[15:16], off offset:48
	;; [unrolled: 1-line block ×9, first 2 shown]
	v_add_co_u32_e32 v15, vcc, 0x400, v15
	v_addc_co_u32_e32 v16, vcc, 0, v16, vcc
	s_waitcnt vmcnt(9)
	v_fma_f64 v[19:20], v[41:42], v[45:46], v[28:29]
	v_fma_f64 v[24:25], v[45:46], 0, v[24:25]
	v_fma_f64 v[26:27], v[43:44], v[45:46], v[26:27]
	v_fma_f64 v[22:23], v[45:46], 0, v[22:23]
	v_fma_f64 v[28:29], v[36:37], v[45:46], v[32:33]
	v_fma_f64 v[30:31], v[45:46], 0, v[30:31]
	v_fma_f64 v[32:33], v[38:39], v[45:46], v[34:35]
	v_fma_f64 v[9:10], v[45:46], 0, v[9:10]
	v_fma_f64 v[19:20], v[47:48], s[14:15], v[19:20]
	v_fma_f64 v[24:25], v[41:42], v[47:48], v[24:25]
	v_fma_f64 v[26:27], v[47:48], s[14:15], v[26:27]
	v_fma_f64 v[22:23], v[43:44], v[47:48], v[22:23]
	v_fma_f64 v[28:29], v[47:48], s[14:15], v[28:29]
	v_fma_f64 v[30:31], v[36:37], v[47:48], v[30:31]
	v_fma_f64 v[32:33], v[47:48], s[14:15], v[32:33]
	v_fma_f64 v[9:10], v[38:39], v[47:48], v[9:10]
	s_waitcnt vmcnt(6)
	v_fma_f64 v[19:20], v[49:50], v[57:58], v[19:20]
	v_fma_f64 v[24:25], v[57:58], 0, v[24:25]
	v_fma_f64 v[26:27], v[51:52], v[57:58], v[26:27]
	v_fma_f64 v[22:23], v[57:58], 0, v[22:23]
	v_fma_f64 v[28:29], v[53:54], v[57:58], v[28:29]
	v_fma_f64 v[30:31], v[57:58], 0, v[30:31]
	v_fma_f64 v[32:33], v[55:56], v[57:58], v[32:33]
	v_fma_f64 v[9:10], v[57:58], 0, v[9:10]
	v_fma_f64 v[19:20], v[59:60], s[14:15], v[19:20]
	v_fma_f64 v[24:25], v[49:50], v[59:60], v[24:25]
	v_fma_f64 v[26:27], v[59:60], s[14:15], v[26:27]
	v_fma_f64 v[22:23], v[51:52], v[59:60], v[22:23]
	v_fma_f64 v[28:29], v[59:60], s[14:15], v[28:29]
	v_fma_f64 v[30:31], v[53:54], v[59:60], v[30:31]
	v_fma_f64 v[32:33], v[59:60], s[14:15], v[32:33]
	v_fma_f64 v[9:10], v[55:56], v[59:60], v[9:10]
	;; [unrolled: 17-line block ×4, first 2 shown]
	s_andn2_b64 exec, exec, s[10:11]
	s_cbranch_execnz .LBB136_27
; %bb.28:
	s_or_b64 exec, exec, s[10:11]
.LBB136_29:
	s_or_b64 exec, exec, s[8:9]
	v_cmp_lt_u32_e32 vcc, 23, v11
	s_and_saveexec_b64 s[0:1], vcc
	s_cbranch_execz .LBB136_33
; %bb.30:
	s_mov_b32 s10, 0
	s_mov_b64 s[8:9], 0
	v_mov_b32_e32 v36, s13
	s_brev_b32 s11, 1
	v_mov_b32_e32 v37, s7
.LBB136_31:                             ; =>This Inner Loop Header: Depth=1
	v_ashrrev_i32_e32 v14, 31, v13
	v_lshlrev_b64 v[11:12], 2, v[13:14]
	v_add_u32_e32 v13, 32, v13
	v_add_co_u32_e32 v11, vcc, s12, v11
	v_addc_co_u32_e32 v12, vcc, v36, v12, vcc
	global_load_dword v14, v[11:12], off
	global_load_dwordx4 v[17:20], v[15:16], off offset:48
	global_load_dwordx4 v[41:44], v[15:16], off offset:32
	;; [unrolled: 1-line block ×3, first 2 shown]
	global_load_dwordx4 v[49:52], v[15:16], off
	s_waitcnt vmcnt(4)
	v_subrev_u32_e32 v14, s16, v14
	v_lshlrev_b32_e32 v38, 2, v14
	v_ashrrev_i32_e32 v39, 31, v38
	v_lshlrev_b64 v[38:39], 4, v[38:39]
	v_add_co_u32_e32 v38, vcc, s6, v38
	v_addc_co_u32_e32 v39, vcc, v37, v39, vcc
	global_load_dwordx4 v[53:56], v[38:39], off offset:48
	global_load_dwordx4 v[57:60], v[38:39], off offset:32
	;; [unrolled: 1-line block ×3, first 2 shown]
	global_load_dwordx4 v[65:68], v[38:39], off
	s_waitcnt vmcnt(0)
	v_fma_f64 v[24:25], v[65:66], 0, v[24:25]
	v_fma_f64 v[22:23], v[65:66], 0, v[22:23]
	v_fma_f64 v[28:29], v[49:50], v[65:66], v[28:29]
	v_fma_f64 v[26:27], v[51:52], v[65:66], v[26:27]
	v_fma_f64 v[32:33], v[45:46], v[65:66], v[32:33]
	v_fma_f64 v[30:31], v[65:66], 0, v[30:31]
	v_fma_f64 v[34:35], v[47:48], v[65:66], v[34:35]
	v_fma_f64 v[9:10], v[65:66], 0, v[9:10]
	v_fma_f64 v[24:25], v[49:50], v[67:68], v[24:25]
	v_fma_f64 v[22:23], v[51:52], v[67:68], v[22:23]
	v_fma_f64 v[28:29], v[67:68], s[10:11], v[28:29]
	v_fma_f64 v[26:27], v[67:68], s[10:11], v[26:27]
	v_fma_f64 v[32:33], v[67:68], s[10:11], v[32:33]
	v_fma_f64 v[30:31], v[45:46], v[67:68], v[30:31]
	v_fma_f64 v[34:35], v[67:68], s[10:11], v[34:35]
	v_fma_f64 v[9:10], v[47:48], v[67:68], v[9:10]
	v_fma_f64 v[24:25], v[61:62], 0, v[24:25]
	v_fma_f64 v[22:23], v[61:62], 0, v[22:23]
	v_fma_f64 v[28:29], v[41:42], v[61:62], v[28:29]
	v_fma_f64 v[9:10], v[61:62], 0, v[9:10]
	v_fma_f64 v[41:42], v[41:42], v[63:64], v[24:25]
	v_fma_f64 v[24:25], v[43:44], v[61:62], v[26:27]
	v_fma_f64 v[43:44], v[43:44], v[63:64], v[22:23]
	v_fma_f64 v[22:23], v[17:18], v[61:62], v[32:33]
	v_fma_f64 v[38:39], v[63:64], s[10:11], v[28:29]
	v_fma_f64 v[9:10], v[19:20], v[63:64], v[9:10]
	v_fma_f64 v[41:42], v[57:58], 0, v[41:42]
	v_fma_f64 v[45:46], v[63:64], s[10:11], v[24:25]
	v_fma_f64 v[43:44], v[57:58], 0, v[43:44]
	v_fma_f64 v[47:48], v[63:64], s[10:11], v[22:23]
	v_fma_f64 v[22:23], v[61:62], 0, v[30:31]
	v_fma_f64 v[9:10], v[57:58], 0, v[9:10]
	v_fma_f64 v[49:50], v[17:18], v[63:64], v[22:23]
	v_fma_f64 v[17:18], v[19:20], v[61:62], v[34:35]
	v_fma_f64 v[34:35], v[63:64], s[10:11], v[17:18]
	global_load_dwordx4 v[17:20], v[15:16], off offset:112
	global_load_dwordx4 v[22:25], v[15:16], off offset:96
	;; [unrolled: 1-line block ×4, first 2 shown]
	global_load_dword v14, v[11:12], off offset:32
	s_waitcnt vmcnt(2)
	v_fma_f64 v[34:35], v[28:29], v[57:58], v[34:35]
	s_waitcnt vmcnt(1)
	v_fma_f64 v[38:39], v[30:31], v[57:58], v[38:39]
	v_fma_f64 v[30:31], v[30:31], v[59:60], v[41:42]
	;; [unrolled: 1-line block ×9, first 2 shown]
	s_waitcnt vmcnt(0)
	v_subrev_u32_e32 v14, s16, v14
	v_fma_f64 v[41:42], v[59:60], s[10:11], v[41:42]
	v_fma_f64 v[9:10], v[53:54], 0, v[9:10]
	;; [unrolled: 1-line block ×10, first 2 shown]
	v_lshlrev_b32_e32 v41, 2, v14
	v_ashrrev_i32_e32 v42, 31, v41
	v_lshlrev_b64 v[41:42], 4, v[41:42]
	v_add_co_u32_e32 v67, vcc, s6, v41
	v_addc_co_u32_e32 v68, vcc, v37, v42, vcc
	v_fma_f64 v[59:60], v[55:56], s[10:11], v[22:23]
	v_fma_f64 v[22:23], v[53:54], 0, v[32:33]
	;; [unrolled: 1-line block ×9, first 2 shown]
	global_load_dwordx4 v[17:20], v[15:16], off offset:1072
	global_load_dwordx4 v[22:25], v[15:16], off offset:1056
	;; [unrolled: 1-line block ×7, first 2 shown]
	global_load_dwordx4 v[53:56], v[67:68], off
	s_waitcnt vmcnt(0)
	v_fma_f64 v[38:39], v[30:31], v[53:54], v[38:39]
	v_fma_f64 v[57:58], v[53:54], 0, v[57:58]
	;; [unrolled: 1-line block ×35, first 2 shown]
	global_load_dwordx4 v[17:20], v[15:16], off offset:1136
	global_load_dwordx4 v[22:25], v[15:16], off offset:1120
	;; [unrolled: 1-line block ×4, first 2 shown]
	global_load_dword v14, v[11:12], off offset:64
	v_fma_f64 v[51:52], v[45:46], 0, v[57:58]
	s_waitcnt vmcnt(2)
	v_fma_f64 v[34:35], v[28:29], v[45:46], v[34:35]
	s_waitcnt vmcnt(1)
	v_fma_f64 v[38:39], v[30:31], v[45:46], v[38:39]
	v_fma_f64 v[30:31], v[30:31], v[47:48], v[49:50]
	;; [unrolled: 1-line block ×9, first 2 shown]
	s_waitcnt vmcnt(0)
	v_subrev_u32_e32 v14, s16, v14
	v_fma_f64 v[49:50], v[47:48], s[10:11], v[49:50]
	v_fma_f64 v[9:10], v[41:42], 0, v[9:10]
	;; [unrolled: 1-line block ×17, first 2 shown]
	v_lshlrev_b32_e32 v41, 2, v14
	v_ashrrev_i32_e32 v42, 31, v41
	v_lshlrev_b64 v[41:42], 4, v[41:42]
	v_add_co_u32_e32 v67, vcc, s6, v41
	v_addc_co_u32_e32 v68, vcc, v37, v42, vcc
	v_fma_f64 v[34:35], v[43:44], s[10:11], v[17:18]
	global_load_dwordx4 v[17:20], v[15:16], off offset:2096
	global_load_dwordx4 v[22:25], v[15:16], off offset:2080
	;; [unrolled: 1-line block ×7, first 2 shown]
	global_load_dwordx4 v[53:56], v[67:68], off
	s_waitcnt vmcnt(0)
	v_fma_f64 v[38:39], v[30:31], v[53:54], v[38:39]
	v_fma_f64 v[57:58], v[53:54], 0, v[57:58]
	;; [unrolled: 1-line block ×35, first 2 shown]
	global_load_dwordx4 v[28:31], v[15:16], off offset:2160
	global_load_dwordx4 v[22:25], v[15:16], off offset:2144
	;; [unrolled: 1-line block ×4, first 2 shown]
	v_fma_f64 v[51:52], v[45:46], 0, v[57:58]
	global_load_dword v11, v[11:12], off offset:96
	s_waitcnt vmcnt(2)
	v_fma_f64 v[26:27], v[17:18], v[47:48], v[26:27]
	s_waitcnt vmcnt(1)
	v_fma_f64 v[38:39], v[32:33], v[45:46], v[38:39]
	v_fma_f64 v[32:33], v[32:33], v[47:48], v[49:50]
	;; [unrolled: 1-line block ×9, first 2 shown]
	s_waitcnt vmcnt(0)
	v_subrev_u32_e32 v11, s16, v11
	v_fma_f64 v[49:50], v[47:48], s[10:11], v[49:50]
	v_lshlrev_b32_e32 v11, 2, v11
	v_fma_f64 v[51:52], v[47:48], s[10:11], v[51:52]
	v_fma_f64 v[53:54], v[47:48], s[10:11], v[17:18]
	;; [unrolled: 1-line block ×7, first 2 shown]
	v_ashrrev_i32_e32 v12, 31, v11
	v_lshlrev_b64 v[11:12], 4, v[11:12]
	v_fma_f64 v[17:18], v[22:23], v[43:44], v[17:18]
	v_fma_f64 v[22:23], v[41:42], 0, v[34:35]
	v_add_co_u32_e32 v11, vcc, s6, v11
	v_addc_co_u32_e32 v12, vcc, v37, v12, vcc
	v_fma_f64 v[9:10], v[43:44], s[10:11], v[9:10]
	v_fma_f64 v[19:20], v[43:44], s[10:11], v[19:20]
	;; [unrolled: 1-line block ×8, first 2 shown]
	global_load_dwordx4 v[32:35], v[15:16], off offset:3120
	global_load_dwordx4 v[41:44], v[15:16], off offset:3104
	;; [unrolled: 1-line block ×7, first 2 shown]
	global_load_dwordx4 v[65:68], v[11:12], off
	s_waitcnt vmcnt(0)
	v_fma_f64 v[9:10], v[49:50], v[65:66], v[9:10]
	v_fma_f64 v[11:12], v[65:66], 0, v[17:18]
	;; [unrolled: 1-line block ×33, first 2 shown]
	global_load_dwordx4 v[9:12], v[15:16], off offset:3184
	global_load_dwordx4 v[17:20], v[15:16], off offset:3168
	global_load_dwordx4 v[22:25], v[15:16], off offset:3152
	global_load_dwordx4 v[26:29], v[15:16], off offset:3136
	v_add_co_u32_e32 v15, vcc, 0x1000, v15
	v_addc_co_u32_e32 v16, vcc, 0, v16, vcc
	v_cmp_ge_i32_e32 vcc, v13, v40
	s_or_b64 s[8:9], vcc, s[8:9]
	s_waitcnt vmcnt(0)
	v_fma_f64 v[30:31], v[26:27], v[57:58], v[30:31]
	v_fma_f64 v[26:27], v[26:27], v[59:60], v[38:39]
	;; [unrolled: 1-line block ×31, first 2 shown]
	s_andn2_b64 exec, exec, s[8:9]
	s_cbranch_execnz .LBB136_31
; %bb.32:
	s_or_b64 exec, exec, s[8:9]
.LBB136_33:
	s_or_b64 exec, exec, s[0:1]
.LBB136_34:
	s_or_b64 exec, exec, s[2:3]
.LBB136_35:
	v_mov_b32_dpp v11, v28 row_shr:1 row_mask:0xf bank_mask:0xf
	v_mov_b32_dpp v12, v29 row_shr:1 row_mask:0xf bank_mask:0xf
	v_add_f64 v[11:12], v[28:29], v[11:12]
	v_mov_b32_dpp v13, v24 row_shr:1 row_mask:0xf bank_mask:0xf
	v_mov_b32_dpp v14, v25 row_shr:1 row_mask:0xf bank_mask:0xf
	;; [unrolled: 1-line block ×4, first 2 shown]
	v_add_f64 v[13:14], v[24:25], v[13:14]
	v_add_f64 v[15:16], v[26:27], v[15:16]
	v_mov_b32_dpp v19, v22 row_shr:1 row_mask:0xf bank_mask:0xf
	v_mov_b32_dpp v20, v23 row_shr:1 row_mask:0xf bank_mask:0xf
	v_add_f64 v[19:20], v[22:23], v[19:20]
	v_mov_b32_dpp v17, v11 row_shr:2 row_mask:0xf bank_mask:0xf
	v_mov_b32_dpp v18, v12 row_shr:2 row_mask:0xf bank_mask:0xf
	;; [unrolled: 3-line block ×6, first 2 shown]
	v_mov_b32_dpp v36, v30 row_shr:1 row_mask:0xf bank_mask:0xf
	v_mov_b32_dpp v37, v31 row_shr:1 row_mask:0xf bank_mask:0xf
	v_add_f64 v[28:29], v[32:33], v[19:20]
	v_add_f64 v[30:31], v[30:31], v[36:37]
	v_mov_b32_dpp v36, v34 row_shr:1 row_mask:0xf bank_mask:0xf
	v_mov_b32_dpp v37, v35 row_shr:1 row_mask:0xf bank_mask:0xf
	v_add_f64 v[34:35], v[34:35], v[36:37]
	v_mov_b32_dpp v36, v9 row_shr:1 row_mask:0xf bank_mask:0xf
	v_mov_b32_dpp v37, v10 row_shr:1 row_mask:0xf bank_mask:0xf
	;; [unrolled: 3-line block ×5, first 2 shown]
	v_mov_b32_dpp v32, v36 row_shr:2 row_mask:0xf bank_mask:0xf
	v_mov_b32_dpp v33, v37 row_shr:2 row_mask:0xf bank_mask:0xf
	v_add_f64 v[30:31], v[34:35], v[30:31]
	v_add_f64 v[32:33], v[36:37], v[32:33]
	v_mov_b32_dpp v26, v11 row_shr:4 row_mask:0xf bank_mask:0xe
	v_mov_b32_dpp v27, v12 row_shr:4 row_mask:0xf bank_mask:0xe
	;; [unrolled: 1-line block ×16, first 2 shown]
	v_cmp_eq_u32_e32 vcc, 7, v0
	s_and_b64 exec, exec, vcc
	s_cbranch_execz .LBB136_8
; %bb.36:
	v_add_f64 v[13:14], v[13:14], v[24:25]
	v_add_f64 v[15:16], v[15:16], v[22:23]
	;; [unrolled: 1-line block ×8, first 2 shown]
	v_mul_f64 v[26:27], v[13:14], -v[7:8]
	v_mul_f64 v[13:14], v[5:6], v[13:14]
	v_mul_f64 v[28:29], v[17:18], -v[7:8]
	v_mul_f64 v[30:31], v[5:6], v[17:18]
	;; [unrolled: 2-line block ×4, first 2 shown]
	v_cmp_eq_f64_e32 vcc, 0, v[1:2]
	v_cmp_eq_f64_e64 s[0:1], 0, v[3:4]
	v_fma_f64 v[17:18], v[5:6], v[11:12], v[26:27]
	v_fma_f64 v[19:20], v[7:8], v[11:12], v[13:14]
	;; [unrolled: 1-line block ×8, first 2 shown]
	s_load_dwordx2 s[2:3], s[4:5], 0x60
	s_and_b64 s[0:1], vcc, s[0:1]
	v_lshlrev_b32_e32 v21, 2, v21
	s_and_saveexec_b64 s[4:5], s[0:1]
	s_xor_b64 s[0:1], exec, s[4:5]
	s_cbranch_execz .LBB136_38
; %bb.37:
	v_ashrrev_i32_e32 v22, 31, v21
	v_lshlrev_b64 v[0:1], 4, v[21:22]
	s_waitcnt lgkmcnt(0)
	v_mov_b32_e32 v2, s3
	v_add_co_u32_e32 v0, vcc, s2, v0
	v_addc_co_u32_e32 v1, vcc, v2, v1, vcc
	global_store_dwordx4 v[0:1], v[17:20], off
	global_store_dwordx4 v[0:1], v[13:16], off offset:16
	global_store_dwordx4 v[0:1], v[9:12], off offset:32
	;; [unrolled: 1-line block ×3, first 2 shown]
                                        ; implicit-def: $vgpr3_vgpr4
                                        ; implicit-def: $vgpr17_vgpr18
                                        ; implicit-def: $vgpr21
                                        ; implicit-def: $vgpr13_vgpr14
                                        ; implicit-def: $vgpr9_vgpr10
                                        ; implicit-def: $vgpr5_vgpr6
.LBB136_38:
	s_andn2_saveexec_b64 s[0:1], s[0:1]
	s_cbranch_execz .LBB136_8
; %bb.39:
	v_ashrrev_i32_e32 v22, 31, v21
	v_lshlrev_b64 v[21:22], 4, v[21:22]
	s_waitcnt lgkmcnt(0)
	v_mov_b32_e32 v0, s3
	v_add_co_u32_e32 v37, vcc, s2, v21
	v_addc_co_u32_e32 v38, vcc, v0, v22, vcc
	global_load_dwordx4 v[21:24], v[37:38], off
	global_load_dwordx4 v[25:28], v[37:38], off offset:16
	global_load_dwordx4 v[29:32], v[37:38], off offset:32
	;; [unrolled: 1-line block ×3, first 2 shown]
	s_waitcnt vmcnt(3)
	v_fma_f64 v[17:18], v[1:2], v[21:22], v[17:18]
	v_fma_f64 v[19:20], v[3:4], v[21:22], v[19:20]
	s_waitcnt vmcnt(2)
	v_fma_f64 v[13:14], v[1:2], v[25:26], v[13:14]
	v_fma_f64 v[15:16], v[3:4], v[25:26], v[15:16]
	;; [unrolled: 3-line block ×4, first 2 shown]
	v_fma_f64 v[5:6], -v[3:4], v[23:24], v[17:18]
	v_fma_f64 v[7:8], v[1:2], v[23:24], v[19:20]
	v_fma_f64 v[9:10], -v[3:4], v[27:28], v[13:14]
	v_fma_f64 v[11:12], v[1:2], v[27:28], v[15:16]
	;; [unrolled: 2-line block ×4, first 2 shown]
	global_store_dwordx4 v[37:38], v[5:8], off
	global_store_dwordx4 v[37:38], v[9:12], off offset:16
	global_store_dwordx4 v[37:38], v[13:16], off offset:32
	;; [unrolled: 1-line block ×3, first 2 shown]
	s_endpgm
	.section	.rodata,"a",@progbits
	.p2align	6, 0x0
	.amdhsa_kernel _ZN9rocsparseL18bsrxmvn_4x4_kernelILj128ELj8E21rocsparse_complex_numIdEiidS2_S2_EEvT3_20rocsparse_direction_NS_24const_host_device_scalarIT1_EES3_PKS3_PKT2_SC_S9_PKT4_PKT5_S7_PT6_21rocsparse_index_base_b
		.amdhsa_group_segment_fixed_size 0
		.amdhsa_private_segment_fixed_size 0
		.amdhsa_kernarg_size 112
		.amdhsa_user_sgpr_count 6
		.amdhsa_user_sgpr_private_segment_buffer 1
		.amdhsa_user_sgpr_dispatch_ptr 0
		.amdhsa_user_sgpr_queue_ptr 0
		.amdhsa_user_sgpr_kernarg_segment_ptr 1
		.amdhsa_user_sgpr_dispatch_id 0
		.amdhsa_user_sgpr_flat_scratch_init 0
		.amdhsa_user_sgpr_private_segment_size 0
		.amdhsa_uses_dynamic_stack 0
		.amdhsa_system_sgpr_private_segment_wavefront_offset 0
		.amdhsa_system_sgpr_workgroup_id_x 1
		.amdhsa_system_sgpr_workgroup_id_y 0
		.amdhsa_system_sgpr_workgroup_id_z 0
		.amdhsa_system_sgpr_workgroup_info 0
		.amdhsa_system_vgpr_workitem_id 0
		.amdhsa_next_free_vgpr 85
		.amdhsa_next_free_sgpr 20
		.amdhsa_reserve_vcc 1
		.amdhsa_reserve_flat_scratch 0
		.amdhsa_float_round_mode_32 0
		.amdhsa_float_round_mode_16_64 0
		.amdhsa_float_denorm_mode_32 3
		.amdhsa_float_denorm_mode_16_64 3
		.amdhsa_dx10_clamp 1
		.amdhsa_ieee_mode 1
		.amdhsa_fp16_overflow 0
		.amdhsa_exception_fp_ieee_invalid_op 0
		.amdhsa_exception_fp_denorm_src 0
		.amdhsa_exception_fp_ieee_div_zero 0
		.amdhsa_exception_fp_ieee_overflow 0
		.amdhsa_exception_fp_ieee_underflow 0
		.amdhsa_exception_fp_ieee_inexact 0
		.amdhsa_exception_int_div_zero 0
	.end_amdhsa_kernel
	.section	.text._ZN9rocsparseL18bsrxmvn_4x4_kernelILj128ELj8E21rocsparse_complex_numIdEiidS2_S2_EEvT3_20rocsparse_direction_NS_24const_host_device_scalarIT1_EES3_PKS3_PKT2_SC_S9_PKT4_PKT5_S7_PT6_21rocsparse_index_base_b,"axG",@progbits,_ZN9rocsparseL18bsrxmvn_4x4_kernelILj128ELj8E21rocsparse_complex_numIdEiidS2_S2_EEvT3_20rocsparse_direction_NS_24const_host_device_scalarIT1_EES3_PKS3_PKT2_SC_S9_PKT4_PKT5_S7_PT6_21rocsparse_index_base_b,comdat
.Lfunc_end136:
	.size	_ZN9rocsparseL18bsrxmvn_4x4_kernelILj128ELj8E21rocsparse_complex_numIdEiidS2_S2_EEvT3_20rocsparse_direction_NS_24const_host_device_scalarIT1_EES3_PKS3_PKT2_SC_S9_PKT4_PKT5_S7_PT6_21rocsparse_index_base_b, .Lfunc_end136-_ZN9rocsparseL18bsrxmvn_4x4_kernelILj128ELj8E21rocsparse_complex_numIdEiidS2_S2_EEvT3_20rocsparse_direction_NS_24const_host_device_scalarIT1_EES3_PKS3_PKT2_SC_S9_PKT4_PKT5_S7_PT6_21rocsparse_index_base_b
                                        ; -- End function
	.set _ZN9rocsparseL18bsrxmvn_4x4_kernelILj128ELj8E21rocsparse_complex_numIdEiidS2_S2_EEvT3_20rocsparse_direction_NS_24const_host_device_scalarIT1_EES3_PKS3_PKT2_SC_S9_PKT4_PKT5_S7_PT6_21rocsparse_index_base_b.num_vgpr, 85
	.set _ZN9rocsparseL18bsrxmvn_4x4_kernelILj128ELj8E21rocsparse_complex_numIdEiidS2_S2_EEvT3_20rocsparse_direction_NS_24const_host_device_scalarIT1_EES3_PKS3_PKT2_SC_S9_PKT4_PKT5_S7_PT6_21rocsparse_index_base_b.num_agpr, 0
	.set _ZN9rocsparseL18bsrxmvn_4x4_kernelILj128ELj8E21rocsparse_complex_numIdEiidS2_S2_EEvT3_20rocsparse_direction_NS_24const_host_device_scalarIT1_EES3_PKS3_PKT2_SC_S9_PKT4_PKT5_S7_PT6_21rocsparse_index_base_b.numbered_sgpr, 20
	.set _ZN9rocsparseL18bsrxmvn_4x4_kernelILj128ELj8E21rocsparse_complex_numIdEiidS2_S2_EEvT3_20rocsparse_direction_NS_24const_host_device_scalarIT1_EES3_PKS3_PKT2_SC_S9_PKT4_PKT5_S7_PT6_21rocsparse_index_base_b.num_named_barrier, 0
	.set _ZN9rocsparseL18bsrxmvn_4x4_kernelILj128ELj8E21rocsparse_complex_numIdEiidS2_S2_EEvT3_20rocsparse_direction_NS_24const_host_device_scalarIT1_EES3_PKS3_PKT2_SC_S9_PKT4_PKT5_S7_PT6_21rocsparse_index_base_b.private_seg_size, 0
	.set _ZN9rocsparseL18bsrxmvn_4x4_kernelILj128ELj8E21rocsparse_complex_numIdEiidS2_S2_EEvT3_20rocsparse_direction_NS_24const_host_device_scalarIT1_EES3_PKS3_PKT2_SC_S9_PKT4_PKT5_S7_PT6_21rocsparse_index_base_b.uses_vcc, 1
	.set _ZN9rocsparseL18bsrxmvn_4x4_kernelILj128ELj8E21rocsparse_complex_numIdEiidS2_S2_EEvT3_20rocsparse_direction_NS_24const_host_device_scalarIT1_EES3_PKS3_PKT2_SC_S9_PKT4_PKT5_S7_PT6_21rocsparse_index_base_b.uses_flat_scratch, 0
	.set _ZN9rocsparseL18bsrxmvn_4x4_kernelILj128ELj8E21rocsparse_complex_numIdEiidS2_S2_EEvT3_20rocsparse_direction_NS_24const_host_device_scalarIT1_EES3_PKS3_PKT2_SC_S9_PKT4_PKT5_S7_PT6_21rocsparse_index_base_b.has_dyn_sized_stack, 0
	.set _ZN9rocsparseL18bsrxmvn_4x4_kernelILj128ELj8E21rocsparse_complex_numIdEiidS2_S2_EEvT3_20rocsparse_direction_NS_24const_host_device_scalarIT1_EES3_PKS3_PKT2_SC_S9_PKT4_PKT5_S7_PT6_21rocsparse_index_base_b.has_recursion, 0
	.set _ZN9rocsparseL18bsrxmvn_4x4_kernelILj128ELj8E21rocsparse_complex_numIdEiidS2_S2_EEvT3_20rocsparse_direction_NS_24const_host_device_scalarIT1_EES3_PKS3_PKT2_SC_S9_PKT4_PKT5_S7_PT6_21rocsparse_index_base_b.has_indirect_call, 0
	.section	.AMDGPU.csdata,"",@progbits
; Kernel info:
; codeLenInByte = 9108
; TotalNumSgprs: 24
; NumVgprs: 85
; ScratchSize: 0
; MemoryBound: 0
; FloatMode: 240
; IeeeMode: 1
; LDSByteSize: 0 bytes/workgroup (compile time only)
; SGPRBlocks: 2
; VGPRBlocks: 21
; NumSGPRsForWavesPerEU: 24
; NumVGPRsForWavesPerEU: 85
; Occupancy: 2
; WaveLimiterHint : 1
; COMPUTE_PGM_RSRC2:SCRATCH_EN: 0
; COMPUTE_PGM_RSRC2:USER_SGPR: 6
; COMPUTE_PGM_RSRC2:TRAP_HANDLER: 0
; COMPUTE_PGM_RSRC2:TGID_X_EN: 1
; COMPUTE_PGM_RSRC2:TGID_Y_EN: 0
; COMPUTE_PGM_RSRC2:TGID_Z_EN: 0
; COMPUTE_PGM_RSRC2:TIDIG_COMP_CNT: 0
	.section	.text._ZN9rocsparseL18bsrxmvn_4x4_kernelILj128ELj16E21rocsparse_complex_numIdEiidS2_S2_EEvT3_20rocsparse_direction_NS_24const_host_device_scalarIT1_EES3_PKS3_PKT2_SC_S9_PKT4_PKT5_S7_PT6_21rocsparse_index_base_b,"axG",@progbits,_ZN9rocsparseL18bsrxmvn_4x4_kernelILj128ELj16E21rocsparse_complex_numIdEiidS2_S2_EEvT3_20rocsparse_direction_NS_24const_host_device_scalarIT1_EES3_PKS3_PKT2_SC_S9_PKT4_PKT5_S7_PT6_21rocsparse_index_base_b,comdat
	.globl	_ZN9rocsparseL18bsrxmvn_4x4_kernelILj128ELj16E21rocsparse_complex_numIdEiidS2_S2_EEvT3_20rocsparse_direction_NS_24const_host_device_scalarIT1_EES3_PKS3_PKT2_SC_S9_PKT4_PKT5_S7_PT6_21rocsparse_index_base_b ; -- Begin function _ZN9rocsparseL18bsrxmvn_4x4_kernelILj128ELj16E21rocsparse_complex_numIdEiidS2_S2_EEvT3_20rocsparse_direction_NS_24const_host_device_scalarIT1_EES3_PKS3_PKT2_SC_S9_PKT4_PKT5_S7_PT6_21rocsparse_index_base_b
	.p2align	8
	.type	_ZN9rocsparseL18bsrxmvn_4x4_kernelILj128ELj16E21rocsparse_complex_numIdEiidS2_S2_EEvT3_20rocsparse_direction_NS_24const_host_device_scalarIT1_EES3_PKS3_PKT2_SC_S9_PKT4_PKT5_S7_PT6_21rocsparse_index_base_b,@function
_ZN9rocsparseL18bsrxmvn_4x4_kernelILj128ELj16E21rocsparse_complex_numIdEiidS2_S2_EEvT3_20rocsparse_direction_NS_24const_host_device_scalarIT1_EES3_PKS3_PKT2_SC_S9_PKT4_PKT5_S7_PT6_21rocsparse_index_base_b: ; @_ZN9rocsparseL18bsrxmvn_4x4_kernelILj128ELj16E21rocsparse_complex_numIdEiidS2_S2_EEvT3_20rocsparse_direction_NS_24const_host_device_scalarIT1_EES3_PKS3_PKT2_SC_S9_PKT4_PKT5_S7_PT6_21rocsparse_index_base_b
; %bb.0:
	s_load_dwordx2 s[0:1], s[4:5], 0x8
	s_load_dwordx2 s[16:17], s[4:5], 0x68
	s_add_u32 s7, s4, 8
	s_addc_u32 s8, s5, 0
	s_add_u32 s9, s4, 0x50
	s_addc_u32 s10, s5, 0
	s_waitcnt lgkmcnt(0)
	s_bitcmp1_b32 s17, 0
	s_cselect_b32 s1, s8, s1
	s_cselect_b32 s0, s7, s0
	v_mov_b32_e32 v1, s0
	v_mov_b32_e32 v2, s1
	flat_load_dwordx4 v[5:8], v[1:2]
	s_load_dwordx2 s[2:3], s[4:5], 0x50
	s_waitcnt lgkmcnt(0)
	s_cselect_b32 s0, s10, s3
	s_cselect_b32 s1, s9, s2
	v_mov_b32_e32 v1, s1
	v_mov_b32_e32 v2, s0
	flat_load_dwordx4 v[1:4], v[1:2]
	s_waitcnt vmcnt(0)
	v_cmp_eq_f64_e32 vcc, 0, v[5:6]
	v_cmp_eq_f64_e64 s[0:1], 0, v[7:8]
	s_and_b64 s[8:9], vcc, s[0:1]
	s_mov_b64 s[0:1], -1
	s_and_saveexec_b64 s[2:3], s[8:9]
	s_cbranch_execz .LBB137_2
; %bb.1:
	s_waitcnt lgkmcnt(0)
	v_cmp_neq_f64_e32 vcc, 1.0, v[1:2]
	v_cmp_neq_f64_e64 s[0:1], 0, v[3:4]
	s_or_b64 s[0:1], vcc, s[0:1]
	s_orn2_b64 s[0:1], s[0:1], exec
.LBB137_2:
	s_or_b64 exec, exec, s[2:3]
	s_and_saveexec_b64 s[2:3], s[0:1]
	s_cbranch_execz .LBB137_8
; %bb.3:
	s_load_dwordx2 s[8:9], s[4:5], 0x20
	s_load_dwordx2 s[0:1], s[4:5], 0x0
	v_lshrrev_b32_e32 v9, 4, v0
	v_lshl_or_b32 v21, s6, 3, v9
	s_mov_b64 s[2:3], 0
	s_waitcnt lgkmcnt(0)
	s_cmp_lg_u64 s[8:9], 0
	s_cbranch_scc0 .LBB137_9
; %bb.4:
	s_load_dword s6, s[4:5], 0x18
                                        ; implicit-def: $vgpr9
	s_waitcnt lgkmcnt(0)
	v_cmp_gt_i32_e32 vcc, s6, v21
	s_and_saveexec_b64 s[6:7], vcc
	s_xor_b64 s[6:7], exec, s[6:7]
	s_cbranch_execz .LBB137_6
; %bb.5:
	v_ashrrev_i32_e32 v22, 31, v21
	v_lshlrev_b64 v[9:10], 2, v[21:22]
	v_mov_b32_e32 v11, s9
	v_add_co_u32_e32 v9, vcc, s8, v9
	v_addc_co_u32_e32 v10, vcc, v11, v10, vcc
	global_load_dword v9, v[9:10], off
	s_mov_b64 s[2:3], exec
	s_waitcnt vmcnt(0)
	v_subrev_u32_e32 v9, s16, v9
.LBB137_6:
	s_or_b64 exec, exec, s[6:7]
	s_branch .LBB137_10
.LBB137_7:
	v_cmp_gt_i32_e32 vcc, s0, v21
	s_andn2_b64 s[2:3], s[2:3], exec
	s_and_b64 s[6:7], vcc, exec
	s_or_b64 s[2:3], s[2:3], s[6:7]
	s_and_b64 exec, exec, s[2:3]
	s_cbranch_execnz .LBB137_11
.LBB137_8:
	s_endpgm
.LBB137_9:
                                        ; implicit-def: $vgpr9
	s_cbranch_execnz .LBB137_7
.LBB137_10:
	v_mov_b32_e32 v21, v9
	s_and_b64 exec, exec, s[2:3]
	s_cbranch_execz .LBB137_8
.LBB137_11:
	s_load_dwordx8 s[8:15], s[4:5], 0x28
	v_ashrrev_i32_e32 v22, 31, v21
	v_lshlrev_b64 v[9:10], 2, v[21:22]
	v_and_b32_e32 v0, 15, v0
	s_load_dwordx2 s[6:7], s[4:5], 0x48
	s_waitcnt lgkmcnt(0)
	v_mov_b32_e32 v12, s9
	v_add_co_u32_e32 v11, vcc, s8, v9
	v_addc_co_u32_e32 v12, vcc, v12, v10, vcc
	global_load_dword v41, v[11:12], off
	v_add_co_u32_e32 v11, vcc, 4, v11
	v_addc_co_u32_e32 v12, vcc, 0, v12, vcc
	v_mov_b32_e32 v13, s11
	v_add_co_u32_e32 v9, vcc, s10, v9
	s_cmp_eq_u64 s[10:11], 0
	v_addc_co_u32_e32 v10, vcc, v13, v10, vcc
	s_cselect_b64 vcc, -1, 0
	v_cndmask_b32_e32 v10, v10, v12, vcc
	v_cndmask_b32_e32 v9, v9, v11, vcc
	global_load_dword v10, v[9:10], off
	v_mov_b32_e32 v13, s15
	s_cmp_eq_u32 s1, 1
	s_waitcnt vmcnt(1)
	v_subrev_u32_e32 v9, s16, v41
	v_add_u32_e32 v9, v9, v0
	s_waitcnt vmcnt(0)
	v_subrev_u32_e32 v40, s16, v10
	v_ashrrev_i32_e32 v10, 31, v9
	v_lshlrev_b64 v[11:12], 7, v[9:10]
	v_cmp_lt_i32_e64 s[0:1], v9, v40
	v_add_co_u32_e32 v11, vcc, s14, v11
	v_addc_co_u32_e32 v12, vcc, v13, v12, vcc
	s_cbranch_scc1 .LBB137_23
; %bb.12:
	v_mov_b32_e32 v19, 0
	v_mov_b32_e32 v24, 0
	;; [unrolled: 1-line block ×16, first 2 shown]
	s_and_saveexec_b64 s[8:9], s[0:1]
	s_cbranch_execz .LBB137_22
; %bb.13:
	v_add_u32_e32 v10, v41, v0
	v_subrev_u32_e32 v10, s16, v10
	v_add_u32_e32 v10, 16, v10
	v_max_i32_e32 v10, v10, v40
	v_not_b32_e32 v13, v41
	v_add3_u32 v10, s16, v10, v13
	v_sub_u32_e32 v10, v10, v0
	v_and_b32_e32 v13, 48, v10
	v_mov_b32_e32 v30, 0
	v_mov_b32_e32 v32, 0
	;; [unrolled: 1-line block ×9, first 2 shown]
	v_cmp_ne_u32_e32 vcc, 48, v13
	v_mov_b32_e32 v31, 0
	v_mov_b32_e32 v33, 0
	;; [unrolled: 1-line block ×10, first 2 shown]
	s_and_saveexec_b64 s[10:11], vcc
	s_cbranch_execz .LBB137_17
; %bb.14:
	v_lshrrev_b32_e32 v13, 4, v10
	v_add_u32_e32 v13, 1, v13
	v_and_b32_e32 v13, 3, v13
	v_mov_b32_e32 v19, 0
	s_mov_b32 s18, 0
	v_mov_b32_e32 v24, 0
	v_mov_b32_e32 v17, 0
	v_mov_b32_e32 v22, 0
	v_mov_b32_e32 v26, 0
	v_mov_b32_e32 v28, 0
	v_mov_b32_e32 v32, 0
	v_mov_b32_e32 v30, 0
	v_mov_b32_e32 v16, v12
	v_sub_u32_e32 v34, 0, v13
	v_mov_b32_e32 v20, 0
	s_mov_b64 s[14:15], 0
	v_mov_b32_e32 v35, s13
	v_mov_b32_e32 v36, s7
	s_brev_b32 s19, 1
	v_mov_b32_e32 v13, v9
	v_mov_b32_e32 v25, 0
	;; [unrolled: 1-line block ×9, first 2 shown]
.LBB137_15:                             ; =>This Inner Loop Header: Depth=1
	v_ashrrev_i32_e32 v14, 31, v13
	v_lshlrev_b64 v[37:38], 2, v[13:14]
	global_load_dwordx4 v[42:45], v[15:16], off
	global_load_dwordx4 v[50:53], v[15:16], off offset:32
	v_add_co_u32_e32 v37, vcc, s12, v37
	v_addc_co_u32_e32 v38, vcc, v35, v38, vcc
	global_load_dword v14, v[37:38], off
	v_add_co_u32_e64 v34, s[2:3], 1, v34
	s_or_b64 s[14:15], s[2:3], s[14:15]
	v_add_u32_e32 v13, 16, v13
	s_waitcnt vmcnt(0)
	v_subrev_u32_e32 v14, s16, v14
	v_lshlrev_b32_e32 v37, 2, v14
	v_ashrrev_i32_e32 v38, 31, v37
	v_lshlrev_b64 v[37:38], 4, v[37:38]
	v_add_co_u32_e32 v37, vcc, s6, v37
	v_addc_co_u32_e32 v38, vcc, v36, v38, vcc
	global_load_dwordx4 v[46:49], v[37:38], off
	s_waitcnt vmcnt(0)
	v_fma_f64 v[56:57], v[46:47], 0, v[19:20]
	v_fma_f64 v[60:61], v[46:47], 0, v[17:18]
	global_load_dwordx4 v[17:20], v[15:16], off offset:64
	v_fma_f64 v[54:55], v[42:43], v[46:47], v[24:25]
	v_fma_f64 v[58:59], v[50:51], v[46:47], v[22:23]
	;; [unrolled: 1-line block ×3, first 2 shown]
	global_load_dwordx4 v[22:25], v[15:16], off offset:96
	v_fma_f64 v[32:33], v[46:47], 0, v[32:33]
	v_fma_f64 v[42:43], v[42:43], v[48:49], v[56:57]
	;; [unrolled: 1-line block ×3, first 2 shown]
	s_waitcnt vmcnt(1)
	v_fma_f64 v[28:29], v[17:18], v[46:47], v[28:29]
	v_fma_f64 v[17:18], v[17:18], v[48:49], v[26:27]
	s_waitcnt vmcnt(0)
	v_fma_f64 v[30:31], v[22:23], v[46:47], v[30:31]
	v_fma_f64 v[46:47], v[48:49], s[18:19], v[54:55]
	;; [unrolled: 1-line block ×5, first 2 shown]
	global_load_dwordx4 v[26:29], v[37:38], off offset:16
	v_fma_f64 v[30:31], v[48:49], s[18:19], v[30:31]
	s_waitcnt vmcnt(0)
	v_fma_f64 v[32:33], v[26:27], 0, v[42:43]
	v_fma_f64 v[17:18], v[26:27], 0, v[17:18]
	;; [unrolled: 1-line block ×15, first 2 shown]
	global_load_dwordx4 v[17:20], v[15:16], off offset:16
	v_fma_f64 v[46:47], v[28:29], s[18:19], v[22:23]
	global_load_dwordx4 v[22:25], v[37:38], off offset:32
	s_waitcnt vmcnt(0)
	v_fma_f64 v[48:49], v[17:18], v[22:23], v[26:27]
	global_load_dwordx4 v[26:29], v[15:16], off offset:48
	v_fma_f64 v[54:55], v[22:23], 0, v[32:33]
	v_fma_f64 v[58:59], v[22:23], 0, v[44:45]
	;; [unrolled: 1-line block ×4, first 2 shown]
	s_waitcnt vmcnt(0)
	v_fma_f64 v[56:57], v[26:27], v[22:23], v[30:31]
	global_load_dwordx4 v[30:33], v[15:16], off offset:80
	v_fma_f64 v[26:27], v[26:27], v[24:25], v[58:59]
	v_fma_f64 v[54:55], v[24:25], s[18:19], v[56:57]
	s_waitcnt vmcnt(0)
	v_fma_f64 v[60:61], v[30:31], v[22:23], v[42:43]
	global_load_dwordx4 v[42:45], v[15:16], off offset:112
	v_fma_f64 v[30:31], v[30:31], v[24:25], v[50:51]
	v_add_co_u32_e32 v15, vcc, 0x800, v15
	v_addc_co_u32_e32 v16, vcc, 0, v16, vcc
	v_fma_f64 v[56:57], v[24:25], s[18:19], v[60:61]
	s_waitcnt vmcnt(0)
	v_fma_f64 v[46:47], v[42:43], v[22:23], v[46:47]
	v_fma_f64 v[22:23], v[22:23], 0, v[52:53]
	;; [unrolled: 1-line block ×4, first 2 shown]
	global_load_dwordx4 v[46:49], v[37:38], off offset:48
	v_fma_f64 v[22:23], v[42:43], v[24:25], v[22:23]
	s_waitcnt vmcnt(0)
	v_fma_f64 v[17:18], v[46:47], 0, v[17:18]
	v_fma_f64 v[24:25], v[19:20], v[46:47], v[52:53]
	;; [unrolled: 1-line block ×16, first 2 shown]
	s_andn2_b64 exec, exec, s[14:15]
	s_cbranch_execnz .LBB137_15
; %bb.16:
	s_or_b64 exec, exec, s[14:15]
.LBB137_17:
	s_or_b64 exec, exec, s[10:11]
	v_cmp_lt_u32_e32 vcc, 47, v10
	s_and_saveexec_b64 s[10:11], vcc
	s_cbranch_execz .LBB137_21
; %bb.18:
	s_mov_b32 s18, 0
	s_mov_b64 s[14:15], 0
	v_mov_b32_e32 v10, s13
	v_mov_b32_e32 v42, s7
	s_brev_b32 s19, 1
	s_movk_i32 s17, 0x1000
.LBB137_19:                             ; =>This Inner Loop Header: Depth=1
	v_ashrrev_i32_e32 v14, 31, v13
	v_lshlrev_b64 v[34:35], 2, v[13:14]
	v_add_u32_e32 v13, 64, v13
	v_add_co_u32_e32 v36, vcc, s12, v34
	v_addc_co_u32_e32 v37, vcc, v10, v35, vcc
	global_load_dword v14, v[36:37], off
	global_load_dwordx4 v[43:46], v[15:16], off offset:48
	global_load_dwordx4 v[47:50], v[15:16], off offset:32
	;; [unrolled: 1-line block ×3, first 2 shown]
	global_load_dwordx4 v[55:58], v[15:16], off
	v_cmp_ge_i32_e64 s[2:3], v13, v40
	s_or_b64 s[14:15], s[2:3], s[14:15]
	s_waitcnt vmcnt(4)
	v_subrev_u32_e32 v14, s16, v14
	v_lshlrev_b32_e32 v34, 2, v14
	v_ashrrev_i32_e32 v35, 31, v34
	v_lshlrev_b64 v[34:35], 4, v[34:35]
	v_add_co_u32_e32 v34, vcc, s6, v34
	v_addc_co_u32_e32 v35, vcc, v42, v35, vcc
	global_load_dwordx4 v[59:62], v[34:35], off offset:48
	global_load_dwordx4 v[63:66], v[34:35], off offset:32
	;; [unrolled: 1-line block ×3, first 2 shown]
	global_load_dwordx4 v[71:74], v[34:35], off
	s_waitcnt vmcnt(0)
	v_fma_f64 v[19:20], v[71:72], 0, v[19:20]
	v_fma_f64 v[24:25], v[55:56], v[71:72], v[24:25]
	;; [unrolled: 1-line block ×33, first 2 shown]
	global_load_dwordx4 v[17:20], v[15:16], off offset:112
	global_load_dwordx4 v[22:25], v[15:16], off offset:96
	;; [unrolled: 1-line block ×4, first 2 shown]
	global_load_dword v14, v[36:37], off offset:64
	s_waitcnt vmcnt(1)
	v_fma_f64 v[28:29], v[47:48], v[71:72], v[28:29]
	v_fma_f64 v[26:27], v[47:48], v[73:74], v[26:27]
	s_waitcnt vmcnt(0)
	v_subrev_u32_e32 v14, s16, v14
	v_fma_f64 v[28:29], v[73:74], s[18:19], v[28:29]
	v_fma_f64 v[26:27], v[67:68], 0, v[26:27]
	;; [unrolled: 1-line block ×8, first 2 shown]
	v_lshlrev_b32_e32 v43, 2, v14
	v_ashrrev_i32_e32 v44, 31, v43
	v_lshlrev_b64 v[43:44], 4, v[43:44]
	v_fma_f64 v[28:29], v[65:66], s[18:19], v[28:29]
	v_fma_f64 v[26:27], v[59:60], 0, v[26:27]
	;; [unrolled: 1-line block ×21, first 2 shown]
	v_add_co_u32_e32 v61, vcc, s6, v43
	v_addc_co_u32_e32 v62, vcc, v42, v44, vcc
	global_load_dwordx4 v[17:20], v[15:16], off offset:2096
	global_load_dwordx4 v[22:25], v[15:16], off offset:2080
	;; [unrolled: 1-line block ×7, first 2 shown]
	global_load_dwordx4 v[55:58], v[61:62], off
	s_waitcnt vmcnt(0)
	v_fma_f64 v[38:39], v[55:56], 0, v[38:39]
	v_fma_f64 v[34:35], v[30:31], v[55:56], v[34:35]
	;; [unrolled: 1-line block ×33, first 2 shown]
	global_load_dwordx4 v[17:20], v[15:16], off offset:2160
	global_load_dwordx4 v[22:25], v[15:16], off offset:2144
	;; [unrolled: 1-line block ×4, first 2 shown]
	global_load_dword v14, v[36:37], off offset:128
	s_waitcnt vmcnt(1)
	v_fma_f64 v[34:35], v[30:31], v[55:56], v[79:80]
	v_fma_f64 v[30:31], v[30:31], v[57:58], v[69:70]
	s_waitcnt vmcnt(0)
	v_subrev_u32_e32 v14, s16, v14
	v_fma_f64 v[34:35], v[57:58], s[18:19], v[34:35]
	v_fma_f64 v[30:31], v[51:52], 0, v[30:31]
	;; [unrolled: 1-line block ×23, first 2 shown]
	v_add_co_u32_e32 v26, vcc, s17, v15
	v_addc_co_u32_e32 v27, vcc, 0, v16, vcc
	v_fma_f64 v[24:25], v[49:50], s[18:19], v[24:25]
	v_fma_f64 v[17:18], v[17:18], v[49:50], v[22:23]
	;; [unrolled: 1-line block ×4, first 2 shown]
	v_lshlrev_b32_e32 v43, 2, v14
	v_ashrrev_i32_e32 v44, 31, v43
	v_lshlrev_b64 v[43:44], 4, v[43:44]
	v_add_co_u32_e32 v59, vcc, s6, v43
	v_addc_co_u32_e32 v60, vcc, v42, v44, vcc
	v_fma_f64 v[75:76], v[45:46], s[18:19], v[22:23]
	v_fma_f64 v[77:78], v[19:20], v[45:46], v[17:18]
	global_load_dwordx4 v[17:20], v[26:27], off
	global_load_dwordx4 v[22:25], v[26:27], off offset:48
	global_load_dwordx4 v[28:31], v[26:27], off offset:32
	;; [unrolled: 1-line block ×6, first 2 shown]
	global_load_dwordx4 v[55:58], v[59:60], off
	s_waitcnt vmcnt(0)
	v_fma_f64 v[38:39], v[17:18], v[55:56], v[38:39]
	v_fma_f64 v[59:60], v[55:56], 0, v[61:62]
	v_fma_f64 v[38:39], v[57:58], s[18:19], v[38:39]
	v_fma_f64 v[17:18], v[17:18], v[57:58], v[59:60]
	v_fma_f64 v[38:39], v[19:20], v[51:52], v[38:39]
	v_fma_f64 v[17:18], v[51:52], 0, v[17:18]
	v_fma_f64 v[38:39], v[53:54], s[18:19], v[38:39]
	v_fma_f64 v[17:18], v[19:20], v[53:54], v[17:18]
	v_fma_f64 v[19:20], v[32:33], v[47:48], v[38:39]
	v_fma_f64 v[17:18], v[47:48], 0, v[17:18]
	v_fma_f64 v[19:20], v[49:50], s[18:19], v[19:20]
	v_fma_f64 v[32:33], v[32:33], v[49:50], v[17:18]
	v_fma_f64 v[17:18], v[34:35], v[43:44], v[19:20]
	v_fma_f64 v[19:20], v[43:44], 0, v[32:33]
	v_fma_f64 v[32:33], v[28:29], v[55:56], v[65:66]
	v_fma_f64 v[17:18], v[45:46], s[18:19], v[17:18]
	v_fma_f64 v[19:20], v[34:35], v[45:46], v[19:20]
	v_fma_f64 v[32:33], v[57:58], s[18:19], v[32:33]
	v_fma_f64 v[34:35], v[55:56], 0, v[67:68]
	v_fma_f64 v[32:33], v[30:31], v[51:52], v[32:33]
	v_fma_f64 v[28:29], v[28:29], v[57:58], v[34:35]
	v_fma_f64 v[32:33], v[53:54], s[18:19], v[32:33]
	v_fma_f64 v[28:29], v[51:52], 0, v[28:29]
	v_fma_f64 v[28:29], v[30:31], v[53:54], v[28:29]
	v_fma_f64 v[30:31], v[22:23], v[47:48], v[32:33]
	v_fma_f64 v[28:29], v[47:48], 0, v[28:29]
	v_fma_f64 v[30:31], v[49:50], s[18:19], v[30:31]
	v_fma_f64 v[28:29], v[22:23], v[49:50], v[28:29]
	v_fma_f64 v[22:23], v[24:25], v[43:44], v[30:31]
	global_load_dwordx4 v[59:62], v[26:27], off offset:112
	global_load_dwordx4 v[30:33], v[26:27], off offset:96
	global_load_dwordx4 v[63:66], v[26:27], off offset:80
	global_load_dwordx4 v[67:70], v[26:27], off offset:64
	global_load_dword v14, v[36:37], off offset:192
	v_fma_f64 v[28:29], v[43:44], 0, v[28:29]
	v_fma_f64 v[22:23], v[45:46], s[18:19], v[22:23]
	;; [unrolled: 1-line block ×4, first 2 shown]
	s_waitcnt vmcnt(1)
	v_fma_f64 v[24:25], v[67:68], v[55:56], v[71:72]
	v_fma_f64 v[28:29], v[67:68], v[57:58], v[28:29]
	s_waitcnt vmcnt(0)
	v_subrev_u32_e32 v14, s16, v14
	v_fma_f64 v[24:25], v[57:58], s[18:19], v[24:25]
	v_fma_f64 v[28:29], v[51:52], 0, v[28:29]
	;; [unrolled: 1-line block ×29, first 2 shown]
	v_lshlrev_b32_e32 v24, 2, v14
	v_ashrrev_i32_e32 v25, 31, v24
	v_lshlrev_b64 v[24:25], 4, v[24:25]
	global_load_dwordx4 v[43:46], v[26:27], off offset:2096
	global_load_dwordx4 v[47:50], v[26:27], off offset:2080
	;; [unrolled: 1-line block ×4, first 2 shown]
	v_add_co_u32_e32 v24, vcc, s6, v24
	v_addc_co_u32_e32 v25, vcc, v42, v25, vcc
	global_load_dwordx4 v[59:62], v[24:25], off offset:48
	global_load_dwordx4 v[63:66], v[24:25], off offset:32
	;; [unrolled: 1-line block ×3, first 2 shown]
	global_load_dwordx4 v[71:74], v[24:25], off
	v_add_co_u32_e32 v15, vcc, 0x2000, v15
	v_addc_co_u32_e32 v16, vcc, 0, v16, vcc
	s_waitcnt vmcnt(0)
	v_fma_f64 v[17:18], v[55:56], v[71:72], v[17:18]
	v_fma_f64 v[19:20], v[71:72], 0, v[19:20]
	;; [unrolled: 1-line block ×34, first 2 shown]
	global_load_dwordx4 v[36:39], v[26:27], off offset:2160
	global_load_dwordx4 v[43:46], v[26:27], off offset:2144
	;; [unrolled: 1-line block ×4, first 2 shown]
	s_waitcnt vmcnt(2)
	v_fma_f64 v[32:33], v[43:44], v[71:72], v[32:33]
	v_fma_f64 v[30:31], v[43:44], v[73:74], v[30:31]
	s_waitcnt vmcnt(0)
	v_fma_f64 v[26:27], v[51:52], v[71:72], v[34:35]
	v_fma_f64 v[28:29], v[51:52], v[73:74], v[28:29]
	;; [unrolled: 1-line block ×28, first 2 shown]
	s_andn2_b64 exec, exec, s[14:15]
	s_cbranch_execnz .LBB137_19
; %bb.20:
	s_or_b64 exec, exec, s[14:15]
.LBB137_21:
	s_or_b64 exec, exec, s[10:11]
.LBB137_22:
	s_or_b64 exec, exec, s[8:9]
	s_cbranch_execz .LBB137_24
	s_branch .LBB137_35
.LBB137_23:
                                        ; implicit-def: $vgpr19_vgpr20
                                        ; implicit-def: $vgpr24_vgpr25
                                        ; implicit-def: $vgpr17_vgpr18
                                        ; implicit-def: $vgpr22_vgpr23
                                        ; implicit-def: $vgpr26_vgpr27
                                        ; implicit-def: $vgpr28_vgpr29
                                        ; implicit-def: $vgpr32_vgpr33
                                        ; implicit-def: $vgpr30_vgpr31
.LBB137_24:
	v_mov_b32_e32 v19, 0
	v_mov_b32_e32 v24, 0
	;; [unrolled: 1-line block ×16, first 2 shown]
	s_and_saveexec_b64 s[2:3], s[0:1]
	s_cbranch_execz .LBB137_34
; %bb.25:
	v_add_u32_e32 v10, v41, v0
	v_subrev_u32_e32 v10, s16, v10
	v_add_u32_e32 v10, 16, v10
	v_max_i32_e32 v10, v10, v40
	v_not_b32_e32 v13, v41
	v_add3_u32 v10, s16, v10, v13
	v_sub_u32_e32 v13, v10, v0
	v_and_b32_e32 v10, 48, v13
	v_mov_b32_e32 v30, 0
	v_mov_b32_e32 v32, 0
	;; [unrolled: 1-line block ×16, first 2 shown]
	v_cmp_ne_u32_e32 vcc, 48, v10
	s_and_saveexec_b64 s[8:9], vcc
	s_cbranch_execz .LBB137_29
; %bb.26:
	v_lshrrev_b32_e32 v10, 4, v13
	v_add_u32_e32 v10, 1, v10
	v_and_b32_e32 v10, 3, v10
	v_mov_b32_e32 v19, 0
	s_mov_b32 s14, 0
	v_mov_b32_e32 v24, 0
	v_mov_b32_e32 v17, 0
	v_mov_b32_e32 v22, 0
	v_mov_b32_e32 v26, 0
	v_mov_b32_e32 v28, 0
	v_mov_b32_e32 v32, 0
	v_mov_b32_e32 v30, 0
	v_sub_u32_e32 v14, 0, v10
	v_mov_b32_e32 v20, 0
	s_mov_b64 s[10:11], 0
	v_mov_b32_e32 v15, s13
	s_brev_b32 s15, 1
	v_mov_b32_e32 v25, 0
	v_mov_b32_e32 v18, 0
	;; [unrolled: 1-line block ×8, first 2 shown]
.LBB137_27:                             ; =>This Inner Loop Header: Depth=1
	v_ashrrev_i32_e32 v10, 31, v9
	v_lshlrev_b64 v[34:35], 2, v[9:10]
	v_add_co_u32_e64 v14, s[0:1], 1, v14
	v_add_co_u32_e32 v38, vcc, s12, v34
	v_addc_co_u32_e32 v39, vcc, v15, v35, vcc
	global_load_dword v10, v[38:39], off
	global_load_dwordx4 v[34:37], v[11:12], off offset:16
	global_load_dwordx4 v[41:44], v[11:12], off
	s_or_b64 s[10:11], s[0:1], s[10:11]
	v_add_u32_e32 v9, 16, v9
	s_waitcnt vmcnt(2)
	v_subrev_u32_e32 v10, s16, v10
	v_lshlrev_b32_e32 v38, 2, v10
	v_ashrrev_i32_e32 v39, 31, v38
	v_lshlrev_b64 v[38:39], 4, v[38:39]
	v_add_co_u32_e32 v38, vcc, s6, v38
	v_addc_co_u32_e32 v39, vcc, v16, v39, vcc
	global_load_dwordx4 v[45:48], v[38:39], off
	global_load_dwordx4 v[49:52], v[11:12], off offset:32
	global_load_dwordx4 v[53:56], v[11:12], off offset:48
	;; [unrolled: 1-line block ×9, first 2 shown]
	v_add_co_u32_e32 v11, vcc, 0x800, v11
	v_addc_co_u32_e32 v12, vcc, 0, v12, vcc
	s_waitcnt vmcnt(9)
	v_fma_f64 v[24:25], v[41:42], v[45:46], v[24:25]
	v_fma_f64 v[19:20], v[45:46], 0, v[19:20]
	v_fma_f64 v[22:23], v[43:44], v[45:46], v[22:23]
	v_fma_f64 v[17:18], v[45:46], 0, v[17:18]
	v_fma_f64 v[28:29], v[34:35], v[45:46], v[28:29]
	v_fma_f64 v[26:27], v[45:46], 0, v[26:27]
	v_fma_f64 v[30:31], v[36:37], v[45:46], v[30:31]
	v_fma_f64 v[32:33], v[45:46], 0, v[32:33]
	v_fma_f64 v[24:25], v[47:48], s[14:15], v[24:25]
	v_fma_f64 v[19:20], v[41:42], v[47:48], v[19:20]
	v_fma_f64 v[22:23], v[47:48], s[14:15], v[22:23]
	v_fma_f64 v[17:18], v[43:44], v[47:48], v[17:18]
	v_fma_f64 v[28:29], v[47:48], s[14:15], v[28:29]
	v_fma_f64 v[26:27], v[34:35], v[47:48], v[26:27]
	v_fma_f64 v[30:31], v[47:48], s[14:15], v[30:31]
	v_fma_f64 v[32:33], v[36:37], v[47:48], v[32:33]
	s_waitcnt vmcnt(6)
	v_fma_f64 v[24:25], v[49:50], v[57:58], v[24:25]
	v_fma_f64 v[19:20], v[57:58], 0, v[19:20]
	v_fma_f64 v[22:23], v[51:52], v[57:58], v[22:23]
	v_fma_f64 v[17:18], v[57:58], 0, v[17:18]
	v_fma_f64 v[28:29], v[53:54], v[57:58], v[28:29]
	v_fma_f64 v[26:27], v[57:58], 0, v[26:27]
	v_fma_f64 v[30:31], v[55:56], v[57:58], v[30:31]
	v_fma_f64 v[32:33], v[57:58], 0, v[32:33]
	v_fma_f64 v[24:25], v[59:60], s[14:15], v[24:25]
	v_fma_f64 v[19:20], v[49:50], v[59:60], v[19:20]
	v_fma_f64 v[22:23], v[59:60], s[14:15], v[22:23]
	v_fma_f64 v[17:18], v[51:52], v[59:60], v[17:18]
	v_fma_f64 v[28:29], v[59:60], s[14:15], v[28:29]
	v_fma_f64 v[26:27], v[53:54], v[59:60], v[26:27]
	v_fma_f64 v[30:31], v[59:60], s[14:15], v[30:31]
	v_fma_f64 v[32:33], v[55:56], v[59:60], v[32:33]
	;; [unrolled: 17-line block ×4, first 2 shown]
	s_andn2_b64 exec, exec, s[10:11]
	s_cbranch_execnz .LBB137_27
; %bb.28:
	s_or_b64 exec, exec, s[10:11]
.LBB137_29:
	s_or_b64 exec, exec, s[8:9]
	v_cmp_lt_u32_e32 vcc, 47, v13
	s_and_saveexec_b64 s[8:9], vcc
	s_cbranch_execz .LBB137_33
; %bb.30:
	s_mov_b32 s14, 0
	s_mov_b64 s[10:11], 0
	v_mov_b32_e32 v34, s13
	v_mov_b32_e32 v35, s7
	s_brev_b32 s15, 1
	s_movk_i32 s7, 0x1000
.LBB137_31:                             ; =>This Inner Loop Header: Depth=1
	v_ashrrev_i32_e32 v10, 31, v9
	v_lshlrev_b64 v[13:14], 2, v[9:10]
	v_add_u32_e32 v9, 64, v9
	v_add_co_u32_e32 v15, vcc, s12, v13
	v_addc_co_u32_e32 v16, vcc, v34, v14, vcc
	global_load_dword v10, v[15:16], off
	global_load_dwordx4 v[36:39], v[11:12], off offset:48
	global_load_dwordx4 v[41:44], v[11:12], off offset:32
	;; [unrolled: 1-line block ×3, first 2 shown]
	global_load_dwordx4 v[49:52], v[11:12], off
	v_cmp_ge_i32_e64 s[0:1], v9, v40
	s_or_b64 s[10:11], s[0:1], s[10:11]
	s_waitcnt vmcnt(4)
	v_subrev_u32_e32 v10, s16, v10
	v_lshlrev_b32_e32 v13, 2, v10
	v_ashrrev_i32_e32 v14, 31, v13
	v_lshlrev_b64 v[13:14], 4, v[13:14]
	v_add_co_u32_e32 v13, vcc, s6, v13
	v_addc_co_u32_e32 v14, vcc, v35, v14, vcc
	global_load_dwordx4 v[53:56], v[13:14], off offset:48
	global_load_dwordx4 v[57:60], v[13:14], off offset:32
	;; [unrolled: 1-line block ×3, first 2 shown]
	global_load_dwordx4 v[65:68], v[13:14], off
	s_waitcnt vmcnt(0)
	v_fma_f64 v[19:20], v[65:66], 0, v[19:20]
	v_fma_f64 v[17:18], v[65:66], 0, v[17:18]
	;; [unrolled: 1-line block ×35, first 2 shown]
	global_load_dwordx4 v[17:20], v[11:12], off offset:112
	global_load_dwordx4 v[22:25], v[11:12], off offset:96
	;; [unrolled: 1-line block ×4, first 2 shown]
	global_load_dword v10, v[15:16], off offset:64
	v_fma_f64 v[38:39], v[57:58], 0, v[38:39]
	s_waitcnt vmcnt(1)
	v_fma_f64 v[13:14], v[30:31], v[57:58], v[13:14]
	v_fma_f64 v[30:31], v[30:31], v[59:60], v[41:42]
	;; [unrolled: 1-line block ×11, first 2 shown]
	s_waitcnt vmcnt(0)
	v_subrev_u32_e32 v10, s16, v10
	v_fma_f64 v[43:44], v[59:60], s[14:15], v[43:44]
	v_fma_f64 v[36:37], v[59:60], s[14:15], v[36:37]
	;; [unrolled: 1-line block ×14, first 2 shown]
	v_lshlrev_b32_e32 v36, 2, v10
	v_ashrrev_i32_e32 v37, 31, v36
	v_lshlrev_b64 v[36:37], 4, v[36:37]
	v_fma_f64 v[67:68], v[55:56], s[14:15], v[17:18]
	v_fma_f64 v[17:18], v[53:54], 0, v[28:29]
	v_fma_f64 v[53:54], v[19:20], v[55:56], v[17:18]
	v_add_co_u32_e32 v55, vcc, s6, v36
	v_addc_co_u32_e32 v56, vcc, v35, v37, vcc
	global_load_dwordx4 v[17:20], v[11:12], off offset:2096
	global_load_dwordx4 v[22:25], v[11:12], off offset:2080
	;; [unrolled: 1-line block ×7, first 2 shown]
	global_load_dwordx4 v[49:52], v[55:56], off
	s_waitcnt vmcnt(0)
	v_fma_f64 v[55:56], v[49:50], 0, v[57:58]
	v_fma_f64 v[13:14], v[30:31], v[49:50], v[13:14]
	;; [unrolled: 1-line block ×32, first 2 shown]
	global_load_dwordx4 v[17:20], v[11:12], off offset:2160
	global_load_dwordx4 v[22:25], v[11:12], off offset:2144
	;; [unrolled: 1-line block ×4, first 2 shown]
	global_load_dword v10, v[15:16], off offset:128
	v_fma_f64 v[47:48], v[41:42], 0, v[49:50]
	v_fma_f64 v[49:50], v[41:42], 0, v[53:54]
	s_waitcnt vmcnt(1)
	v_fma_f64 v[13:14], v[30:31], v[41:42], v[13:14]
	v_fma_f64 v[30:31], v[30:31], v[43:44], v[47:48]
	;; [unrolled: 1-line block ×6, first 2 shown]
	s_waitcnt vmcnt(0)
	v_subrev_u32_e32 v10, s16, v10
	v_fma_f64 v[13:14], v[43:44], s[14:15], v[13:14]
	v_fma_f64 v[47:48], v[43:44], s[14:15], v[47:48]
	;; [unrolled: 1-line block ×23, first 2 shown]
	v_lshlrev_b32_e32 v36, 2, v10
	v_ashrrev_i32_e32 v37, 31, v36
	v_lshlrev_b64 v[36:37], 4, v[36:37]
	v_fma_f64 v[67:68], v[19:20], v[38:39], v[13:14]
	v_add_co_u32_e32 v13, vcc, s7, v11
	v_addc_co_u32_e32 v14, vcc, 0, v12, vcc
	v_add_co_u32_e32 v69, vcc, s6, v36
	v_addc_co_u32_e32 v70, vcc, v35, v37, vcc
	global_load_dwordx4 v[17:20], v[13:14], off
	global_load_dwordx4 v[22:25], v[13:14], off offset:48
	global_load_dwordx4 v[26:29], v[13:14], off offset:32
	;; [unrolled: 1-line block ×6, first 2 shown]
	global_load_dwordx4 v[49:52], v[69:70], off
	s_waitcnt vmcnt(0)
	v_fma_f64 v[55:56], v[49:50], 0, v[55:56]
	v_fma_f64 v[53:54], v[17:18], v[49:50], v[53:54]
	;; [unrolled: 1-line block ×32, first 2 shown]
	global_load_dwordx4 v[30:33], v[13:14], off offset:112
	global_load_dwordx4 v[22:25], v[13:14], off offset:96
	;; [unrolled: 1-line block ×4, first 2 shown]
	global_load_dword v10, v[15:16], off offset:192
	s_waitcnt vmcnt(1)
	v_fma_f64 v[47:48], v[26:27], v[41:42], v[49:50]
	v_fma_f64 v[49:50], v[41:42], 0, v[51:52]
	;; [unrolled: 1-line block ×3, first 2 shown]
	s_waitcnt vmcnt(0)
	v_subrev_u32_e32 v10, s16, v10
	v_lshlrev_b32_e32 v15, 2, v10
	v_ashrrev_i32_e32 v16, 31, v15
	v_lshlrev_b64 v[15:16], 4, v[15:16]
	v_fma_f64 v[47:48], v[43:44], s[14:15], v[47:48]
	v_fma_f64 v[26:27], v[26:27], v[43:44], v[49:50]
	;; [unrolled: 1-line block ×6, first 2 shown]
	v_add_co_u32_e32 v15, vcc, s6, v15
	v_addc_co_u32_e32 v16, vcc, v35, v16, vcc
	v_fma_f64 v[49:50], v[43:44], s[14:15], v[49:50]
	v_fma_f64 v[53:54], v[17:18], v[43:44], v[53:54]
	v_fma_f64 v[17:18], v[19:20], v[41:42], v[59:60]
	v_fma_f64 v[51:52], v[43:44], s[14:15], v[51:52]
	v_add_co_u32_e32 v11, vcc, 0x2000, v11
	v_addc_co_u32_e32 v12, vcc, 0, v12, vcc
	v_fma_f64 v[55:56], v[43:44], s[14:15], v[17:18]
	v_fma_f64 v[17:18], v[41:42], 0, v[45:46]
	;; [unrolled: 1-line block ×19, first 2 shown]
	global_load_dwordx4 v[36:39], v[13:14], off offset:2096
	global_load_dwordx4 v[41:44], v[13:14], off offset:2080
	;; [unrolled: 1-line block ×7, first 2 shown]
	global_load_dwordx4 v[65:68], v[15:16], off
	s_waitcnt vmcnt(0)
	v_fma_f64 v[15:16], v[49:50], v[65:66], v[17:18]
	v_fma_f64 v[17:18], v[65:66], 0, v[19:20]
	v_fma_f64 v[19:20], v[51:52], v[65:66], v[22:23]
	v_fma_f64 v[22:23], v[65:66], 0, v[24:25]
	v_fma_f64 v[24:25], v[45:46], v[65:66], v[26:27]
	v_fma_f64 v[26:27], v[65:66], 0, v[28:29]
	v_fma_f64 v[28:29], v[47:48], v[65:66], v[30:31]
	v_fma_f64 v[30:31], v[65:66], 0, v[32:33]
	v_fma_f64 v[15:16], v[67:68], s[14:15], v[15:16]
	v_fma_f64 v[17:18], v[49:50], v[67:68], v[17:18]
	v_fma_f64 v[19:20], v[67:68], s[14:15], v[19:20]
	v_fma_f64 v[22:23], v[51:52], v[67:68], v[22:23]
	v_fma_f64 v[24:25], v[67:68], s[14:15], v[24:25]
	v_fma_f64 v[26:27], v[45:46], v[67:68], v[26:27]
	v_fma_f64 v[28:29], v[67:68], s[14:15], v[28:29]
	v_fma_f64 v[30:31], v[47:48], v[67:68], v[30:31]
	v_fma_f64 v[15:16], v[41:42], v[61:62], v[15:16]
	v_fma_f64 v[45:46], v[63:64], s[14:15], v[15:16]
	v_fma_f64 v[15:16], v[61:62], 0, v[17:18]
	v_fma_f64 v[41:42], v[41:42], v[63:64], v[15:16]
	v_fma_f64 v[15:16], v[43:44], v[61:62], v[19:20]
	v_fma_f64 v[41:42], v[57:58], 0, v[41:42]
	v_fma_f64 v[19:20], v[63:64], s[14:15], v[15:16]
	v_fma_f64 v[15:16], v[61:62], 0, v[22:23]
	v_fma_f64 v[43:44], v[43:44], v[63:64], v[15:16]
	v_fma_f64 v[15:16], v[36:37], v[61:62], v[24:25]
	v_fma_f64 v[47:48], v[63:64], s[14:15], v[15:16]
	v_fma_f64 v[15:16], v[61:62], 0, v[26:27]
	v_fma_f64 v[36:37], v[36:37], v[63:64], v[15:16]
	v_fma_f64 v[15:16], v[38:39], v[61:62], v[28:29]
	v_fma_f64 v[49:50], v[63:64], s[14:15], v[15:16]
	v_fma_f64 v[15:16], v[61:62], 0, v[30:31]
	v_fma_f64 v[38:39], v[38:39], v[63:64], v[15:16]
	global_load_dwordx4 v[30:33], v[13:14], off offset:2160
	global_load_dwordx4 v[15:18], v[13:14], off offset:2144
	;; [unrolled: 1-line block ×4, first 2 shown]
	s_waitcnt vmcnt(0)
	v_fma_f64 v[19:20], v[28:29], v[57:58], v[19:20]
	v_fma_f64 v[13:14], v[26:27], v[57:58], v[45:46]
	;; [unrolled: 1-line block ×31, first 2 shown]
	s_andn2_b64 exec, exec, s[10:11]
	s_cbranch_execnz .LBB137_31
; %bb.32:
	s_or_b64 exec, exec, s[10:11]
.LBB137_33:
	s_or_b64 exec, exec, s[8:9]
.LBB137_34:
	s_or_b64 exec, exec, s[2:3]
.LBB137_35:
	v_mov_b32_dpp v9, v24 row_shr:1 row_mask:0xf bank_mask:0xf
	v_mov_b32_dpp v10, v25 row_shr:1 row_mask:0xf bank_mask:0xf
	v_add_f64 v[9:10], v[24:25], v[9:10]
	v_mov_b32_dpp v11, v19 row_shr:1 row_mask:0xf bank_mask:0xf
	v_mov_b32_dpp v12, v20 row_shr:1 row_mask:0xf bank_mask:0xf
	v_add_f64 v[11:12], v[19:20], v[11:12]
	;; [unrolled: 3-line block ×3, first 2 shown]
	v_mov_b32_dpp v35, v26 row_shr:1 row_mask:0xf bank_mask:0xf
	v_mov_b32_dpp v15, v9 row_shr:2 row_mask:0xf bank_mask:0xf
	;; [unrolled: 1-line block ×3, first 2 shown]
	v_add_f64 v[9:10], v[9:10], v[15:16]
	v_mov_b32_dpp v15, v11 row_shr:2 row_mask:0xf bank_mask:0xf
	v_mov_b32_dpp v16, v12 row_shr:2 row_mask:0xf bank_mask:0xf
	v_add_f64 v[11:12], v[11:12], v[15:16]
	v_mov_b32_dpp v15, v17 row_shr:1 row_mask:0xf bank_mask:0xf
	v_mov_b32_dpp v16, v18 row_shr:1 row_mask:0xf bank_mask:0xf
	;; [unrolled: 3-line block ×3, first 2 shown]
	v_add_f64 v[13:14], v[13:14], v[19:20]
	v_mov_b32_dpp v36, v27 row_shr:1 row_mask:0xf bank_mask:0xf
	v_add_f64 v[26:27], v[26:27], v[35:36]
	v_mov_b32_dpp v35, v30 row_shr:1 row_mask:0xf bank_mask:0xf
	v_mov_b32_dpp v36, v31 row_shr:1 row_mask:0xf bank_mask:0xf
	;; [unrolled: 1-line block ×4, first 2 shown]
	v_add_f64 v[15:16], v[15:16], v[19:20]
	v_mov_b32_dpp v19, v28 row_shr:1 row_mask:0xf bank_mask:0xf
	v_mov_b32_dpp v20, v29 row_shr:1 row_mask:0xf bank_mask:0xf
	v_add_f64 v[19:20], v[28:29], v[19:20]
	v_add_f64 v[30:31], v[30:31], v[35:36]
	v_mov_b32_dpp v35, v32 row_shr:1 row_mask:0xf bank_mask:0xf
	v_mov_b32_dpp v36, v33 row_shr:1 row_mask:0xf bank_mask:0xf
	v_add_f64 v[32:33], v[32:33], v[35:36]
	v_mov_b32_dpp v17, v9 row_shr:4 row_mask:0xf bank_mask:0xe
	v_mov_b32_dpp v18, v10 row_shr:4 row_mask:0xf bank_mask:0xe
	;; [unrolled: 3-line block ×6, first 2 shown]
	v_mov_b32_dpp v36, v26 row_shr:2 row_mask:0xf bank_mask:0xf
	v_mov_b32_dpp v37, v27 row_shr:2 row_mask:0xf bank_mask:0xf
	v_add_f64 v[28:29], v[19:20], v[17:18]
	v_add_f64 v[36:37], v[26:27], v[36:37]
	v_mov_b32_dpp v26, v30 row_shr:2 row_mask:0xf bank_mask:0xf
	v_mov_b32_dpp v27, v31 row_shr:2 row_mask:0xf bank_mask:0xf
	v_add_f64 v[30:31], v[30:31], v[26:27]
	v_mov_b32_dpp v26, v32 row_shr:2 row_mask:0xf bank_mask:0xf
	v_mov_b32_dpp v27, v33 row_shr:2 row_mask:0xf bank_mask:0xf
	;; [unrolled: 3-line block ×4, first 2 shown]
	v_mov_b32_dpp v35, v31 row_shr:4 row_mask:0xf bank_mask:0xe
	v_mov_b32_dpp v29, v37 row_shr:4 row_mask:0xf bank_mask:0xe
	v_add_f64 v[30:31], v[30:31], v[34:35]
	v_mov_b32_dpp v34, v32 row_shr:4 row_mask:0xf bank_mask:0xe
	v_mov_b32_dpp v35, v33 row_shr:4 row_mask:0xf bank_mask:0xe
	v_add_f64 v[28:29], v[36:37], v[28:29]
	v_add_f64 v[32:33], v[32:33], v[34:35]
	v_mov_b32_dpp v24, v9 row_shr:8 row_mask:0xf bank_mask:0xc
	v_mov_b32_dpp v25, v10 row_shr:8 row_mask:0xf bank_mask:0xc
	;; [unrolled: 1-line block ×16, first 2 shown]
	v_cmp_eq_u32_e32 vcc, 15, v0
	s_and_b64 exec, exec, vcc
	s_cbranch_execz .LBB137_8
; %bb.36:
	v_add_f64 v[11:12], v[11:12], v[22:23]
	v_add_f64 v[22:23], v[13:14], v[19:20]
	;; [unrolled: 1-line block ×8, first 2 shown]
	v_mul_f64 v[19:20], v[11:12], -v[7:8]
	v_mul_f64 v[11:12], v[5:6], v[11:12]
	v_mul_f64 v[28:29], v[13:14], -v[7:8]
	v_mul_f64 v[30:31], v[5:6], v[13:14]
	;; [unrolled: 2-line block ×4, first 2 shown]
	v_cmp_eq_f64_e32 vcc, 0, v[1:2]
	v_cmp_eq_f64_e64 s[0:1], 0, v[3:4]
	v_fma_f64 v[17:18], v[5:6], v[9:10], v[19:20]
	v_fma_f64 v[19:20], v[7:8], v[9:10], v[11:12]
	v_fma_f64 v[13:14], v[5:6], v[22:23], v[28:29]
	v_fma_f64 v[15:16], v[7:8], v[22:23], v[30:31]
	v_fma_f64 v[9:10], v[5:6], v[24:25], v[32:33]
	v_fma_f64 v[11:12], v[7:8], v[24:25], v[34:35]
	v_fma_f64 v[5:6], v[5:6], v[26:27], v[36:37]
	v_fma_f64 v[7:8], v[7:8], v[26:27], v[38:39]
	s_load_dwordx2 s[2:3], s[4:5], 0x60
	s_and_b64 s[0:1], vcc, s[0:1]
	v_lshlrev_b32_e32 v21, 2, v21
	s_and_saveexec_b64 s[4:5], s[0:1]
	s_xor_b64 s[0:1], exec, s[4:5]
	s_cbranch_execz .LBB137_38
; %bb.37:
	v_ashrrev_i32_e32 v22, 31, v21
	v_lshlrev_b64 v[0:1], 4, v[21:22]
	s_waitcnt lgkmcnt(0)
	v_mov_b32_e32 v2, s3
	v_add_co_u32_e32 v0, vcc, s2, v0
	v_addc_co_u32_e32 v1, vcc, v2, v1, vcc
	global_store_dwordx4 v[0:1], v[17:20], off
	global_store_dwordx4 v[0:1], v[13:16], off offset:16
	global_store_dwordx4 v[0:1], v[9:12], off offset:32
	;; [unrolled: 1-line block ×3, first 2 shown]
                                        ; implicit-def: $vgpr3_vgpr4
                                        ; implicit-def: $vgpr17_vgpr18
                                        ; implicit-def: $vgpr21
                                        ; implicit-def: $vgpr13_vgpr14
                                        ; implicit-def: $vgpr9_vgpr10
                                        ; implicit-def: $vgpr5_vgpr6
.LBB137_38:
	s_andn2_saveexec_b64 s[0:1], s[0:1]
	s_cbranch_execz .LBB137_8
; %bb.39:
	v_ashrrev_i32_e32 v22, 31, v21
	v_lshlrev_b64 v[21:22], 4, v[21:22]
	s_waitcnt lgkmcnt(0)
	v_mov_b32_e32 v0, s3
	v_add_co_u32_e32 v37, vcc, s2, v21
	v_addc_co_u32_e32 v38, vcc, v0, v22, vcc
	global_load_dwordx4 v[21:24], v[37:38], off
	global_load_dwordx4 v[25:28], v[37:38], off offset:16
	global_load_dwordx4 v[29:32], v[37:38], off offset:32
	;; [unrolled: 1-line block ×3, first 2 shown]
	s_waitcnt vmcnt(3)
	v_fma_f64 v[17:18], v[1:2], v[21:22], v[17:18]
	v_fma_f64 v[19:20], v[3:4], v[21:22], v[19:20]
	s_waitcnt vmcnt(2)
	v_fma_f64 v[13:14], v[1:2], v[25:26], v[13:14]
	v_fma_f64 v[15:16], v[3:4], v[25:26], v[15:16]
	;; [unrolled: 3-line block ×4, first 2 shown]
	v_fma_f64 v[5:6], -v[3:4], v[23:24], v[17:18]
	v_fma_f64 v[7:8], v[1:2], v[23:24], v[19:20]
	v_fma_f64 v[9:10], -v[3:4], v[27:28], v[13:14]
	v_fma_f64 v[11:12], v[1:2], v[27:28], v[15:16]
	;; [unrolled: 2-line block ×4, first 2 shown]
	global_store_dwordx4 v[37:38], v[5:8], off
	global_store_dwordx4 v[37:38], v[9:12], off offset:16
	global_store_dwordx4 v[37:38], v[13:16], off offset:32
	;; [unrolled: 1-line block ×3, first 2 shown]
	s_endpgm
	.section	.rodata,"a",@progbits
	.p2align	6, 0x0
	.amdhsa_kernel _ZN9rocsparseL18bsrxmvn_4x4_kernelILj128ELj16E21rocsparse_complex_numIdEiidS2_S2_EEvT3_20rocsparse_direction_NS_24const_host_device_scalarIT1_EES3_PKS3_PKT2_SC_S9_PKT4_PKT5_S7_PT6_21rocsparse_index_base_b
		.amdhsa_group_segment_fixed_size 0
		.amdhsa_private_segment_fixed_size 0
		.amdhsa_kernarg_size 112
		.amdhsa_user_sgpr_count 6
		.amdhsa_user_sgpr_private_segment_buffer 1
		.amdhsa_user_sgpr_dispatch_ptr 0
		.amdhsa_user_sgpr_queue_ptr 0
		.amdhsa_user_sgpr_kernarg_segment_ptr 1
		.amdhsa_user_sgpr_dispatch_id 0
		.amdhsa_user_sgpr_flat_scratch_init 0
		.amdhsa_user_sgpr_private_segment_size 0
		.amdhsa_uses_dynamic_stack 0
		.amdhsa_system_sgpr_private_segment_wavefront_offset 0
		.amdhsa_system_sgpr_workgroup_id_x 1
		.amdhsa_system_sgpr_workgroup_id_y 0
		.amdhsa_system_sgpr_workgroup_id_z 0
		.amdhsa_system_sgpr_workgroup_info 0
		.amdhsa_system_vgpr_workitem_id 0
		.amdhsa_next_free_vgpr 85
		.amdhsa_next_free_sgpr 20
		.amdhsa_reserve_vcc 1
		.amdhsa_reserve_flat_scratch 0
		.amdhsa_float_round_mode_32 0
		.amdhsa_float_round_mode_16_64 0
		.amdhsa_float_denorm_mode_32 3
		.amdhsa_float_denorm_mode_16_64 3
		.amdhsa_dx10_clamp 1
		.amdhsa_ieee_mode 1
		.amdhsa_fp16_overflow 0
		.amdhsa_exception_fp_ieee_invalid_op 0
		.amdhsa_exception_fp_denorm_src 0
		.amdhsa_exception_fp_ieee_div_zero 0
		.amdhsa_exception_fp_ieee_overflow 0
		.amdhsa_exception_fp_ieee_underflow 0
		.amdhsa_exception_fp_ieee_inexact 0
		.amdhsa_exception_int_div_zero 0
	.end_amdhsa_kernel
	.section	.text._ZN9rocsparseL18bsrxmvn_4x4_kernelILj128ELj16E21rocsparse_complex_numIdEiidS2_S2_EEvT3_20rocsparse_direction_NS_24const_host_device_scalarIT1_EES3_PKS3_PKT2_SC_S9_PKT4_PKT5_S7_PT6_21rocsparse_index_base_b,"axG",@progbits,_ZN9rocsparseL18bsrxmvn_4x4_kernelILj128ELj16E21rocsparse_complex_numIdEiidS2_S2_EEvT3_20rocsparse_direction_NS_24const_host_device_scalarIT1_EES3_PKS3_PKT2_SC_S9_PKT4_PKT5_S7_PT6_21rocsparse_index_base_b,comdat
.Lfunc_end137:
	.size	_ZN9rocsparseL18bsrxmvn_4x4_kernelILj128ELj16E21rocsparse_complex_numIdEiidS2_S2_EEvT3_20rocsparse_direction_NS_24const_host_device_scalarIT1_EES3_PKS3_PKT2_SC_S9_PKT4_PKT5_S7_PT6_21rocsparse_index_base_b, .Lfunc_end137-_ZN9rocsparseL18bsrxmvn_4x4_kernelILj128ELj16E21rocsparse_complex_numIdEiidS2_S2_EEvT3_20rocsparse_direction_NS_24const_host_device_scalarIT1_EES3_PKS3_PKT2_SC_S9_PKT4_PKT5_S7_PT6_21rocsparse_index_base_b
                                        ; -- End function
	.set _ZN9rocsparseL18bsrxmvn_4x4_kernelILj128ELj16E21rocsparse_complex_numIdEiidS2_S2_EEvT3_20rocsparse_direction_NS_24const_host_device_scalarIT1_EES3_PKS3_PKT2_SC_S9_PKT4_PKT5_S7_PT6_21rocsparse_index_base_b.num_vgpr, 85
	.set _ZN9rocsparseL18bsrxmvn_4x4_kernelILj128ELj16E21rocsparse_complex_numIdEiidS2_S2_EEvT3_20rocsparse_direction_NS_24const_host_device_scalarIT1_EES3_PKS3_PKT2_SC_S9_PKT4_PKT5_S7_PT6_21rocsparse_index_base_b.num_agpr, 0
	.set _ZN9rocsparseL18bsrxmvn_4x4_kernelILj128ELj16E21rocsparse_complex_numIdEiidS2_S2_EEvT3_20rocsparse_direction_NS_24const_host_device_scalarIT1_EES3_PKS3_PKT2_SC_S9_PKT4_PKT5_S7_PT6_21rocsparse_index_base_b.numbered_sgpr, 20
	.set _ZN9rocsparseL18bsrxmvn_4x4_kernelILj128ELj16E21rocsparse_complex_numIdEiidS2_S2_EEvT3_20rocsparse_direction_NS_24const_host_device_scalarIT1_EES3_PKS3_PKT2_SC_S9_PKT4_PKT5_S7_PT6_21rocsparse_index_base_b.num_named_barrier, 0
	.set _ZN9rocsparseL18bsrxmvn_4x4_kernelILj128ELj16E21rocsparse_complex_numIdEiidS2_S2_EEvT3_20rocsparse_direction_NS_24const_host_device_scalarIT1_EES3_PKS3_PKT2_SC_S9_PKT4_PKT5_S7_PT6_21rocsparse_index_base_b.private_seg_size, 0
	.set _ZN9rocsparseL18bsrxmvn_4x4_kernelILj128ELj16E21rocsparse_complex_numIdEiidS2_S2_EEvT3_20rocsparse_direction_NS_24const_host_device_scalarIT1_EES3_PKS3_PKT2_SC_S9_PKT4_PKT5_S7_PT6_21rocsparse_index_base_b.uses_vcc, 1
	.set _ZN9rocsparseL18bsrxmvn_4x4_kernelILj128ELj16E21rocsparse_complex_numIdEiidS2_S2_EEvT3_20rocsparse_direction_NS_24const_host_device_scalarIT1_EES3_PKS3_PKT2_SC_S9_PKT4_PKT5_S7_PT6_21rocsparse_index_base_b.uses_flat_scratch, 0
	.set _ZN9rocsparseL18bsrxmvn_4x4_kernelILj128ELj16E21rocsparse_complex_numIdEiidS2_S2_EEvT3_20rocsparse_direction_NS_24const_host_device_scalarIT1_EES3_PKS3_PKT2_SC_S9_PKT4_PKT5_S7_PT6_21rocsparse_index_base_b.has_dyn_sized_stack, 0
	.set _ZN9rocsparseL18bsrxmvn_4x4_kernelILj128ELj16E21rocsparse_complex_numIdEiidS2_S2_EEvT3_20rocsparse_direction_NS_24const_host_device_scalarIT1_EES3_PKS3_PKT2_SC_S9_PKT4_PKT5_S7_PT6_21rocsparse_index_base_b.has_recursion, 0
	.set _ZN9rocsparseL18bsrxmvn_4x4_kernelILj128ELj16E21rocsparse_complex_numIdEiidS2_S2_EEvT3_20rocsparse_direction_NS_24const_host_device_scalarIT1_EES3_PKS3_PKT2_SC_S9_PKT4_PKT5_S7_PT6_21rocsparse_index_base_b.has_indirect_call, 0
	.section	.AMDGPU.csdata,"",@progbits
; Kernel info:
; codeLenInByte = 9308
; TotalNumSgprs: 24
; NumVgprs: 85
; ScratchSize: 0
; MemoryBound: 0
; FloatMode: 240
; IeeeMode: 1
; LDSByteSize: 0 bytes/workgroup (compile time only)
; SGPRBlocks: 2
; VGPRBlocks: 21
; NumSGPRsForWavesPerEU: 24
; NumVGPRsForWavesPerEU: 85
; Occupancy: 2
; WaveLimiterHint : 1
; COMPUTE_PGM_RSRC2:SCRATCH_EN: 0
; COMPUTE_PGM_RSRC2:USER_SGPR: 6
; COMPUTE_PGM_RSRC2:TRAP_HANDLER: 0
; COMPUTE_PGM_RSRC2:TGID_X_EN: 1
; COMPUTE_PGM_RSRC2:TGID_Y_EN: 0
; COMPUTE_PGM_RSRC2:TGID_Z_EN: 0
; COMPUTE_PGM_RSRC2:TIDIG_COMP_CNT: 0
	.section	.text._ZN9rocsparseL18bsrxmvn_4x4_kernelILj128ELj32E21rocsparse_complex_numIdEiidS2_S2_EEvT3_20rocsparse_direction_NS_24const_host_device_scalarIT1_EES3_PKS3_PKT2_SC_S9_PKT4_PKT5_S7_PT6_21rocsparse_index_base_b,"axG",@progbits,_ZN9rocsparseL18bsrxmvn_4x4_kernelILj128ELj32E21rocsparse_complex_numIdEiidS2_S2_EEvT3_20rocsparse_direction_NS_24const_host_device_scalarIT1_EES3_PKS3_PKT2_SC_S9_PKT4_PKT5_S7_PT6_21rocsparse_index_base_b,comdat
	.globl	_ZN9rocsparseL18bsrxmvn_4x4_kernelILj128ELj32E21rocsparse_complex_numIdEiidS2_S2_EEvT3_20rocsparse_direction_NS_24const_host_device_scalarIT1_EES3_PKS3_PKT2_SC_S9_PKT4_PKT5_S7_PT6_21rocsparse_index_base_b ; -- Begin function _ZN9rocsparseL18bsrxmvn_4x4_kernelILj128ELj32E21rocsparse_complex_numIdEiidS2_S2_EEvT3_20rocsparse_direction_NS_24const_host_device_scalarIT1_EES3_PKS3_PKT2_SC_S9_PKT4_PKT5_S7_PT6_21rocsparse_index_base_b
	.p2align	8
	.type	_ZN9rocsparseL18bsrxmvn_4x4_kernelILj128ELj32E21rocsparse_complex_numIdEiidS2_S2_EEvT3_20rocsparse_direction_NS_24const_host_device_scalarIT1_EES3_PKS3_PKT2_SC_S9_PKT4_PKT5_S7_PT6_21rocsparse_index_base_b,@function
_ZN9rocsparseL18bsrxmvn_4x4_kernelILj128ELj32E21rocsparse_complex_numIdEiidS2_S2_EEvT3_20rocsparse_direction_NS_24const_host_device_scalarIT1_EES3_PKS3_PKT2_SC_S9_PKT4_PKT5_S7_PT6_21rocsparse_index_base_b: ; @_ZN9rocsparseL18bsrxmvn_4x4_kernelILj128ELj32E21rocsparse_complex_numIdEiidS2_S2_EEvT3_20rocsparse_direction_NS_24const_host_device_scalarIT1_EES3_PKS3_PKT2_SC_S9_PKT4_PKT5_S7_PT6_21rocsparse_index_base_b
; %bb.0:
	s_load_dwordx2 s[0:1], s[4:5], 0x8
	s_load_dwordx2 s[16:17], s[4:5], 0x68
	s_add_u32 s7, s4, 8
	s_addc_u32 s8, s5, 0
	s_add_u32 s9, s4, 0x50
	s_addc_u32 s10, s5, 0
	s_waitcnt lgkmcnt(0)
	s_bitcmp1_b32 s17, 0
	s_cselect_b32 s1, s8, s1
	s_cselect_b32 s0, s7, s0
	v_mov_b32_e32 v1, s0
	v_mov_b32_e32 v2, s1
	flat_load_dwordx4 v[5:8], v[1:2]
	s_load_dwordx2 s[2:3], s[4:5], 0x50
	s_waitcnt lgkmcnt(0)
	s_cselect_b32 s0, s10, s3
	s_cselect_b32 s1, s9, s2
	v_mov_b32_e32 v1, s1
	v_mov_b32_e32 v2, s0
	flat_load_dwordx4 v[1:4], v[1:2]
	s_waitcnt vmcnt(0)
	v_cmp_eq_f64_e32 vcc, 0, v[5:6]
	v_cmp_eq_f64_e64 s[0:1], 0, v[7:8]
	s_and_b64 s[8:9], vcc, s[0:1]
	s_mov_b64 s[0:1], -1
	s_and_saveexec_b64 s[2:3], s[8:9]
	s_cbranch_execz .LBB138_2
; %bb.1:
	s_waitcnt lgkmcnt(0)
	v_cmp_neq_f64_e32 vcc, 1.0, v[1:2]
	v_cmp_neq_f64_e64 s[0:1], 0, v[3:4]
	s_or_b64 s[0:1], vcc, s[0:1]
	s_orn2_b64 s[0:1], s[0:1], exec
.LBB138_2:
	s_or_b64 exec, exec, s[2:3]
	s_and_saveexec_b64 s[2:3], s[0:1]
	s_cbranch_execz .LBB138_8
; %bb.3:
	s_load_dwordx2 s[8:9], s[4:5], 0x20
	s_load_dwordx2 s[0:1], s[4:5], 0x0
	v_lshrrev_b32_e32 v9, 5, v0
	v_lshl_or_b32 v21, s6, 2, v9
	s_mov_b64 s[2:3], 0
	s_waitcnt lgkmcnt(0)
	s_cmp_lg_u64 s[8:9], 0
	s_cbranch_scc0 .LBB138_9
; %bb.4:
	s_load_dword s6, s[4:5], 0x18
                                        ; implicit-def: $vgpr9
	s_waitcnt lgkmcnt(0)
	v_cmp_gt_i32_e32 vcc, s6, v21
	s_and_saveexec_b64 s[6:7], vcc
	s_xor_b64 s[6:7], exec, s[6:7]
	s_cbranch_execz .LBB138_6
; %bb.5:
	v_ashrrev_i32_e32 v22, 31, v21
	v_lshlrev_b64 v[9:10], 2, v[21:22]
	v_mov_b32_e32 v11, s9
	v_add_co_u32_e32 v9, vcc, s8, v9
	v_addc_co_u32_e32 v10, vcc, v11, v10, vcc
	global_load_dword v9, v[9:10], off
	s_mov_b64 s[2:3], exec
	s_waitcnt vmcnt(0)
	v_subrev_u32_e32 v9, s16, v9
.LBB138_6:
	s_or_b64 exec, exec, s[6:7]
	s_branch .LBB138_10
.LBB138_7:
	v_cmp_gt_i32_e32 vcc, s0, v21
	s_andn2_b64 s[2:3], s[2:3], exec
	s_and_b64 s[6:7], vcc, exec
	s_or_b64 s[2:3], s[2:3], s[6:7]
	s_and_b64 exec, exec, s[2:3]
	s_cbranch_execnz .LBB138_11
.LBB138_8:
	s_endpgm
.LBB138_9:
                                        ; implicit-def: $vgpr9
	s_cbranch_execnz .LBB138_7
.LBB138_10:
	v_mov_b32_e32 v21, v9
	s_and_b64 exec, exec, s[2:3]
	s_cbranch_execz .LBB138_8
.LBB138_11:
	s_load_dwordx8 s[8:15], s[4:5], 0x28
	v_ashrrev_i32_e32 v22, 31, v21
	v_lshlrev_b64 v[9:10], 2, v[21:22]
	v_and_b32_e32 v0, 31, v0
	s_load_dwordx2 s[6:7], s[4:5], 0x48
	s_waitcnt lgkmcnt(0)
	v_mov_b32_e32 v12, s9
	v_add_co_u32_e32 v11, vcc, s8, v9
	v_addc_co_u32_e32 v12, vcc, v12, v10, vcc
	global_load_dword v41, v[11:12], off
	v_add_co_u32_e32 v11, vcc, 4, v11
	v_addc_co_u32_e32 v12, vcc, 0, v12, vcc
	v_mov_b32_e32 v13, s11
	v_add_co_u32_e32 v9, vcc, s10, v9
	s_cmp_eq_u64 s[10:11], 0
	v_addc_co_u32_e32 v10, vcc, v13, v10, vcc
	s_cselect_b64 vcc, -1, 0
	v_cndmask_b32_e32 v10, v10, v12, vcc
	v_cndmask_b32_e32 v9, v9, v11, vcc
	global_load_dword v10, v[9:10], off
	v_mov_b32_e32 v13, s15
	s_cmp_eq_u32 s1, 1
	s_waitcnt vmcnt(1)
	v_subrev_u32_e32 v9, s16, v41
	v_add_u32_e32 v9, v9, v0
	s_waitcnt vmcnt(0)
	v_subrev_u32_e32 v40, s16, v10
	v_ashrrev_i32_e32 v10, 31, v9
	v_lshlrev_b64 v[11:12], 7, v[9:10]
	v_cmp_lt_i32_e64 s[0:1], v9, v40
	v_add_co_u32_e32 v11, vcc, s14, v11
	v_addc_co_u32_e32 v12, vcc, v13, v12, vcc
	s_cbranch_scc1 .LBB138_23
; %bb.12:
	v_mov_b32_e32 v24, 0
	v_mov_b32_e32 v32, 0
	;; [unrolled: 1-line block ×16, first 2 shown]
	s_and_saveexec_b64 s[8:9], s[0:1]
	s_cbranch_execz .LBB138_22
; %bb.13:
	v_add_u32_e32 v10, v41, v0
	v_subrev_u32_e32 v10, s16, v10
	v_add_u32_e32 v10, 32, v10
	v_max_i32_e32 v10, v10, v40
	v_not_b32_e32 v13, v41
	v_add3_u32 v10, s16, v10, v13
	v_sub_u32_e32 v10, v10, v0
	s_movk_i32 s2, 0x60
	v_and_b32_e32 v13, 0x60, v10
	v_mov_b32_e32 v22, 0
	v_mov_b32_e32 v19, 0
	;; [unrolled: 1-line block ×9, first 2 shown]
	v_cmp_ne_u32_e32 vcc, s2, v13
	v_mov_b32_e32 v23, 0
	v_mov_b32_e32 v20, 0
	;; [unrolled: 1-line block ×10, first 2 shown]
	s_and_saveexec_b64 s[10:11], vcc
	s_cbranch_execz .LBB138_17
; %bb.14:
	v_lshrrev_b32_e32 v13, 5, v10
	v_add_u32_e32 v13, 1, v13
	v_and_b32_e32 v13, 3, v13
	v_mov_b32_e32 v24, 0
	s_mov_b32 s18, 0
	v_mov_b32_e32 v32, 0
	v_mov_b32_e32 v17, 0
	;; [unrolled: 1-line block ×8, first 2 shown]
	v_sub_u32_e32 v34, 0, v13
	v_mov_b32_e32 v25, 0
	s_mov_b64 s[14:15], 0
	v_mov_b32_e32 v35, s13
	v_mov_b32_e32 v36, s7
	s_brev_b32 s19, 1
	v_mov_b32_e32 v13, v9
	v_mov_b32_e32 v33, 0
	;; [unrolled: 1-line block ×9, first 2 shown]
.LBB138_15:                             ; =>This Inner Loop Header: Depth=1
	v_ashrrev_i32_e32 v14, 31, v13
	v_lshlrev_b64 v[37:38], 2, v[13:14]
	global_load_dwordx4 v[42:45], v[15:16], off
	global_load_dwordx4 v[50:53], v[15:16], off offset:32
	v_add_co_u32_e32 v37, vcc, s12, v37
	v_addc_co_u32_e32 v38, vcc, v35, v38, vcc
	global_load_dword v14, v[37:38], off
	global_load_dwordx4 v[54:57], v[15:16], off offset:64
	v_add_co_u32_e64 v34, s[2:3], 1, v34
	s_or_b64 s[14:15], s[2:3], s[14:15]
	v_add_u32_e32 v13, 32, v13
	s_waitcnt vmcnt(1)
	v_subrev_u32_e32 v14, s16, v14
	v_lshlrev_b32_e32 v37, 2, v14
	v_ashrrev_i32_e32 v38, 31, v37
	v_lshlrev_b64 v[37:38], 4, v[37:38]
	v_add_co_u32_e32 v37, vcc, s6, v37
	v_addc_co_u32_e32 v38, vcc, v36, v38, vcc
	global_load_dwordx4 v[46:49], v[37:38], off
	s_waitcnt vmcnt(0)
	v_fma_f64 v[58:59], v[46:47], 0, v[24:25]
	v_fma_f64 v[60:61], v[46:47], 0, v[26:27]
	global_load_dwordx4 v[24:27], v[15:16], off offset:96
	v_fma_f64 v[17:18], v[46:47], 0, v[17:18]
	v_fma_f64 v[19:20], v[46:47], 0, v[19:20]
	;; [unrolled: 1-line block ×9, first 2 shown]
	s_waitcnt vmcnt(0)
	v_fma_f64 v[22:23], v[24:25], v[46:47], v[22:23]
	v_fma_f64 v[46:47], v[50:51], v[48:49], v[17:18]
	;; [unrolled: 1-line block ×3, first 2 shown]
	global_load_dwordx4 v[17:20], v[37:38], off offset:16
	v_fma_f64 v[50:51], v[54:55], v[48:49], v[60:61]
	v_fma_f64 v[22:23], v[48:49], s[18:19], v[22:23]
	s_waitcnt vmcnt(0)
	v_fma_f64 v[42:43], v[17:18], 0, v[42:43]
	v_fma_f64 v[32:33], v[44:45], v[17:18], v[32:33]
	v_fma_f64 v[28:29], v[52:53], v[17:18], v[28:29]
	v_fma_f64 v[30:31], v[56:57], v[17:18], v[30:31]
	v_fma_f64 v[24:25], v[17:18], 0, v[24:25]
	v_fma_f64 v[42:43], v[44:45], v[19:20], v[42:43]
	v_fma_f64 v[44:45], v[17:18], 0, v[46:47]
	v_fma_f64 v[46:47], v[17:18], 0, v[50:51]
	v_fma_f64 v[17:18], v[26:27], v[17:18], v[22:23]
	v_fma_f64 v[50:51], v[26:27], v[19:20], v[24:25]
	global_load_dwordx4 v[22:25], v[15:16], off offset:16
	v_fma_f64 v[26:27], v[19:20], s[18:19], v[32:33]
	v_fma_f64 v[32:33], v[19:20], s[18:19], v[28:29]
	;; [unrolled: 1-line block ×6, first 2 shown]
	global_load_dwordx4 v[17:20], v[37:38], off offset:32
	s_waitcnt vmcnt(0)
	v_fma_f64 v[56:57], v[17:18], 0, v[42:43]
	v_fma_f64 v[58:59], v[17:18], 0, v[44:45]
	global_load_dwordx4 v[42:45], v[15:16], off offset:80
	v_fma_f64 v[54:55], v[22:23], v[17:18], v[26:27]
	global_load_dwordx4 v[26:29], v[15:16], off offset:48
	;; [unrolled: 2-line block ×3, first 2 shown]
	v_add_co_u32_e32 v15, vcc, 0x1000, v15
	v_fma_f64 v[22:23], v[22:23], v[19:20], v[56:57]
	v_addc_co_u32_e32 v16, vcc, 0, v16, vcc
	v_fma_f64 v[54:55], v[19:20], s[18:19], v[54:55]
	s_waitcnt vmcnt(2)
	v_fma_f64 v[30:31], v[42:43], v[17:18], v[30:31]
	v_fma_f64 v[42:43], v[42:43], v[19:20], v[60:61]
	s_waitcnt vmcnt(1)
	v_fma_f64 v[32:33], v[26:27], v[17:18], v[32:33]
	;; [unrolled: 3-line block ×3, first 2 shown]
	v_fma_f64 v[17:18], v[17:18], 0, v[50:51]
	v_fma_f64 v[30:31], v[19:20], s[18:19], v[30:31]
	;; [unrolled: 1-line block ×4, first 2 shown]
	global_load_dwordx4 v[50:53], v[37:38], off offset:48
	v_fma_f64 v[19:20], v[46:47], v[19:20], v[17:18]
	s_waitcnt vmcnt(0)
	v_fma_f64 v[17:18], v[50:51], 0, v[22:23]
	v_fma_f64 v[22:23], v[24:25], v[50:51], v[54:55]
	;; [unrolled: 1-line block ×16, first 2 shown]
	s_andn2_b64 exec, exec, s[14:15]
	s_cbranch_execnz .LBB138_15
; %bb.16:
	s_or_b64 exec, exec, s[14:15]
.LBB138_17:
	s_or_b64 exec, exec, s[10:11]
	s_movk_i32 s2, 0x5f
	v_cmp_lt_u32_e32 vcc, s2, v10
	s_and_saveexec_b64 s[10:11], vcc
	s_cbranch_execz .LBB138_21
; %bb.18:
	s_mov_b32 s18, 0
	s_mov_b64 s[14:15], 0
	v_mov_b32_e32 v10, s13
	v_mov_b32_e32 v42, s7
	s_brev_b32 s19, 1
	s_movk_i32 s17, 0x1000
	s_movk_i32 s20, 0x2000
	s_movk_i32 s21, 0x3000
.LBB138_19:                             ; =>This Inner Loop Header: Depth=1
	v_ashrrev_i32_e32 v14, 31, v13
	v_lshlrev_b64 v[34:35], 2, v[13:14]
	v_add_u32_e32 v13, 0x80, v13
	v_add_co_u32_e32 v71, vcc, s12, v34
	v_addc_co_u32_e32 v72, vcc, v10, v35, vcc
	global_load_dword v14, v[71:72], off
	global_load_dwordx4 v[34:37], v[15:16], off offset:48
	global_load_dwordx4 v[43:46], v[15:16], off offset:32
	;; [unrolled: 1-line block ×3, first 2 shown]
	global_load_dwordx4 v[51:54], v[15:16], off
	v_cmp_ge_i32_e64 s[2:3], v13, v40
	s_or_b64 s[14:15], s[2:3], s[14:15]
	s_waitcnt vmcnt(4)
	v_subrev_u32_e32 v14, s16, v14
	v_lshlrev_b32_e32 v38, 2, v14
	v_ashrrev_i32_e32 v39, 31, v38
	v_lshlrev_b64 v[38:39], 4, v[38:39]
	v_add_co_u32_e32 v38, vcc, s6, v38
	v_addc_co_u32_e32 v39, vcc, v42, v39, vcc
	global_load_dwordx4 v[55:58], v[38:39], off offset:48
	global_load_dwordx4 v[59:62], v[38:39], off offset:32
	;; [unrolled: 1-line block ×3, first 2 shown]
	global_load_dwordx4 v[67:70], v[38:39], off
	s_waitcnt vmcnt(0)
	v_fma_f64 v[24:25], v[67:68], 0, v[24:25]
	v_fma_f64 v[32:33], v[51:52], v[67:68], v[32:33]
	;; [unrolled: 1-line block ×32, first 2 shown]
	global_load_dwordx4 v[32:35], v[15:16], off offset:112
	global_load_dwordx4 v[36:39], v[15:16], off offset:96
	;; [unrolled: 1-line block ×4, first 2 shown]
	global_load_dword v14, v[71:72], off offset:128
	v_fma_f64 v[77:78], v[57:58], s[18:19], v[24:25]
	v_fma_f64 v[24:25], v[67:68], 0, v[26:27]
	s_waitcnt vmcnt(3)
	v_fma_f64 v[19:20], v[36:37], v[69:70], v[19:20]
	s_waitcnt vmcnt(1)
	v_fma_f64 v[17:18], v[47:48], v[67:68], v[30:31]
	v_fma_f64 v[24:25], v[47:48], v[69:70], v[24:25]
	s_waitcnt vmcnt(0)
	v_subrev_u32_e32 v14, s16, v14
	v_fma_f64 v[19:20], v[63:64], 0, v[19:20]
	v_fma_f64 v[17:18], v[69:70], s[18:19], v[17:18]
	v_fma_f64 v[24:25], v[63:64], 0, v[24:25]
	v_fma_f64 v[19:20], v[38:39], v[65:66], v[19:20]
	v_fma_f64 v[17:18], v[49:50], v[63:64], v[17:18]
	v_fma_f64 v[24:25], v[49:50], v[65:66], v[24:25]
	v_fma_f64 v[19:20], v[59:60], 0, v[19:20]
	v_fma_f64 v[17:18], v[65:66], s[18:19], v[17:18]
	v_fma_f64 v[24:25], v[59:60], 0, v[24:25]
	v_fma_f64 v[19:20], v[32:33], v[61:62], v[19:20]
	v_fma_f64 v[17:18], v[43:44], v[59:60], v[17:18]
	v_fma_f64 v[24:25], v[43:44], v[61:62], v[24:25]
	v_fma_f64 v[17:18], v[61:62], s[18:19], v[17:18]
	v_fma_f64 v[17:18], v[45:46], v[55:56], v[17:18]
	v_fma_f64 v[81:82], v[57:58], s[18:19], v[17:18]
	v_fma_f64 v[17:18], v[55:56], 0, v[24:25]
	v_fma_f64 v[83:84], v[45:46], v[57:58], v[17:18]
	v_fma_f64 v[17:18], v[36:37], v[67:68], v[22:23]
	v_fma_f64 v[17:18], v[69:70], s[18:19], v[17:18]
	v_fma_f64 v[17:18], v[38:39], v[63:64], v[17:18]
	v_fma_f64 v[17:18], v[65:66], s[18:19], v[17:18]
	v_fma_f64 v[17:18], v[32:33], v[59:60], v[17:18]
	v_fma_f64 v[17:18], v[61:62], s[18:19], v[17:18]
	v_fma_f64 v[17:18], v[34:35], v[55:56], v[17:18]
	v_fma_f64 v[38:39], v[57:58], s[18:19], v[17:18]
	v_fma_f64 v[17:18], v[55:56], 0, v[19:20]
	v_fma_f64 v[55:56], v[34:35], v[57:58], v[17:18]
	v_add_co_u32_e32 v57, vcc, s17, v15
	v_lshlrev_b32_e32 v34, 2, v14
	v_addc_co_u32_e32 v58, vcc, 0, v16, vcc
	v_ashrrev_i32_e32 v35, 31, v34
	v_add_co_u32_e32 v67, vcc, s20, v15
	v_lshlrev_b64 v[34:35], 4, v[34:35]
	v_addc_co_u32_e32 v68, vcc, 0, v16, vcc
	v_add_co_u32_e32 v59, vcc, s6, v34
	v_addc_co_u32_e32 v60, vcc, v42, v35, vcc
	global_load_dwordx4 v[17:20], v[67:68], off offset:-4096
	global_load_dwordx4 v[22:25], v[57:58], off offset:48
	global_load_dwordx4 v[26:29], v[57:58], off offset:32
	global_load_dwordx4 v[30:33], v[57:58], off offset:16
	global_load_dwordx4 v[34:37], v[59:60], off offset:48
	global_load_dwordx4 v[43:46], v[59:60], off offset:32
	global_load_dwordx4 v[47:50], v[59:60], off offset:16
	global_load_dwordx4 v[51:54], v[59:60], off
	s_waitcnt vmcnt(0)
	v_fma_f64 v[61:62], v[51:52], 0, v[75:76]
	v_fma_f64 v[59:60], v[17:18], v[51:52], v[73:74]
	;; [unrolled: 1-line block ×33, first 2 shown]
	global_load_dwordx4 v[17:20], v[57:58], off offset:112
	global_load_dwordx4 v[22:25], v[57:58], off offset:96
	;; [unrolled: 1-line block ×4, first 2 shown]
	global_load_dword v14, v[71:72], off offset:256
	s_waitcnt vmcnt(1)
	v_fma_f64 v[57:58], v[30:31], v[51:52], v[81:82]
	v_fma_f64 v[30:31], v[30:31], v[53:54], v[69:70]
	s_waitcnt vmcnt(0)
	v_subrev_u32_e32 v14, s16, v14
	v_fma_f64 v[57:58], v[53:54], s[18:19], v[57:58]
	v_fma_f64 v[30:31], v[47:48], 0, v[30:31]
	;; [unrolled: 1-line block ×29, first 2 shown]
	v_lshlrev_b32_e32 v36, 2, v14
	v_ashrrev_i32_e32 v37, 31, v36
	v_lshlrev_b64 v[36:37], 4, v[36:37]
	global_load_dwordx4 v[17:20], v[67:68], off
	global_load_dwordx4 v[26:29], v[67:68], off offset:48
	global_load_dwordx4 v[30:33], v[67:68], off offset:32
	;; [unrolled: 1-line block ×3, first 2 shown]
	v_add_co_u32_e32 v55, vcc, s6, v36
	v_addc_co_u32_e32 v56, vcc, v42, v37, vcc
	global_load_dwordx4 v[36:39], v[55:56], off offset:48
	global_load_dwordx4 v[43:46], v[55:56], off offset:32
	;; [unrolled: 1-line block ×3, first 2 shown]
	global_load_dwordx4 v[51:54], v[55:56], off
	s_waitcnt vmcnt(0)
	v_fma_f64 v[55:56], v[17:18], v[51:52], v[59:60]
	v_fma_f64 v[57:58], v[51:52], 0, v[61:62]
	;; [unrolled: 1-line block ×24, first 2 shown]
	global_load_dwordx4 v[30:33], v[67:68], off offset:112
	global_load_dwordx4 v[55:58], v[67:68], off offset:96
	;; [unrolled: 1-line block ×4, first 2 shown]
	global_load_dword v14, v[71:72], off offset:384
	v_fma_f64 v[19:20], v[49:50], s[18:19], v[19:20]
	v_fma_f64 v[22:23], v[43:44], 0, v[22:23]
	v_fma_f64 v[19:20], v[26:27], v[43:44], v[19:20]
	v_fma_f64 v[22:23], v[26:27], v[45:46], v[22:23]
	v_fma_f64 v[19:20], v[45:46], s[18:19], v[19:20]
	v_fma_f64 v[19:20], v[28:29], v[36:37], v[19:20]
	v_fma_f64 v[26:27], v[38:39], s[18:19], v[19:20]
	v_fma_f64 v[19:20], v[36:37], 0, v[22:23]
	v_fma_f64 v[22:23], v[51:52], 0, v[73:74]
	v_fma_f64 v[28:29], v[28:29], v[38:39], v[19:20]
	s_waitcnt vmcnt(3)
	v_fma_f64 v[34:35], v[55:56], v[53:54], v[34:35]
	s_waitcnt vmcnt(1)
	v_fma_f64 v[19:20], v[63:64], v[51:52], v[69:70]
	v_fma_f64 v[22:23], v[63:64], v[53:54], v[22:23]
	s_waitcnt vmcnt(0)
	v_subrev_u32_e32 v14, s16, v14
	v_fma_f64 v[34:35], v[47:48], 0, v[34:35]
	v_fma_f64 v[19:20], v[53:54], s[18:19], v[19:20]
	;; [unrolled: 1-line block ×26, first 2 shown]
	v_lshlrev_b32_e32 v30, 2, v14
	v_ashrrev_i32_e32 v31, 31, v30
	v_lshlrev_b64 v[30:31], 4, v[30:31]
	v_fma_f64 v[34:35], v[38:39], s[18:19], v[34:35]
	v_add_co_u32_e32 v38, vcc, s21, v15
	v_addc_co_u32_e32 v39, vcc, 0, v16, vcc
	v_add_co_u32_e32 v30, vcc, s6, v30
	v_addc_co_u32_e32 v31, vcc, v42, v31, vcc
	global_load_dwordx4 v[43:46], v[38:39], off
	global_load_dwordx4 v[47:50], v[38:39], off offset:48
	global_load_dwordx4 v[51:54], v[38:39], off offset:32
	;; [unrolled: 1-line block ×6, first 2 shown]
	global_load_dwordx4 v[71:74], v[30:31], off
	v_add_co_u32_e32 v15, vcc, 0x4000, v15
	v_addc_co_u32_e32 v16, vcc, 0, v16, vcc
	s_waitcnt vmcnt(0)
	v_fma_f64 v[17:18], v[43:44], v[71:72], v[17:18]
	v_fma_f64 v[24:25], v[71:72], 0, v[24:25]
	;; [unrolled: 1-line block ×33, first 2 shown]
	global_load_dwordx4 v[43:46], v[38:39], off offset:112
	global_load_dwordx4 v[47:50], v[38:39], off offset:96
	;; [unrolled: 1-line block ×4, first 2 shown]
	s_waitcnt vmcnt(0)
	v_fma_f64 v[19:20], v[55:56], v[71:72], v[19:20]
	v_fma_f64 v[22:23], v[55:56], v[73:74], v[22:23]
	;; [unrolled: 1-line block ×31, first 2 shown]
	s_andn2_b64 exec, exec, s[14:15]
	s_cbranch_execnz .LBB138_19
; %bb.20:
	s_or_b64 exec, exec, s[14:15]
.LBB138_21:
	s_or_b64 exec, exec, s[10:11]
.LBB138_22:
	s_or_b64 exec, exec, s[8:9]
	s_cbranch_execz .LBB138_24
	s_branch .LBB138_35
.LBB138_23:
                                        ; implicit-def: $vgpr24_vgpr25
                                        ; implicit-def: $vgpr32_vgpr33
                                        ; implicit-def: $vgpr17_vgpr18
                                        ; implicit-def: $vgpr28_vgpr29
                                        ; implicit-def: $vgpr26_vgpr27
                                        ; implicit-def: $vgpr30_vgpr31
                                        ; implicit-def: $vgpr19_vgpr20
                                        ; implicit-def: $vgpr22_vgpr23
.LBB138_24:
	v_mov_b32_e32 v24, 0
	v_mov_b32_e32 v32, 0
	;; [unrolled: 1-line block ×16, first 2 shown]
	s_and_saveexec_b64 s[2:3], s[0:1]
	s_cbranch_execz .LBB138_34
; %bb.25:
	v_add_u32_e32 v10, v41, v0
	v_subrev_u32_e32 v10, s16, v10
	v_add_u32_e32 v10, 32, v10
	v_max_i32_e32 v10, v10, v40
	v_not_b32_e32 v13, v41
	v_add3_u32 v10, s16, v10, v13
	v_sub_u32_e32 v13, v10, v0
	s_movk_i32 s0, 0x60
	v_and_b32_e32 v10, 0x60, v13
	v_mov_b32_e32 v22, 0
	v_mov_b32_e32 v19, 0
	;; [unrolled: 1-line block ×16, first 2 shown]
	v_cmp_ne_u32_e32 vcc, s0, v10
	s_and_saveexec_b64 s[8:9], vcc
	s_cbranch_execz .LBB138_29
; %bb.26:
	v_lshrrev_b32_e32 v10, 5, v13
	v_add_u32_e32 v10, 1, v10
	v_and_b32_e32 v10, 3, v10
	v_mov_b32_e32 v24, 0
	s_mov_b32 s14, 0
	v_mov_b32_e32 v32, 0
	v_mov_b32_e32 v17, 0
	v_mov_b32_e32 v28, 0
	v_mov_b32_e32 v26, 0
	v_mov_b32_e32 v30, 0
	v_mov_b32_e32 v19, 0
	v_mov_b32_e32 v22, 0
	v_sub_u32_e32 v14, 0, v10
	v_mov_b32_e32 v25, 0
	s_mov_b64 s[10:11], 0
	v_mov_b32_e32 v15, s13
	s_brev_b32 s15, 1
	v_mov_b32_e32 v33, 0
	v_mov_b32_e32 v18, 0
	;; [unrolled: 1-line block ×8, first 2 shown]
.LBB138_27:                             ; =>This Inner Loop Header: Depth=1
	v_ashrrev_i32_e32 v10, 31, v9
	v_lshlrev_b64 v[34:35], 2, v[9:10]
	v_add_co_u32_e64 v14, s[0:1], 1, v14
	v_add_co_u32_e32 v38, vcc, s12, v34
	v_addc_co_u32_e32 v39, vcc, v15, v35, vcc
	global_load_dword v10, v[38:39], off
	global_load_dwordx4 v[34:37], v[11:12], off offset:16
	global_load_dwordx4 v[41:44], v[11:12], off
	s_or_b64 s[10:11], s[0:1], s[10:11]
	v_add_u32_e32 v9, 32, v9
	s_waitcnt vmcnt(2)
	v_subrev_u32_e32 v10, s16, v10
	v_lshlrev_b32_e32 v38, 2, v10
	v_ashrrev_i32_e32 v39, 31, v38
	v_lshlrev_b64 v[38:39], 4, v[38:39]
	v_add_co_u32_e32 v38, vcc, s6, v38
	v_addc_co_u32_e32 v39, vcc, v16, v39, vcc
	global_load_dwordx4 v[45:48], v[38:39], off
	global_load_dwordx4 v[49:52], v[11:12], off offset:32
	global_load_dwordx4 v[53:56], v[11:12], off offset:48
	;; [unrolled: 1-line block ×9, first 2 shown]
	v_add_co_u32_e32 v11, vcc, 0x1000, v11
	v_addc_co_u32_e32 v12, vcc, 0, v12, vcc
	s_waitcnt vmcnt(9)
	v_fma_f64 v[32:33], v[41:42], v[45:46], v[32:33]
	v_fma_f64 v[24:25], v[45:46], 0, v[24:25]
	v_fma_f64 v[28:29], v[43:44], v[45:46], v[28:29]
	v_fma_f64 v[17:18], v[45:46], 0, v[17:18]
	v_fma_f64 v[30:31], v[34:35], v[45:46], v[30:31]
	v_fma_f64 v[26:27], v[45:46], 0, v[26:27]
	v_fma_f64 v[22:23], v[36:37], v[45:46], v[22:23]
	v_fma_f64 v[19:20], v[45:46], 0, v[19:20]
	v_fma_f64 v[32:33], v[47:48], s[14:15], v[32:33]
	v_fma_f64 v[24:25], v[41:42], v[47:48], v[24:25]
	v_fma_f64 v[28:29], v[47:48], s[14:15], v[28:29]
	v_fma_f64 v[17:18], v[43:44], v[47:48], v[17:18]
	v_fma_f64 v[30:31], v[47:48], s[14:15], v[30:31]
	v_fma_f64 v[26:27], v[34:35], v[47:48], v[26:27]
	v_fma_f64 v[22:23], v[47:48], s[14:15], v[22:23]
	v_fma_f64 v[19:20], v[36:37], v[47:48], v[19:20]
	s_waitcnt vmcnt(6)
	v_fma_f64 v[32:33], v[49:50], v[57:58], v[32:33]
	v_fma_f64 v[24:25], v[57:58], 0, v[24:25]
	v_fma_f64 v[28:29], v[51:52], v[57:58], v[28:29]
	v_fma_f64 v[17:18], v[57:58], 0, v[17:18]
	v_fma_f64 v[30:31], v[53:54], v[57:58], v[30:31]
	v_fma_f64 v[26:27], v[57:58], 0, v[26:27]
	v_fma_f64 v[22:23], v[55:56], v[57:58], v[22:23]
	v_fma_f64 v[19:20], v[57:58], 0, v[19:20]
	v_fma_f64 v[32:33], v[59:60], s[14:15], v[32:33]
	v_fma_f64 v[24:25], v[49:50], v[59:60], v[24:25]
	v_fma_f64 v[28:29], v[59:60], s[14:15], v[28:29]
	v_fma_f64 v[17:18], v[51:52], v[59:60], v[17:18]
	v_fma_f64 v[30:31], v[59:60], s[14:15], v[30:31]
	v_fma_f64 v[26:27], v[53:54], v[59:60], v[26:27]
	v_fma_f64 v[22:23], v[59:60], s[14:15], v[22:23]
	v_fma_f64 v[19:20], v[55:56], v[59:60], v[19:20]
	s_waitcnt vmcnt(3)
	v_fma_f64 v[32:33], v[65:66], v[69:70], v[32:33]
	v_fma_f64 v[24:25], v[69:70], 0, v[24:25]
	v_fma_f64 v[28:29], v[67:68], v[69:70], v[28:29]
	v_fma_f64 v[17:18], v[69:70], 0, v[17:18]
	v_fma_f64 v[30:31], v[61:62], v[69:70], v[30:31]
	v_fma_f64 v[26:27], v[69:70], 0, v[26:27]
	v_fma_f64 v[22:23], v[63:64], v[69:70], v[22:23]
	v_fma_f64 v[19:20], v[69:70], 0, v[19:20]
	v_fma_f64 v[32:33], v[71:72], s[14:15], v[32:33]
	v_fma_f64 v[24:25], v[65:66], v[71:72], v[24:25]
	v_fma_f64 v[28:29], v[71:72], s[14:15], v[28:29]
	v_fma_f64 v[17:18], v[67:68], v[71:72], v[17:18]
	v_fma_f64 v[30:31], v[71:72], s[14:15], v[30:31]
	v_fma_f64 v[26:27], v[61:62], v[71:72], v[26:27]
	v_fma_f64 v[22:23], v[71:72], s[14:15], v[22:23]
	v_fma_f64 v[19:20], v[63:64], v[71:72], v[19:20]
	s_waitcnt vmcnt(0)
	v_fma_f64 v[32:33], v[73:74], v[81:82], v[32:33]
	v_fma_f64 v[24:25], v[81:82], 0, v[24:25]
	v_fma_f64 v[28:29], v[75:76], v[81:82], v[28:29]
	v_fma_f64 v[17:18], v[81:82], 0, v[17:18]
	v_fma_f64 v[30:31], v[77:78], v[81:82], v[30:31]
	v_fma_f64 v[26:27], v[81:82], 0, v[26:27]
	v_fma_f64 v[22:23], v[79:80], v[81:82], v[22:23]
	v_fma_f64 v[19:20], v[81:82], 0, v[19:20]
	v_fma_f64 v[32:33], v[83:84], s[14:15], v[32:33]
	v_fma_f64 v[24:25], v[73:74], v[83:84], v[24:25]
	v_fma_f64 v[28:29], v[83:84], s[14:15], v[28:29]
	v_fma_f64 v[17:18], v[75:76], v[83:84], v[17:18]
	v_fma_f64 v[30:31], v[83:84], s[14:15], v[30:31]
	v_fma_f64 v[26:27], v[77:78], v[83:84], v[26:27]
	v_fma_f64 v[22:23], v[83:84], s[14:15], v[22:23]
	v_fma_f64 v[19:20], v[79:80], v[83:84], v[19:20]
	s_andn2_b64 exec, exec, s[10:11]
	s_cbranch_execnz .LBB138_27
; %bb.28:
	s_or_b64 exec, exec, s[10:11]
.LBB138_29:
	s_or_b64 exec, exec, s[8:9]
	s_movk_i32 s0, 0x5f
	v_cmp_lt_u32_e32 vcc, s0, v13
	s_and_saveexec_b64 s[8:9], vcc
	s_cbranch_execz .LBB138_33
; %bb.30:
	s_mov_b32 s14, 0
	s_mov_b64 s[10:11], 0
	v_mov_b32_e32 v34, s13
	v_mov_b32_e32 v35, s7
	s_brev_b32 s15, 1
	s_movk_i32 s7, 0x1000
	s_movk_i32 s13, 0x2000
	;; [unrolled: 1-line block ×3, first 2 shown]
.LBB138_31:                             ; =>This Inner Loop Header: Depth=1
	v_ashrrev_i32_e32 v10, 31, v9
	v_lshlrev_b64 v[13:14], 2, v[9:10]
	v_add_u32_e32 v9, 0x80, v9
	v_add_co_u32_e32 v65, vcc, s12, v13
	v_addc_co_u32_e32 v66, vcc, v34, v14, vcc
	global_load_dword v10, v[65:66], off
	global_load_dwordx4 v[13:16], v[11:12], off offset:48
	global_load_dwordx4 v[36:39], v[11:12], off offset:32
	;; [unrolled: 1-line block ×3, first 2 shown]
	global_load_dwordx4 v[45:48], v[11:12], off
	v_cmp_ge_i32_e64 s[0:1], v9, v40
	s_or_b64 s[10:11], s[0:1], s[10:11]
	s_waitcnt vmcnt(4)
	v_subrev_u32_e32 v10, s16, v10
	v_lshlrev_b32_e32 v49, 2, v10
	v_ashrrev_i32_e32 v50, 31, v49
	v_lshlrev_b64 v[49:50], 4, v[49:50]
	v_add_co_u32_e32 v67, vcc, s6, v49
	v_addc_co_u32_e32 v68, vcc, v35, v50, vcc
	global_load_dwordx4 v[49:52], v[67:68], off offset:48
	global_load_dwordx4 v[53:56], v[67:68], off offset:32
	global_load_dwordx4 v[57:60], v[67:68], off offset:16
	global_load_dwordx4 v[61:64], v[67:68], off
	s_waitcnt vmcnt(0)
	v_fma_f64 v[24:25], v[61:62], 0, v[24:25]
	v_fma_f64 v[17:18], v[61:62], 0, v[17:18]
	;; [unrolled: 1-line block ×34, first 2 shown]
	global_load_dwordx4 v[13:16], v[11:12], off offset:112
	global_load_dwordx4 v[17:20], v[11:12], off offset:96
	;; [unrolled: 1-line block ×4, first 2 shown]
	global_load_dword v10, v[65:66], off offset:128
	s_waitcnt vmcnt(2)
	v_fma_f64 v[30:31], v[22:23], v[53:54], v[30:31]
	s_waitcnt vmcnt(1)
	v_fma_f64 v[32:33], v[26:27], v[53:54], v[32:33]
	v_fma_f64 v[26:27], v[26:27], v[55:56], v[36:37]
	;; [unrolled: 1-line block ×6, first 2 shown]
	s_waitcnt vmcnt(0)
	v_subrev_u32_e32 v10, s16, v10
	v_fma_f64 v[30:31], v[55:56], s[14:15], v[30:31]
	v_fma_f64 v[32:33], v[55:56], s[14:15], v[32:33]
	;; [unrolled: 1-line block ×16, first 2 shown]
	v_lshlrev_b32_e32 v30, 2, v10
	v_ashrrev_i32_e32 v31, 31, v30
	v_lshlrev_b64 v[30:31], 4, v[30:31]
	v_fma_f64 v[61:62], v[51:52], s[14:15], v[17:18]
	v_fma_f64 v[17:18], v[49:50], 0, v[22:23]
	;; [unrolled: 1-line block ×7, first 2 shown]
	v_add_co_u32_e32 v51, vcc, s7, v11
	v_addc_co_u32_e32 v52, vcc, 0, v12, vcc
	v_add_co_u32_e32 v69, vcc, s13, v11
	v_addc_co_u32_e32 v70, vcc, 0, v12, vcc
	;; [unrolled: 2-line block ×3, first 2 shown]
	global_load_dwordx4 v[13:16], v[69:70], off offset:-4096
	global_load_dwordx4 v[17:20], v[51:52], off offset:48
	global_load_dwordx4 v[22:25], v[51:52], off offset:32
	;; [unrolled: 1-line block ×6, first 2 shown]
	global_load_dwordx4 v[45:48], v[71:72], off
	s_waitcnt vmcnt(0)
	v_fma_f64 v[55:56], v[45:46], 0, v[55:56]
	v_fma_f64 v[53:54], v[13:14], v[45:46], v[53:54]
	v_fma_f64 v[13:14], v[13:14], v[47:48], v[55:56]
	v_fma_f64 v[55:56], v[15:16], v[45:46], v[57:58]
	v_fma_f64 v[57:58], v[45:46], 0, v[59:60]
	v_fma_f64 v[59:60], v[45:46], 0, v[63:64]
	v_fma_f64 v[53:54], v[47:48], s[14:15], v[53:54]
	v_fma_f64 v[13:14], v[41:42], 0, v[13:14]
	v_fma_f64 v[55:56], v[47:48], s[14:15], v[55:56]
	v_fma_f64 v[15:16], v[15:16], v[47:48], v[57:58]
	v_fma_f64 v[57:58], v[26:27], v[45:46], v[61:62]
	v_fma_f64 v[26:27], v[26:27], v[47:48], v[59:60]
	v_fma_f64 v[59:60], v[28:29], v[45:46], v[67:68]
	v_fma_f64 v[45:46], v[45:46], 0, v[49:50]
	v_fma_f64 v[57:58], v[47:48], s[14:15], v[57:58]
	v_fma_f64 v[59:60], v[47:48], s[14:15], v[59:60]
	v_fma_f64 v[28:29], v[28:29], v[47:48], v[45:46]
	v_fma_f64 v[47:48], v[22:23], v[43:44], v[13:14]
	v_fma_f64 v[13:14], v[24:25], v[41:42], v[55:56]
	v_fma_f64 v[45:46], v[22:23], v[41:42], v[53:54]
	v_fma_f64 v[49:50], v[43:44], s[14:15], v[13:14]
	v_fma_f64 v[13:14], v[41:42], 0, v[15:16]
	v_fma_f64 v[45:46], v[43:44], s[14:15], v[45:46]
	v_fma_f64 v[53:54], v[24:25], v[43:44], v[13:14]
	v_fma_f64 v[13:14], v[17:18], v[41:42], v[57:58]
	v_fma_f64 v[55:56], v[43:44], s[14:15], v[13:14]
	v_fma_f64 v[13:14], v[41:42], 0, v[26:27]
	v_fma_f64 v[57:58], v[17:18], v[43:44], v[13:14]
	v_fma_f64 v[13:14], v[19:20], v[41:42], v[59:60]
	v_fma_f64 v[59:60], v[43:44], s[14:15], v[13:14]
	v_fma_f64 v[13:14], v[41:42], 0, v[28:29]
	v_fma_f64 v[41:42], v[19:20], v[43:44], v[13:14]
	global_load_dwordx4 v[13:16], v[51:52], off offset:112
	global_load_dwordx4 v[17:20], v[51:52], off offset:96
	;; [unrolled: 1-line block ×4, first 2 shown]
	global_load_dword v10, v[65:66], off offset:256
	s_waitcnt vmcnt(1)
	v_fma_f64 v[43:44], v[26:27], v[36:37], v[45:46]
	v_fma_f64 v[45:46], v[36:37], 0, v[47:48]
	;; [unrolled: 1-line block ×3, first 2 shown]
	s_waitcnt vmcnt(0)
	v_subrev_u32_e32 v10, s16, v10
	v_fma_f64 v[43:44], v[38:39], s[14:15], v[43:44]
	v_fma_f64 v[26:27], v[26:27], v[38:39], v[45:46]
	;; [unrolled: 1-line block ×28, first 2 shown]
	v_lshlrev_b32_e32 v30, 2, v10
	v_ashrrev_i32_e32 v31, 31, v30
	v_lshlrev_b64 v[30:31], 4, v[30:31]
	v_add_co_u32_e32 v67, vcc, s6, v30
	v_addc_co_u32_e32 v68, vcc, v35, v31, vcc
	v_fma_f64 v[63:64], v[15:16], v[32:33], v[13:14]
	global_load_dwordx4 v[13:16], v[69:70], off
	global_load_dwordx4 v[17:20], v[69:70], off offset:48
	global_load_dwordx4 v[22:25], v[69:70], off offset:32
	global_load_dwordx4 v[26:29], v[69:70], off offset:16
	global_load_dwordx4 v[30:33], v[67:68], off offset:48
	global_load_dwordx4 v[36:39], v[67:68], off offset:32
	global_load_dwordx4 v[41:44], v[67:68], off offset:16
	global_load_dwordx4 v[45:48], v[67:68], off
	s_waitcnt vmcnt(0)
	v_fma_f64 v[53:54], v[45:46], 0, v[53:54]
	v_fma_f64 v[51:52], v[13:14], v[45:46], v[51:52]
	;; [unrolled: 1-line block ×32, first 2 shown]
	global_load_dwordx4 v[26:29], v[69:70], off offset:112
	global_load_dwordx4 v[17:20], v[69:70], off offset:96
	;; [unrolled: 1-line block ×4, first 2 shown]
	global_load_dword v10, v[65:66], off offset:384
	s_waitcnt vmcnt(1)
	v_fma_f64 v[43:44], v[22:23], v[36:37], v[45:46]
	v_fma_f64 v[45:46], v[36:37], 0, v[47:48]
	;; [unrolled: 1-line block ×3, first 2 shown]
	s_waitcnt vmcnt(0)
	v_subrev_u32_e32 v10, s16, v10
	v_fma_f64 v[43:44], v[38:39], s[14:15], v[43:44]
	v_fma_f64 v[22:23], v[22:23], v[38:39], v[45:46]
	;; [unrolled: 1-line block ×29, first 2 shown]
	v_lshlrev_b32_e32 v30, 2, v10
	v_ashrrev_i32_e32 v31, 31, v30
	v_add_co_u32_e32 v32, vcc, s17, v11
	v_lshlrev_b64 v[30:31], 4, v[30:31]
	v_addc_co_u32_e32 v33, vcc, 0, v12, vcc
	v_add_co_u32_e32 v30, vcc, s6, v30
	v_addc_co_u32_e32 v31, vcc, v35, v31, vcc
	global_load_dwordx4 v[36:39], v[32:33], off
	global_load_dwordx4 v[41:44], v[32:33], off offset:48
	global_load_dwordx4 v[45:48], v[32:33], off offset:32
	;; [unrolled: 1-line block ×6, first 2 shown]
	global_load_dwordx4 v[65:68], v[30:31], off
	v_add_co_u32_e32 v11, vcc, 0x4000, v11
	v_addc_co_u32_e32 v12, vcc, 0, v12, vcc
	s_waitcnt vmcnt(0)
	v_fma_f64 v[13:14], v[36:37], v[65:66], v[13:14]
	v_fma_f64 v[15:16], v[65:66], 0, v[15:16]
	;; [unrolled: 1-line block ×32, first 2 shown]
	global_load_dwordx4 v[13:16], v[32:33], off offset:112
	global_load_dwordx4 v[17:20], v[32:33], off offset:96
	global_load_dwordx4 v[22:25], v[32:33], off offset:80
	global_load_dwordx4 v[26:29], v[32:33], off offset:64
	v_fma_f64 v[32:33], v[57:58], 0, v[36:37]
	s_waitcnt vmcnt(0)
	v_fma_f64 v[30:31], v[26:27], v[57:58], v[30:31]
	v_fma_f64 v[26:27], v[26:27], v[59:60], v[32:33]
	;; [unrolled: 1-line block ×31, first 2 shown]
	s_andn2_b64 exec, exec, s[10:11]
	s_cbranch_execnz .LBB138_31
; %bb.32:
	s_or_b64 exec, exec, s[10:11]
.LBB138_33:
	s_or_b64 exec, exec, s[8:9]
.LBB138_34:
	s_or_b64 exec, exec, s[2:3]
.LBB138_35:
	v_mov_b32_dpp v9, v32 row_shr:1 row_mask:0xf bank_mask:0xf
	v_mov_b32_dpp v10, v33 row_shr:1 row_mask:0xf bank_mask:0xf
	v_add_f64 v[9:10], v[32:33], v[9:10]
	v_mov_b32_dpp v11, v24 row_shr:1 row_mask:0xf bank_mask:0xf
	v_mov_b32_dpp v12, v25 row_shr:1 row_mask:0xf bank_mask:0xf
	v_add_f64 v[11:12], v[24:25], v[11:12]
	v_mov_b32_dpp v13, v28 row_shr:1 row_mask:0xf bank_mask:0xf
	v_mov_b32_dpp v16, v18 row_shr:1 row_mask:0xf bank_mask:0xf
	v_cmp_eq_u32_e32 vcc, 31, v0
	v_mov_b32_dpp v14, v9 row_shr:2 row_mask:0xf bank_mask:0xf
	v_mov_b32_dpp v15, v10 row_shr:2 row_mask:0xf bank_mask:0xf
	v_add_f64 v[9:10], v[9:10], v[14:15]
	v_mov_b32_dpp v14, v29 row_shr:1 row_mask:0xf bank_mask:0xf
	v_mov_b32_dpp v24, v11 row_shr:2 row_mask:0xf bank_mask:0xf
	;; [unrolled: 1-line block ×4, first 2 shown]
	v_add_f64 v[13:14], v[28:29], v[13:14]
	v_add_f64 v[11:12], v[11:12], v[24:25]
	;; [unrolled: 1-line block ×3, first 2 shown]
	v_mov_b32_dpp v24, v9 row_shr:4 row_mask:0xf bank_mask:0xe
	v_mov_b32_dpp v25, v10 row_shr:4 row_mask:0xf bank_mask:0xe
	v_add_f64 v[9:10], v[9:10], v[24:25]
	v_mov_b32_dpp v17, v13 row_shr:2 row_mask:0xf bank_mask:0xf
	v_mov_b32_dpp v18, v14 row_shr:2 row_mask:0xf bank_mask:0xf
	v_mov_b32_dpp v24, v11 row_shr:4 row_mask:0xf bank_mask:0xe
	v_mov_b32_dpp v25, v12 row_shr:4 row_mask:0xf bank_mask:0xe
	v_add_f64 v[11:12], v[11:12], v[24:25]
	v_add_f64 v[13:14], v[13:14], v[17:18]
	v_mov_b32_dpp v24, v15 row_shr:2 row_mask:0xf bank_mask:0xf
	v_mov_b32_dpp v25, v16 row_shr:2 row_mask:0xf bank_mask:0xf
	v_add_f64 v[15:16], v[15:16], v[24:25]
	v_mov_b32_dpp v17, v9 row_shr:8 row_mask:0xf bank_mask:0xc
	v_mov_b32_dpp v18, v10 row_shr:8 row_mask:0xf bank_mask:0xc
	;; [unrolled: 3-line block ×3, first 2 shown]
	v_mov_b32_dpp v25, v14 row_shr:4 row_mask:0xf bank_mask:0xe
	v_add_f64 v[13:14], v[13:14], v[24:25]
	v_mov_b32_dpp v24, v15 row_shr:4 row_mask:0xf bank_mask:0xe
	v_mov_b32_dpp v25, v16 row_shr:4 row_mask:0xf bank_mask:0xe
	v_add_f64 v[15:16], v[15:16], v[24:25]
	v_mov_b32_dpp v24, v30 row_shr:1 row_mask:0xf bank_mask:0xf
	;; [unrolled: 3-line block ×3, first 2 shown]
	v_add_f64 v[11:12], v[11:12], v[17:18]
	v_mov_b32_dpp v17, v13 row_shr:8 row_mask:0xf bank_mask:0xc
	v_mov_b32_dpp v18, v14 row_shr:8 row_mask:0xf bank_mask:0xc
	v_add_f64 v[13:14], v[13:14], v[17:18]
	v_mov_b32_dpp v17, v15 row_shr:8 row_mask:0xf bank_mask:0xc
	v_mov_b32_dpp v18, v16 row_shr:8 row_mask:0xf bank_mask:0xc
	;; [unrolled: 3-line block ×3, first 2 shown]
	v_add_f64 v[32:33], v[24:25], v[17:18]
	v_mov_b32_dpp v30, v9 row_bcast:15 row_mask:0xa bank_mask:0xf
	v_mov_b32_dpp v31, v10 row_bcast:15 row_mask:0xa bank_mask:0xf
	;; [unrolled: 1-line block ×7, first 2 shown]
	v_mov_b32_dpp v34, v32 row_shr:4 row_mask:0xf bank_mask:0xe
	v_mov_b32_dpp v35, v33 row_shr:4 row_mask:0xf bank_mask:0xe
	v_add_f64 v[32:33], v[32:33], v[34:35]
	v_mov_b32_dpp v34, v26 row_shr:1 row_mask:0xf bank_mask:0xf
	v_mov_b32_dpp v35, v27 row_shr:1 row_mask:0xf bank_mask:0xf
	v_add_f64 v[26:27], v[26:27], v[34:35]
	;; [unrolled: 3-line block ×4, first 2 shown]
	v_mov_b32_dpp v34, v32 row_shr:8 row_mask:0xf bank_mask:0xc
	v_mov_b32_dpp v35, v26 row_shr:2 row_mask:0xf bank_mask:0xf
	;; [unrolled: 1-line block ×3, first 2 shown]
	v_add_f64 v[26:27], v[26:27], v[35:36]
	v_mov_b32_dpp v35, v22 row_shr:2 row_mask:0xf bank_mask:0xf
	v_mov_b32_dpp v36, v23 row_shr:2 row_mask:0xf bank_mask:0xf
	v_add_f64 v[22:23], v[22:23], v[35:36]
	v_mov_b32_dpp v35, v18 row_shr:2 row_mask:0xf bank_mask:0xf
	v_mov_b32_dpp v36, v19 row_shr:2 row_mask:0xf bank_mask:0xf
	v_add_f64 v[18:19], v[18:19], v[35:36]
	v_mov_b32_dpp v35, v33 row_shr:8 row_mask:0xf bank_mask:0xc
	v_mov_b32_dpp v36, v26 row_shr:4 row_mask:0xf bank_mask:0xe
	v_mov_b32_dpp v37, v27 row_shr:4 row_mask:0xf bank_mask:0xe
	v_add_f64 v[26:27], v[26:27], v[36:37]
	v_mov_b32_dpp v36, v22 row_shr:4 row_mask:0xf bank_mask:0xe
	v_mov_b32_dpp v37, v23 row_shr:4 row_mask:0xf bank_mask:0xe
	v_add_f64 v[36:37], v[22:23], v[36:37]
	v_mov_b32_dpp v22, v18 row_shr:4 row_mask:0xf bank_mask:0xe
	v_mov_b32_dpp v23, v19 row_shr:4 row_mask:0xf bank_mask:0xe
	v_add_f64 v[38:39], v[18:19], v[22:23]
	v_add_f64 v[19:20], v[32:33], v[34:35]
	v_mov_b32_dpp v22, v26 row_shr:8 row_mask:0xf bank_mask:0xc
	v_mov_b32_dpp v23, v27 row_shr:8 row_mask:0xf bank_mask:0xc
	v_add_f64 v[22:23], v[26:27], v[22:23]
	v_mov_b32_dpp v26, v36 row_shr:8 row_mask:0xf bank_mask:0xc
	v_mov_b32_dpp v27, v37 row_shr:8 row_mask:0xf bank_mask:0xc
	;; [unrolled: 3-line block ×3, first 2 shown]
	v_add_f64 v[32:33], v[38:39], v[32:33]
	v_mov_b32_dpp v18, v16 row_bcast:15 row_mask:0xa bank_mask:0xf
	v_mov_b32_dpp v40, v19 row_bcast:15 row_mask:0xa bank_mask:0xf
	v_mov_b32_dpp v41, v20 row_bcast:15 row_mask:0xa bank_mask:0xf
	v_mov_b32_dpp v38, v22 row_bcast:15 row_mask:0xa bank_mask:0xf
	v_mov_b32_dpp v39, v23 row_bcast:15 row_mask:0xa bank_mask:0xf
	v_mov_b32_dpp v36, v26 row_bcast:15 row_mask:0xa bank_mask:0xf
	v_mov_b32_dpp v37, v27 row_bcast:15 row_mask:0xa bank_mask:0xf
	v_mov_b32_dpp v34, v32 row_bcast:15 row_mask:0xa bank_mask:0xf
	v_mov_b32_dpp v35, v33 row_bcast:15 row_mask:0xa bank_mask:0xf
	s_and_b64 exec, exec, vcc
	s_cbranch_execz .LBB138_8
; %bb.36:
	v_add_f64 v[11:12], v[11:12], v[28:29]
	v_add_f64 v[24:25], v[13:14], v[24:25]
	;; [unrolled: 1-line block ×8, first 2 shown]
	v_mul_f64 v[19:20], v[11:12], -v[7:8]
	v_mul_f64 v[11:12], v[5:6], v[11:12]
	v_mul_f64 v[26:27], v[13:14], -v[7:8]
	v_mul_f64 v[30:31], v[5:6], v[13:14]
	;; [unrolled: 2-line block ×4, first 2 shown]
	v_cmp_eq_f64_e32 vcc, 0, v[1:2]
	v_cmp_eq_f64_e64 s[0:1], 0, v[3:4]
	v_fma_f64 v[17:18], v[5:6], v[9:10], v[19:20]
	v_fma_f64 v[19:20], v[7:8], v[9:10], v[11:12]
	;; [unrolled: 1-line block ×8, first 2 shown]
	s_load_dwordx2 s[2:3], s[4:5], 0x60
	s_and_b64 s[0:1], vcc, s[0:1]
	v_lshlrev_b32_e32 v21, 2, v21
	s_and_saveexec_b64 s[4:5], s[0:1]
	s_xor_b64 s[0:1], exec, s[4:5]
	s_cbranch_execz .LBB138_38
; %bb.37:
	v_ashrrev_i32_e32 v22, 31, v21
	v_lshlrev_b64 v[0:1], 4, v[21:22]
	s_waitcnt lgkmcnt(0)
	v_mov_b32_e32 v2, s3
	v_add_co_u32_e32 v0, vcc, s2, v0
	v_addc_co_u32_e32 v1, vcc, v2, v1, vcc
	global_store_dwordx4 v[0:1], v[17:20], off
	global_store_dwordx4 v[0:1], v[13:16], off offset:16
	global_store_dwordx4 v[0:1], v[9:12], off offset:32
	;; [unrolled: 1-line block ×3, first 2 shown]
                                        ; implicit-def: $vgpr3_vgpr4
                                        ; implicit-def: $vgpr17_vgpr18
                                        ; implicit-def: $vgpr21
                                        ; implicit-def: $vgpr13_vgpr14
                                        ; implicit-def: $vgpr9_vgpr10
                                        ; implicit-def: $vgpr5_vgpr6
.LBB138_38:
	s_andn2_saveexec_b64 s[0:1], s[0:1]
	s_cbranch_execz .LBB138_8
; %bb.39:
	v_ashrrev_i32_e32 v22, 31, v21
	v_lshlrev_b64 v[21:22], 4, v[21:22]
	s_waitcnt lgkmcnt(0)
	v_mov_b32_e32 v0, s3
	v_add_co_u32_e32 v37, vcc, s2, v21
	v_addc_co_u32_e32 v38, vcc, v0, v22, vcc
	global_load_dwordx4 v[21:24], v[37:38], off
	global_load_dwordx4 v[25:28], v[37:38], off offset:16
	global_load_dwordx4 v[29:32], v[37:38], off offset:32
	global_load_dwordx4 v[33:36], v[37:38], off offset:48
	s_waitcnt vmcnt(3)
	v_fma_f64 v[17:18], v[1:2], v[21:22], v[17:18]
	v_fma_f64 v[19:20], v[3:4], v[21:22], v[19:20]
	s_waitcnt vmcnt(2)
	v_fma_f64 v[13:14], v[1:2], v[25:26], v[13:14]
	v_fma_f64 v[15:16], v[3:4], v[25:26], v[15:16]
	;; [unrolled: 3-line block ×4, first 2 shown]
	v_fma_f64 v[5:6], -v[3:4], v[23:24], v[17:18]
	v_fma_f64 v[7:8], v[1:2], v[23:24], v[19:20]
	v_fma_f64 v[9:10], -v[3:4], v[27:28], v[13:14]
	v_fma_f64 v[11:12], v[1:2], v[27:28], v[15:16]
	;; [unrolled: 2-line block ×4, first 2 shown]
	global_store_dwordx4 v[37:38], v[5:8], off
	global_store_dwordx4 v[37:38], v[9:12], off offset:16
	global_store_dwordx4 v[37:38], v[13:16], off offset:32
	;; [unrolled: 1-line block ×3, first 2 shown]
	s_endpgm
	.section	.rodata,"a",@progbits
	.p2align	6, 0x0
	.amdhsa_kernel _ZN9rocsparseL18bsrxmvn_4x4_kernelILj128ELj32E21rocsparse_complex_numIdEiidS2_S2_EEvT3_20rocsparse_direction_NS_24const_host_device_scalarIT1_EES3_PKS3_PKT2_SC_S9_PKT4_PKT5_S7_PT6_21rocsparse_index_base_b
		.amdhsa_group_segment_fixed_size 0
		.amdhsa_private_segment_fixed_size 0
		.amdhsa_kernarg_size 112
		.amdhsa_user_sgpr_count 6
		.amdhsa_user_sgpr_private_segment_buffer 1
		.amdhsa_user_sgpr_dispatch_ptr 0
		.amdhsa_user_sgpr_queue_ptr 0
		.amdhsa_user_sgpr_kernarg_segment_ptr 1
		.amdhsa_user_sgpr_dispatch_id 0
		.amdhsa_user_sgpr_flat_scratch_init 0
		.amdhsa_user_sgpr_private_segment_size 0
		.amdhsa_uses_dynamic_stack 0
		.amdhsa_system_sgpr_private_segment_wavefront_offset 0
		.amdhsa_system_sgpr_workgroup_id_x 1
		.amdhsa_system_sgpr_workgroup_id_y 0
		.amdhsa_system_sgpr_workgroup_id_z 0
		.amdhsa_system_sgpr_workgroup_info 0
		.amdhsa_system_vgpr_workitem_id 0
		.amdhsa_next_free_vgpr 85
		.amdhsa_next_free_sgpr 22
		.amdhsa_reserve_vcc 1
		.amdhsa_reserve_flat_scratch 0
		.amdhsa_float_round_mode_32 0
		.amdhsa_float_round_mode_16_64 0
		.amdhsa_float_denorm_mode_32 3
		.amdhsa_float_denorm_mode_16_64 3
		.amdhsa_dx10_clamp 1
		.amdhsa_ieee_mode 1
		.amdhsa_fp16_overflow 0
		.amdhsa_exception_fp_ieee_invalid_op 0
		.amdhsa_exception_fp_denorm_src 0
		.amdhsa_exception_fp_ieee_div_zero 0
		.amdhsa_exception_fp_ieee_overflow 0
		.amdhsa_exception_fp_ieee_underflow 0
		.amdhsa_exception_fp_ieee_inexact 0
		.amdhsa_exception_int_div_zero 0
	.end_amdhsa_kernel
	.section	.text._ZN9rocsparseL18bsrxmvn_4x4_kernelILj128ELj32E21rocsparse_complex_numIdEiidS2_S2_EEvT3_20rocsparse_direction_NS_24const_host_device_scalarIT1_EES3_PKS3_PKT2_SC_S9_PKT4_PKT5_S7_PT6_21rocsparse_index_base_b,"axG",@progbits,_ZN9rocsparseL18bsrxmvn_4x4_kernelILj128ELj32E21rocsparse_complex_numIdEiidS2_S2_EEvT3_20rocsparse_direction_NS_24const_host_device_scalarIT1_EES3_PKS3_PKT2_SC_S9_PKT4_PKT5_S7_PT6_21rocsparse_index_base_b,comdat
.Lfunc_end138:
	.size	_ZN9rocsparseL18bsrxmvn_4x4_kernelILj128ELj32E21rocsparse_complex_numIdEiidS2_S2_EEvT3_20rocsparse_direction_NS_24const_host_device_scalarIT1_EES3_PKS3_PKT2_SC_S9_PKT4_PKT5_S7_PT6_21rocsparse_index_base_b, .Lfunc_end138-_ZN9rocsparseL18bsrxmvn_4x4_kernelILj128ELj32E21rocsparse_complex_numIdEiidS2_S2_EEvT3_20rocsparse_direction_NS_24const_host_device_scalarIT1_EES3_PKS3_PKT2_SC_S9_PKT4_PKT5_S7_PT6_21rocsparse_index_base_b
                                        ; -- End function
	.set _ZN9rocsparseL18bsrxmvn_4x4_kernelILj128ELj32E21rocsparse_complex_numIdEiidS2_S2_EEvT3_20rocsparse_direction_NS_24const_host_device_scalarIT1_EES3_PKS3_PKT2_SC_S9_PKT4_PKT5_S7_PT6_21rocsparse_index_base_b.num_vgpr, 85
	.set _ZN9rocsparseL18bsrxmvn_4x4_kernelILj128ELj32E21rocsparse_complex_numIdEiidS2_S2_EEvT3_20rocsparse_direction_NS_24const_host_device_scalarIT1_EES3_PKS3_PKT2_SC_S9_PKT4_PKT5_S7_PT6_21rocsparse_index_base_b.num_agpr, 0
	.set _ZN9rocsparseL18bsrxmvn_4x4_kernelILj128ELj32E21rocsparse_complex_numIdEiidS2_S2_EEvT3_20rocsparse_direction_NS_24const_host_device_scalarIT1_EES3_PKS3_PKT2_SC_S9_PKT4_PKT5_S7_PT6_21rocsparse_index_base_b.numbered_sgpr, 22
	.set _ZN9rocsparseL18bsrxmvn_4x4_kernelILj128ELj32E21rocsparse_complex_numIdEiidS2_S2_EEvT3_20rocsparse_direction_NS_24const_host_device_scalarIT1_EES3_PKS3_PKT2_SC_S9_PKT4_PKT5_S7_PT6_21rocsparse_index_base_b.num_named_barrier, 0
	.set _ZN9rocsparseL18bsrxmvn_4x4_kernelILj128ELj32E21rocsparse_complex_numIdEiidS2_S2_EEvT3_20rocsparse_direction_NS_24const_host_device_scalarIT1_EES3_PKS3_PKT2_SC_S9_PKT4_PKT5_S7_PT6_21rocsparse_index_base_b.private_seg_size, 0
	.set _ZN9rocsparseL18bsrxmvn_4x4_kernelILj128ELj32E21rocsparse_complex_numIdEiidS2_S2_EEvT3_20rocsparse_direction_NS_24const_host_device_scalarIT1_EES3_PKS3_PKT2_SC_S9_PKT4_PKT5_S7_PT6_21rocsparse_index_base_b.uses_vcc, 1
	.set _ZN9rocsparseL18bsrxmvn_4x4_kernelILj128ELj32E21rocsparse_complex_numIdEiidS2_S2_EEvT3_20rocsparse_direction_NS_24const_host_device_scalarIT1_EES3_PKS3_PKT2_SC_S9_PKT4_PKT5_S7_PT6_21rocsparse_index_base_b.uses_flat_scratch, 0
	.set _ZN9rocsparseL18bsrxmvn_4x4_kernelILj128ELj32E21rocsparse_complex_numIdEiidS2_S2_EEvT3_20rocsparse_direction_NS_24const_host_device_scalarIT1_EES3_PKS3_PKT2_SC_S9_PKT4_PKT5_S7_PT6_21rocsparse_index_base_b.has_dyn_sized_stack, 0
	.set _ZN9rocsparseL18bsrxmvn_4x4_kernelILj128ELj32E21rocsparse_complex_numIdEiidS2_S2_EEvT3_20rocsparse_direction_NS_24const_host_device_scalarIT1_EES3_PKS3_PKT2_SC_S9_PKT4_PKT5_S7_PT6_21rocsparse_index_base_b.has_recursion, 0
	.set _ZN9rocsparseL18bsrxmvn_4x4_kernelILj128ELj32E21rocsparse_complex_numIdEiidS2_S2_EEvT3_20rocsparse_direction_NS_24const_host_device_scalarIT1_EES3_PKS3_PKT2_SC_S9_PKT4_PKT5_S7_PT6_21rocsparse_index_base_b.has_indirect_call, 0
	.section	.AMDGPU.csdata,"",@progbits
; Kernel info:
; codeLenInByte = 9584
; TotalNumSgprs: 26
; NumVgprs: 85
; ScratchSize: 0
; MemoryBound: 0
; FloatMode: 240
; IeeeMode: 1
; LDSByteSize: 0 bytes/workgroup (compile time only)
; SGPRBlocks: 3
; VGPRBlocks: 21
; NumSGPRsForWavesPerEU: 26
; NumVGPRsForWavesPerEU: 85
; Occupancy: 2
; WaveLimiterHint : 1
; COMPUTE_PGM_RSRC2:SCRATCH_EN: 0
; COMPUTE_PGM_RSRC2:USER_SGPR: 6
; COMPUTE_PGM_RSRC2:TRAP_HANDLER: 0
; COMPUTE_PGM_RSRC2:TGID_X_EN: 1
; COMPUTE_PGM_RSRC2:TGID_Y_EN: 0
; COMPUTE_PGM_RSRC2:TGID_Z_EN: 0
; COMPUTE_PGM_RSRC2:TIDIG_COMP_CNT: 0
	.section	.text._ZN9rocsparseL18bsrxmvn_4x4_kernelILj128ELj64E21rocsparse_complex_numIdEiidS2_S2_EEvT3_20rocsparse_direction_NS_24const_host_device_scalarIT1_EES3_PKS3_PKT2_SC_S9_PKT4_PKT5_S7_PT6_21rocsparse_index_base_b,"axG",@progbits,_ZN9rocsparseL18bsrxmvn_4x4_kernelILj128ELj64E21rocsparse_complex_numIdEiidS2_S2_EEvT3_20rocsparse_direction_NS_24const_host_device_scalarIT1_EES3_PKS3_PKT2_SC_S9_PKT4_PKT5_S7_PT6_21rocsparse_index_base_b,comdat
	.globl	_ZN9rocsparseL18bsrxmvn_4x4_kernelILj128ELj64E21rocsparse_complex_numIdEiidS2_S2_EEvT3_20rocsparse_direction_NS_24const_host_device_scalarIT1_EES3_PKS3_PKT2_SC_S9_PKT4_PKT5_S7_PT6_21rocsparse_index_base_b ; -- Begin function _ZN9rocsparseL18bsrxmvn_4x4_kernelILj128ELj64E21rocsparse_complex_numIdEiidS2_S2_EEvT3_20rocsparse_direction_NS_24const_host_device_scalarIT1_EES3_PKS3_PKT2_SC_S9_PKT4_PKT5_S7_PT6_21rocsparse_index_base_b
	.p2align	8
	.type	_ZN9rocsparseL18bsrxmvn_4x4_kernelILj128ELj64E21rocsparse_complex_numIdEiidS2_S2_EEvT3_20rocsparse_direction_NS_24const_host_device_scalarIT1_EES3_PKS3_PKT2_SC_S9_PKT4_PKT5_S7_PT6_21rocsparse_index_base_b,@function
_ZN9rocsparseL18bsrxmvn_4x4_kernelILj128ELj64E21rocsparse_complex_numIdEiidS2_S2_EEvT3_20rocsparse_direction_NS_24const_host_device_scalarIT1_EES3_PKS3_PKT2_SC_S9_PKT4_PKT5_S7_PT6_21rocsparse_index_base_b: ; @_ZN9rocsparseL18bsrxmvn_4x4_kernelILj128ELj64E21rocsparse_complex_numIdEiidS2_S2_EEvT3_20rocsparse_direction_NS_24const_host_device_scalarIT1_EES3_PKS3_PKT2_SC_S9_PKT4_PKT5_S7_PT6_21rocsparse_index_base_b
; %bb.0:
	s_load_dwordx2 s[0:1], s[4:5], 0x8
	s_load_dwordx2 s[16:17], s[4:5], 0x68
	s_add_u32 s7, s4, 8
	s_addc_u32 s8, s5, 0
	s_add_u32 s9, s4, 0x50
	s_addc_u32 s10, s5, 0
	s_waitcnt lgkmcnt(0)
	s_bitcmp1_b32 s17, 0
	s_cselect_b32 s1, s8, s1
	s_cselect_b32 s0, s7, s0
	v_mov_b32_e32 v1, s0
	v_mov_b32_e32 v2, s1
	flat_load_dwordx4 v[5:8], v[1:2]
	s_load_dwordx2 s[2:3], s[4:5], 0x50
	s_waitcnt lgkmcnt(0)
	s_cselect_b32 s0, s10, s3
	s_cselect_b32 s1, s9, s2
	v_mov_b32_e32 v1, s1
	v_mov_b32_e32 v2, s0
	flat_load_dwordx4 v[1:4], v[1:2]
	s_waitcnt vmcnt(0)
	v_cmp_eq_f64_e32 vcc, 0, v[5:6]
	v_cmp_eq_f64_e64 s[0:1], 0, v[7:8]
	s_and_b64 s[8:9], vcc, s[0:1]
	s_mov_b64 s[0:1], -1
	s_and_saveexec_b64 s[2:3], s[8:9]
	s_cbranch_execz .LBB139_2
; %bb.1:
	s_waitcnt lgkmcnt(0)
	v_cmp_neq_f64_e32 vcc, 1.0, v[1:2]
	v_cmp_neq_f64_e64 s[0:1], 0, v[3:4]
	s_or_b64 s[0:1], vcc, s[0:1]
	s_orn2_b64 s[0:1], s[0:1], exec
.LBB139_2:
	s_or_b64 exec, exec, s[2:3]
	s_and_saveexec_b64 s[2:3], s[0:1]
	s_cbranch_execz .LBB139_8
; %bb.3:
	s_load_dwordx2 s[8:9], s[4:5], 0x20
	s_load_dwordx2 s[0:1], s[4:5], 0x0
	v_lshrrev_b32_e32 v9, 6, v0
	v_lshl_or_b32 v21, s6, 1, v9
	s_mov_b64 s[2:3], 0
	s_waitcnt lgkmcnt(0)
	s_cmp_lg_u64 s[8:9], 0
	s_cbranch_scc0 .LBB139_9
; %bb.4:
	s_load_dword s6, s[4:5], 0x18
                                        ; implicit-def: $vgpr9
	s_waitcnt lgkmcnt(0)
	v_cmp_gt_i32_e32 vcc, s6, v21
	s_and_saveexec_b64 s[6:7], vcc
	s_xor_b64 s[6:7], exec, s[6:7]
	s_cbranch_execz .LBB139_6
; %bb.5:
	v_ashrrev_i32_e32 v22, 31, v21
	v_lshlrev_b64 v[9:10], 2, v[21:22]
	v_mov_b32_e32 v11, s9
	v_add_co_u32_e32 v9, vcc, s8, v9
	v_addc_co_u32_e32 v10, vcc, v11, v10, vcc
	global_load_dword v9, v[9:10], off
	s_mov_b64 s[2:3], exec
	s_waitcnt vmcnt(0)
	v_subrev_u32_e32 v9, s16, v9
.LBB139_6:
	s_or_b64 exec, exec, s[6:7]
	s_branch .LBB139_10
.LBB139_7:
	v_cmp_gt_i32_e32 vcc, s0, v21
	s_andn2_b64 s[2:3], s[2:3], exec
	s_and_b64 s[6:7], vcc, exec
	s_or_b64 s[2:3], s[2:3], s[6:7]
	s_and_b64 exec, exec, s[2:3]
	s_cbranch_execnz .LBB139_11
.LBB139_8:
	s_endpgm
.LBB139_9:
                                        ; implicit-def: $vgpr9
	s_cbranch_execnz .LBB139_7
.LBB139_10:
	v_mov_b32_e32 v21, v9
	s_and_b64 exec, exec, s[2:3]
	s_cbranch_execz .LBB139_8
.LBB139_11:
	s_load_dwordx8 s[8:15], s[4:5], 0x28
	v_ashrrev_i32_e32 v22, 31, v21
	v_lshlrev_b64 v[9:10], 2, v[21:22]
	v_and_b32_e32 v0, 63, v0
	s_load_dwordx2 s[6:7], s[4:5], 0x48
	s_waitcnt lgkmcnt(0)
	v_mov_b32_e32 v12, s9
	v_add_co_u32_e32 v11, vcc, s8, v9
	v_addc_co_u32_e32 v12, vcc, v12, v10, vcc
	global_load_dword v43, v[11:12], off
	v_add_co_u32_e32 v11, vcc, 4, v11
	v_addc_co_u32_e32 v12, vcc, 0, v12, vcc
	v_mov_b32_e32 v13, s11
	v_add_co_u32_e32 v9, vcc, s10, v9
	s_cmp_eq_u64 s[10:11], 0
	v_addc_co_u32_e32 v10, vcc, v13, v10, vcc
	s_cselect_b64 vcc, -1, 0
	v_cndmask_b32_e32 v10, v10, v12, vcc
	v_cndmask_b32_e32 v9, v9, v11, vcc
	global_load_dword v9, v[9:10], off
	v_mov_b32_e32 v11, s15
	s_cmp_eq_u32 s1, 1
	s_waitcnt vmcnt(1)
	v_subrev_u32_e32 v10, s16, v43
	v_add_u32_e32 v13, v10, v0
	v_ashrrev_i32_e32 v14, 31, v13
	s_waitcnt vmcnt(0)
	v_subrev_u32_e32 v42, s16, v9
	v_lshlrev_b64 v[9:10], 7, v[13:14]
	v_cmp_lt_i32_e64 s[0:1], v13, v42
	v_add_co_u32_e32 v15, vcc, s14, v9
	v_addc_co_u32_e32 v16, vcc, v11, v10, vcc
	s_cbranch_scc1 .LBB139_23
; %bb.12:
	v_mov_b32_e32 v24, 0
	v_mov_b32_e32 v32, 0
	;; [unrolled: 1-line block ×16, first 2 shown]
	s_and_saveexec_b64 s[8:9], s[0:1]
	s_cbranch_execz .LBB139_22
; %bb.13:
	v_add_u32_e32 v9, v43, v0
	v_subrev_u32_e32 v9, s16, v9
	v_add_u32_e32 v9, 64, v9
	v_max_i32_e32 v9, v9, v42
	v_not_b32_e32 v10, v43
	v_add3_u32 v9, s16, v9, v10
	v_sub_u32_e32 v11, v9, v0
	s_movk_i32 s2, 0xc0
	v_and_b32_e32 v9, 0xc0, v11
	v_cmp_ne_u32_e32 vcc, s2, v9
	v_mov_b32_e32 v34, 0
	v_mov_b32_e32 v9, 0
	;; [unrolled: 1-line block ×19, first 2 shown]
	s_and_saveexec_b64 s[10:11], vcc
	s_cbranch_execz .LBB139_17
; %bb.14:
	v_lshrrev_b32_e32 v9, 6, v11
	v_add_u32_e32 v9, 1, v9
	v_and_b32_e32 v9, 3, v9
	v_sub_u32_e32 v12, 0, v9
	v_mov_b32_e32 v24, 0
	s_mov_b32 s18, 0
	v_mov_b32_e32 v32, 0
	v_mov_b32_e32 v22, 0
	;; [unrolled: 1-line block ×9, first 2 shown]
	s_mov_b64 s[14:15], 0
	v_mov_b32_e32 v14, s13
	v_mov_b32_e32 v36, s7
	s_brev_b32 s19, 1
	v_mov_b32_e32 v17, v13
	v_mov_b32_e32 v33, 0
	;; [unrolled: 1-line block ×9, first 2 shown]
.LBB139_15:                             ; =>This Inner Loop Header: Depth=1
	v_ashrrev_i32_e32 v18, 31, v17
	v_lshlrev_b64 v[44:45], 2, v[17:18]
	global_load_dwordx4 v[37:40], v[19:20], off
	global_load_dwordx4 v[48:51], v[19:20], off offset:32
	v_add_co_u32_e32 v44, vcc, s12, v44
	v_addc_co_u32_e32 v45, vcc, v14, v45, vcc
	global_load_dword v18, v[44:45], off
	v_add_co_u32_e64 v12, s[2:3], 1, v12
	s_or_b64 s[14:15], s[2:3], s[14:15]
	v_add_u32_e32 v17, 64, v17
	s_waitcnt vmcnt(0)
	v_subrev_u32_e32 v18, s16, v18
	v_lshlrev_b32_e32 v44, 2, v18
	v_ashrrev_i32_e32 v45, 31, v44
	v_lshlrev_b64 v[44:45], 4, v[44:45]
	v_add_co_u32_e32 v52, vcc, s6, v44
	v_addc_co_u32_e32 v53, vcc, v36, v45, vcc
	global_load_dwordx4 v[44:47], v[52:53], off
	s_waitcnt vmcnt(0)
	v_fma_f64 v[54:55], v[44:45], 0, v[24:25]
	v_fma_f64 v[58:59], v[44:45], 0, v[22:23]
	global_load_dwordx4 v[22:25], v[19:20], off offset:64
	v_fma_f64 v[56:57], v[48:49], v[44:45], v[26:27]
	v_fma_f64 v[60:61], v[44:45], 0, v[28:29]
	global_load_dwordx4 v[26:29], v[19:20], off offset:96
	v_fma_f64 v[32:33], v[37:38], v[44:45], v[32:33]
	v_fma_f64 v[9:10], v[44:45], 0, v[9:10]
	;; [unrolled: 1-line block ×5, first 2 shown]
	s_waitcnt vmcnt(1)
	v_fma_f64 v[30:31], v[22:23], v[44:45], v[30:31]
	v_fma_f64 v[22:23], v[22:23], v[46:47], v[60:61]
	s_waitcnt vmcnt(0)
	v_fma_f64 v[34:35], v[26:27], v[44:45], v[34:35]
	v_fma_f64 v[44:45], v[46:47], s[18:19], v[32:33]
	;; [unrolled: 1-line block ×4, first 2 shown]
	global_load_dwordx4 v[30:33], v[52:53], off offset:16
	v_fma_f64 v[34:35], v[46:47], s[18:19], v[34:35]
	s_waitcnt vmcnt(0)
	v_fma_f64 v[26:27], v[30:31], 0, v[37:38]
	v_fma_f64 v[37:38], v[39:40], v[30:31], v[44:45]
	;; [unrolled: 1-line block ×12, first 2 shown]
	global_load_dwordx4 v[22:25], v[19:20], off offset:16
	v_fma_f64 v[34:35], v[32:33], s[18:19], v[37:38]
	v_fma_f64 v[37:38], v[32:33], s[18:19], v[44:45]
	;; [unrolled: 1-line block ×4, first 2 shown]
	global_load_dwordx4 v[26:29], v[52:53], off offset:32
	global_load_dwordx4 v[30:33], v[19:20], off offset:48
	s_waitcnt vmcnt(1)
	v_fma_f64 v[54:55], v[26:27], 0, v[39:40]
	s_waitcnt vmcnt(0)
	v_fma_f64 v[56:57], v[30:31], v[26:27], v[37:38]
	global_load_dwordx4 v[37:40], v[19:20], off offset:80
	v_fma_f64 v[58:59], v[26:27], 0, v[46:47]
	v_fma_f64 v[34:35], v[22:23], v[26:27], v[34:35]
	;; [unrolled: 1-line block ×6, first 2 shown]
	s_waitcnt vmcnt(0)
	v_fma_f64 v[60:61], v[37:38], v[26:27], v[44:45]
	global_load_dwordx4 v[44:47], v[19:20], off offset:112
	v_fma_f64 v[37:38], v[37:38], v[28:29], v[48:49]
	v_add_co_u32_e32 v19, vcc, 0x2000, v19
	v_addc_co_u32_e32 v20, vcc, 0, v20, vcc
	v_fma_f64 v[54:55], v[28:29], s[18:19], v[60:61]
	s_waitcnt vmcnt(0)
	v_fma_f64 v[50:51], v[44:45], v[26:27], v[50:51]
	v_fma_f64 v[26:27], v[28:29], s[18:19], v[34:35]
	;; [unrolled: 1-line block ×5, first 2 shown]
	global_load_dwordx4 v[48:51], v[52:53], off offset:48
	s_waitcnt vmcnt(0)
	v_fma_f64 v[22:23], v[48:49], 0, v[22:23]
	v_fma_f64 v[26:27], v[24:25], v[48:49], v[26:27]
	;; [unrolled: 1-line block ×16, first 2 shown]
	s_andn2_b64 exec, exec, s[14:15]
	s_cbranch_execnz .LBB139_15
; %bb.16:
	s_or_b64 exec, exec, s[14:15]
.LBB139_17:
	s_or_b64 exec, exec, s[10:11]
	s_movk_i32 s2, 0xbf
	v_cmp_lt_u32_e32 vcc, s2, v11
	s_and_saveexec_b64 s[10:11], vcc
	s_cbranch_execz .LBB139_21
; %bb.18:
	s_mov_b32 s18, 0
	s_mov_b64 s[14:15], 0
	v_mov_b32_e32 v14, s13
	v_mov_b32_e32 v44, s7
	s_brev_b32 s19, 1
	s_movk_i32 s17, 0x2000
	s_movk_i32 s20, 0x4000
	;; [unrolled: 1-line block ×3, first 2 shown]
.LBB139_19:                             ; =>This Inner Loop Header: Depth=1
	v_ashrrev_i32_e32 v18, 31, v17
	v_lshlrev_b64 v[11:12], 2, v[17:18]
	v_add_u32_e32 v17, 0x100, v17
	v_add_co_u32_e32 v11, vcc, s12, v11
	v_addc_co_u32_e32 v12, vcc, v14, v12, vcc
	global_load_dword v18, v[11:12], off
	global_load_dwordx4 v[36:39], v[19:20], off offset:48
	global_load_dwordx4 v[45:48], v[19:20], off offset:32
	;; [unrolled: 1-line block ×3, first 2 shown]
	global_load_dwordx4 v[53:56], v[19:20], off
	v_cmp_ge_i32_e64 s[2:3], v17, v42
	s_or_b64 s[14:15], s[2:3], s[14:15]
	s_waitcnt vmcnt(4)
	v_subrev_u32_e32 v18, s16, v18
	v_lshlrev_b32_e32 v40, 2, v18
	v_ashrrev_i32_e32 v41, 31, v40
	v_lshlrev_b64 v[40:41], 4, v[40:41]
	v_add_co_u32_e32 v40, vcc, s6, v40
	v_addc_co_u32_e32 v41, vcc, v44, v41, vcc
	global_load_dwordx4 v[57:60], v[40:41], off offset:48
	global_load_dwordx4 v[61:64], v[40:41], off offset:32
	;; [unrolled: 1-line block ×3, first 2 shown]
	global_load_dwordx4 v[69:72], v[40:41], off
	s_waitcnt vmcnt(0)
	v_fma_f64 v[24:25], v[69:70], 0, v[24:25]
	v_fma_f64 v[22:23], v[69:70], 0, v[22:23]
	;; [unrolled: 1-line block ×34, first 2 shown]
	global_load_dwordx4 v[22:25], v[19:20], off offset:112
	global_load_dwordx4 v[36:39], v[19:20], off offset:96
	;; [unrolled: 1-line block ×4, first 2 shown]
	global_load_dword v18, v[11:12], off offset:256
	s_waitcnt vmcnt(3)
	v_fma_f64 v[9:10], v[36:37], v[71:72], v[9:10]
	s_waitcnt vmcnt(1)
	v_fma_f64 v[26:27], v[49:50], v[69:70], v[30:31]
	v_fma_f64 v[28:29], v[49:50], v[71:72], v[28:29]
	s_waitcnt vmcnt(0)
	v_subrev_u32_e32 v18, s16, v18
	v_fma_f64 v[9:10], v[65:66], 0, v[9:10]
	v_fma_f64 v[26:27], v[71:72], s[18:19], v[26:27]
	;; [unrolled: 1-line block ×22, first 2 shown]
	v_lshlrev_b32_e32 v38, 2, v18
	v_ashrrev_i32_e32 v39, 31, v38
	v_lshlrev_b64 v[38:39], 4, v[38:39]
	v_fma_f64 v[26:27], v[67:68], s[18:19], v[26:27]
	v_fma_f64 v[26:27], v[22:23], v[61:62], v[26:27]
	v_fma_f64 v[26:27], v[63:64], s[18:19], v[26:27]
	v_fma_f64 v[22:23], v[24:25], v[57:58], v[26:27]
	v_add_co_u32_e32 v57, vcc, s17, v19
	v_addc_co_u32_e32 v58, vcc, 0, v20, vcc
	v_fma_f64 v[61:62], v[59:60], s[18:19], v[22:23]
	v_add_co_u32_e32 v59, vcc, s6, v38
	v_addc_co_u32_e32 v60, vcc, v44, v39, vcc
	global_load_dwordx4 v[22:25], v[57:58], off
	global_load_dwordx4 v[26:29], v[57:58], off offset:48
	global_load_dwordx4 v[30:33], v[57:58], off offset:32
	;; [unrolled: 1-line block ×6, first 2 shown]
	global_load_dwordx4 v[53:56], v[59:60], off
	s_waitcnt vmcnt(0)
	v_fma_f64 v[63:64], v[53:54], 0, v[75:76]
	v_fma_f64 v[59:60], v[22:23], v[53:54], v[73:74]
	;; [unrolled: 1-line block ×34, first 2 shown]
	global_load_dwordx4 v[22:25], v[57:58], off offset:112
	global_load_dwordx4 v[26:29], v[57:58], off offset:96
	;; [unrolled: 1-line block ×4, first 2 shown]
	global_load_dword v18, v[11:12], off offset:512
	s_waitcnt vmcnt(3)
	v_fma_f64 v[9:10], v[26:27], v[55:56], v[9:10]
	s_waitcnt vmcnt(1)
	v_fma_f64 v[57:58], v[34:35], v[53:54], v[81:82]
	v_fma_f64 v[34:35], v[34:35], v[55:56], v[59:60]
	s_waitcnt vmcnt(0)
	v_subrev_u32_e32 v18, s16, v18
	v_fma_f64 v[9:10], v[49:50], 0, v[9:10]
	v_fma_f64 v[57:58], v[55:56], s[18:19], v[57:58]
	;; [unrolled: 1-line block ×26, first 2 shown]
	v_lshlrev_b32_e32 v38, 2, v18
	v_ashrrev_i32_e32 v39, 31, v38
	v_lshlrev_b64 v[38:39], 4, v[38:39]
	v_fma_f64 v[75:76], v[40:41], s[18:19], v[22:23]
	v_add_co_u32_e32 v40, vcc, s20, v19
	v_addc_co_u32_e32 v41, vcc, 0, v20, vcc
	v_add_co_u32_e32 v38, vcc, s6, v38
	v_addc_co_u32_e32 v39, vcc, v44, v39, vcc
	global_load_dwordx4 v[22:25], v[40:41], off
	global_load_dwordx4 v[26:29], v[40:41], off offset:48
	global_load_dwordx4 v[30:33], v[40:41], off offset:32
	;; [unrolled: 1-line block ×6, first 2 shown]
	global_load_dwordx4 v[57:60], v[38:39], off
	s_waitcnt vmcnt(0)
	v_fma_f64 v[38:39], v[22:23], v[57:58], v[63:64]
	v_fma_f64 v[61:62], v[57:58], 0, v[65:66]
	;; [unrolled: 1-line block ×33, first 2 shown]
	global_load_dwordx4 v[32:35], v[40:41], off offset:112
	global_load_dwordx4 v[61:64], v[40:41], off offset:96
	global_load_dwordx4 v[65:68], v[40:41], off offset:80
	global_load_dwordx4 v[28:31], v[40:41], off offset:64
	v_fma_f64 v[40:41], v[57:58], 0, v[73:74]
	s_waitcnt vmcnt(2)
	v_fma_f64 v[9:10], v[61:62], v[59:60], v[9:10]
	s_waitcnt vmcnt(0)
	v_fma_f64 v[36:37], v[28:29], v[57:58], v[71:72]
	v_fma_f64 v[28:29], v[28:29], v[59:60], v[40:41]
	v_add_co_u32_e32 v40, vcc, s21, v19
	v_addc_co_u32_e32 v41, vcc, 0, v20, vcc
	v_fma_f64 v[9:10], v[53:54], 0, v[9:10]
	v_fma_f64 v[36:37], v[59:60], s[18:19], v[36:37]
	;; [unrolled: 1-line block ×26, first 2 shown]
	global_load_dword v9, v[11:12], off offset:768
	v_fma_f64 v[36:37], v[47:48], s[18:19], v[32:33]
	global_load_dwordx4 v[45:48], v[40:41], off
	global_load_dwordx4 v[49:52], v[40:41], off offset:48
	global_load_dwordx4 v[53:56], v[40:41], off offset:32
	;; [unrolled: 1-line block ×3, first 2 shown]
	s_waitcnt vmcnt(4)
	v_subrev_u32_e32 v9, s16, v9
	v_lshlrev_b32_e32 v9, 2, v9
	v_ashrrev_i32_e32 v10, 31, v9
	v_lshlrev_b64 v[9:10], 4, v[9:10]
	v_add_co_u32_e32 v32, vcc, s6, v9
	v_addc_co_u32_e32 v33, vcc, v44, v10, vcc
	global_load_dwordx4 v[9:12], v[32:33], off offset:48
	global_load_dwordx4 v[61:64], v[32:33], off offset:32
	;; [unrolled: 1-line block ×3, first 2 shown]
	global_load_dwordx4 v[69:72], v[32:33], off
	v_add_co_u32_e32 v19, vcc, 0x8000, v19
	v_addc_co_u32_e32 v20, vcc, 0, v20, vcc
	s_waitcnt vmcnt(0)
	v_fma_f64 v[22:23], v[45:46], v[69:70], v[22:23]
	v_fma_f64 v[24:25], v[69:70], 0, v[24:25]
	;; [unrolled: 1-line block ×34, first 2 shown]
	global_load_dwordx4 v[45:48], v[40:41], off offset:112
	global_load_dwordx4 v[49:52], v[40:41], off offset:96
	;; [unrolled: 1-line block ×4, first 2 shown]
	s_waitcnt vmcnt(2)
	v_fma_f64 v[36:37], v[49:50], v[69:70], v[36:37]
	v_fma_f64 v[34:35], v[49:50], v[71:72], v[34:35]
	s_waitcnt vmcnt(0)
	v_fma_f64 v[30:31], v[57:58], v[69:70], v[30:31]
	v_fma_f64 v[28:29], v[57:58], v[71:72], v[28:29]
	;; [unrolled: 1-line block ×28, first 2 shown]
	s_andn2_b64 exec, exec, s[14:15]
	s_cbranch_execnz .LBB139_19
; %bb.20:
	s_or_b64 exec, exec, s[14:15]
.LBB139_21:
	s_or_b64 exec, exec, s[10:11]
.LBB139_22:
	s_or_b64 exec, exec, s[8:9]
	s_cbranch_execz .LBB139_24
	s_branch .LBB139_35
.LBB139_23:
                                        ; implicit-def: $vgpr24_vgpr25
                                        ; implicit-def: $vgpr32_vgpr33
                                        ; implicit-def: $vgpr22_vgpr23
                                        ; implicit-def: $vgpr26_vgpr27
                                        ; implicit-def: $vgpr28_vgpr29
                                        ; implicit-def: $vgpr30_vgpr31
                                        ; implicit-def: $vgpr9_vgpr10
                                        ; implicit-def: $vgpr34_vgpr35
.LBB139_24:
	v_mov_b32_e32 v24, 0
	v_mov_b32_e32 v32, 0
	;; [unrolled: 1-line block ×16, first 2 shown]
	s_and_saveexec_b64 s[2:3], s[0:1]
	s_cbranch_execz .LBB139_34
; %bb.25:
	v_add_u32_e32 v9, v43, v0
	v_subrev_u32_e32 v9, s16, v9
	v_add_u32_e32 v9, 64, v9
	v_max_i32_e32 v9, v9, v42
	v_not_b32_e32 v10, v43
	v_add3_u32 v9, s16, v9, v10
	v_sub_u32_e32 v11, v9, v0
	s_movk_i32 s0, 0xc0
	v_and_b32_e32 v12, 0xc0, v11
	v_mov_b32_e32 v34, 0
	v_mov_b32_e32 v9, 0
	;; [unrolled: 1-line block ×16, first 2 shown]
	v_cmp_ne_u32_e32 vcc, s0, v12
	s_and_saveexec_b64 s[8:9], vcc
	s_cbranch_execz .LBB139_29
; %bb.26:
	v_lshrrev_b32_e32 v9, 6, v11
	v_add_u32_e32 v9, 1, v9
	v_and_b32_e32 v9, 3, v9
	v_sub_u32_e32 v12, 0, v9
	v_mov_b32_e32 v24, 0
	s_mov_b32 s14, 0
	v_mov_b32_e32 v32, 0
	v_mov_b32_e32 v22, 0
	;; [unrolled: 1-line block ×8, first 2 shown]
	s_mov_b64 s[10:11], 0
	v_mov_b32_e32 v17, s13
	s_brev_b32 s15, 1
	v_mov_b32_e32 v33, 0
	v_mov_b32_e32 v23, 0
	;; [unrolled: 1-line block ×8, first 2 shown]
.LBB139_27:                             ; =>This Inner Loop Header: Depth=1
	v_ashrrev_i32_e32 v14, 31, v13
	v_lshlrev_b64 v[19:20], 2, v[13:14]
	v_add_co_u32_e64 v12, s[0:1], 1, v12
	v_add_co_u32_e32 v19, vcc, s12, v19
	v_addc_co_u32_e32 v20, vcc, v17, v20, vcc
	global_load_dword v14, v[19:20], off
	global_load_dwordx4 v[36:39], v[15:16], off offset:16
	global_load_dwordx4 v[43:46], v[15:16], off
	s_or_b64 s[10:11], s[0:1], s[10:11]
	v_add_u32_e32 v13, 64, v13
	s_waitcnt vmcnt(2)
	v_subrev_u32_e32 v14, s16, v14
	v_lshlrev_b32_e32 v19, 2, v14
	v_ashrrev_i32_e32 v20, 31, v19
	v_lshlrev_b64 v[19:20], 4, v[19:20]
	v_add_co_u32_e32 v19, vcc, s6, v19
	v_addc_co_u32_e32 v20, vcc, v18, v20, vcc
	global_load_dwordx4 v[47:50], v[19:20], off
	global_load_dwordx4 v[51:54], v[15:16], off offset:32
	global_load_dwordx4 v[55:58], v[15:16], off offset:48
	global_load_dwordx4 v[59:62], v[19:20], off offset:16
	global_load_dwordx4 v[63:66], v[15:16], off offset:80
	global_load_dwordx4 v[67:70], v[15:16], off offset:64
	global_load_dwordx4 v[71:74], v[19:20], off offset:32
	global_load_dwordx4 v[75:78], v[15:16], off offset:96
	global_load_dwordx4 v[79:82], v[15:16], off offset:112
	global_load_dwordx4 v[83:86], v[19:20], off offset:48
	v_add_co_u32_e32 v15, vcc, 0x2000, v15
	v_addc_co_u32_e32 v16, vcc, 0, v16, vcc
	s_waitcnt vmcnt(9)
	v_fma_f64 v[19:20], v[43:44], v[47:48], v[32:33]
	v_fma_f64 v[24:25], v[47:48], 0, v[24:25]
	v_fma_f64 v[26:27], v[45:46], v[47:48], v[26:27]
	v_fma_f64 v[22:23], v[47:48], 0, v[22:23]
	v_fma_f64 v[30:31], v[36:37], v[47:48], v[30:31]
	v_fma_f64 v[28:29], v[47:48], 0, v[28:29]
	v_fma_f64 v[32:33], v[38:39], v[47:48], v[34:35]
	v_fma_f64 v[9:10], v[47:48], 0, v[9:10]
	v_fma_f64 v[19:20], v[49:50], s[14:15], v[19:20]
	v_fma_f64 v[24:25], v[43:44], v[49:50], v[24:25]
	v_fma_f64 v[26:27], v[49:50], s[14:15], v[26:27]
	v_fma_f64 v[22:23], v[45:46], v[49:50], v[22:23]
	v_fma_f64 v[30:31], v[49:50], s[14:15], v[30:31]
	v_fma_f64 v[28:29], v[36:37], v[49:50], v[28:29]
	v_fma_f64 v[32:33], v[49:50], s[14:15], v[32:33]
	v_fma_f64 v[9:10], v[38:39], v[49:50], v[9:10]
	s_waitcnt vmcnt(6)
	v_fma_f64 v[19:20], v[51:52], v[59:60], v[19:20]
	v_fma_f64 v[24:25], v[59:60], 0, v[24:25]
	v_fma_f64 v[26:27], v[53:54], v[59:60], v[26:27]
	v_fma_f64 v[22:23], v[59:60], 0, v[22:23]
	v_fma_f64 v[30:31], v[55:56], v[59:60], v[30:31]
	v_fma_f64 v[28:29], v[59:60], 0, v[28:29]
	v_fma_f64 v[32:33], v[57:58], v[59:60], v[32:33]
	v_fma_f64 v[9:10], v[59:60], 0, v[9:10]
	v_fma_f64 v[19:20], v[61:62], s[14:15], v[19:20]
	v_fma_f64 v[24:25], v[51:52], v[61:62], v[24:25]
	v_fma_f64 v[26:27], v[61:62], s[14:15], v[26:27]
	v_fma_f64 v[22:23], v[53:54], v[61:62], v[22:23]
	v_fma_f64 v[30:31], v[61:62], s[14:15], v[30:31]
	v_fma_f64 v[28:29], v[55:56], v[61:62], v[28:29]
	v_fma_f64 v[32:33], v[61:62], s[14:15], v[32:33]
	v_fma_f64 v[9:10], v[57:58], v[61:62], v[9:10]
	;; [unrolled: 17-line block ×4, first 2 shown]
	s_andn2_b64 exec, exec, s[10:11]
	s_cbranch_execnz .LBB139_27
; %bb.28:
	s_or_b64 exec, exec, s[10:11]
.LBB139_29:
	s_or_b64 exec, exec, s[8:9]
	s_movk_i32 s0, 0xbf
	v_cmp_lt_u32_e32 vcc, s0, v11
	s_and_saveexec_b64 s[8:9], vcc
	s_cbranch_execz .LBB139_33
; %bb.30:
	s_mov_b32 s14, 0
	s_mov_b64 s[10:11], 0
	v_mov_b32_e32 v36, s13
	v_mov_b32_e32 v37, s7
	s_brev_b32 s15, 1
	s_movk_i32 s7, 0x2000
	s_movk_i32 s13, 0x4000
	;; [unrolled: 1-line block ×3, first 2 shown]
.LBB139_31:                             ; =>This Inner Loop Header: Depth=1
	v_ashrrev_i32_e32 v14, 31, v13
	v_lshlrev_b64 v[11:12], 2, v[13:14]
	v_add_u32_e32 v13, 0x100, v13
	v_add_co_u32_e32 v11, vcc, s12, v11
	v_addc_co_u32_e32 v12, vcc, v36, v12, vcc
	global_load_dword v14, v[11:12], off
	global_load_dwordx4 v[17:20], v[15:16], off offset:48
	global_load_dwordx4 v[38:41], v[15:16], off offset:32
	;; [unrolled: 1-line block ×3, first 2 shown]
	global_load_dwordx4 v[47:50], v[15:16], off
	v_cmp_ge_i32_e64 s[0:1], v13, v42
	s_or_b64 s[10:11], s[0:1], s[10:11]
	s_waitcnt vmcnt(4)
	v_subrev_u32_e32 v14, s16, v14
	v_lshlrev_b32_e32 v51, 2, v14
	v_ashrrev_i32_e32 v52, 31, v51
	v_lshlrev_b64 v[51:52], 4, v[51:52]
	v_add_co_u32_e32 v67, vcc, s6, v51
	v_addc_co_u32_e32 v68, vcc, v37, v52, vcc
	global_load_dwordx4 v[51:54], v[67:68], off offset:48
	global_load_dwordx4 v[55:58], v[67:68], off offset:32
	global_load_dwordx4 v[59:62], v[67:68], off offset:16
	global_load_dwordx4 v[63:66], v[67:68], off
	v_add_co_u32_e32 v67, vcc, s7, v15
	v_addc_co_u32_e32 v68, vcc, 0, v16, vcc
	s_waitcnt vmcnt(0)
	v_fma_f64 v[24:25], v[63:64], 0, v[24:25]
	v_fma_f64 v[22:23], v[63:64], 0, v[22:23]
	;; [unrolled: 1-line block ×35, first 2 shown]
	global_load_dwordx4 v[17:20], v[15:16], off offset:112
	global_load_dwordx4 v[22:25], v[15:16], off offset:96
	global_load_dwordx4 v[26:29], v[15:16], off offset:80
	global_load_dwordx4 v[30:33], v[15:16], off offset:64
	global_load_dword v14, v[11:12], off offset:256
	s_waitcnt vmcnt(2)
	v_fma_f64 v[34:35], v[28:29], v[55:56], v[34:35]
	s_waitcnt vmcnt(1)
	v_fma_f64 v[43:44], v[30:31], v[55:56], v[43:44]
	v_fma_f64 v[30:31], v[30:31], v[57:58], v[38:39]
	;; [unrolled: 1-line block ×9, first 2 shown]
	s_waitcnt vmcnt(0)
	v_subrev_u32_e32 v14, s16, v14
	v_fma_f64 v[38:39], v[57:58], s[14:15], v[38:39]
	v_fma_f64 v[9:10], v[51:52], 0, v[9:10]
	;; [unrolled: 1-line block ×10, first 2 shown]
	v_lshlrev_b32_e32 v38, 2, v14
	v_ashrrev_i32_e32 v39, 31, v38
	v_lshlrev_b64 v[38:39], 4, v[38:39]
	v_add_co_u32_e32 v69, vcc, s6, v38
	v_addc_co_u32_e32 v70, vcc, v37, v39, vcc
	v_fma_f64 v[59:60], v[53:54], s[14:15], v[22:23]
	v_fma_f64 v[22:23], v[51:52], 0, v[32:33]
	;; [unrolled: 1-line block ×9, first 2 shown]
	global_load_dwordx4 v[17:20], v[67:68], off
	global_load_dwordx4 v[22:25], v[67:68], off offset:48
	global_load_dwordx4 v[26:29], v[67:68], off offset:32
	;; [unrolled: 1-line block ×6, first 2 shown]
	global_load_dwordx4 v[51:54], v[69:70], off
	s_waitcnt vmcnt(0)
	v_fma_f64 v[57:58], v[51:52], 0, v[57:58]
	v_fma_f64 v[55:56], v[17:18], v[51:52], v[55:56]
	;; [unrolled: 1-line block ×33, first 2 shown]
	global_load_dwordx4 v[17:20], v[67:68], off offset:112
	global_load_dwordx4 v[22:25], v[67:68], off offset:96
	;; [unrolled: 1-line block ×4, first 2 shown]
	global_load_dword v14, v[11:12], off offset:512
	v_fma_f64 v[49:50], v[43:44], 0, v[53:54]
	v_fma_f64 v[53:54], v[43:44], 0, v[61:62]
	v_add_co_u32_e32 v67, vcc, s13, v15
	v_addc_co_u32_e32 v68, vcc, 0, v16, vcc
	s_waitcnt vmcnt(2)
	v_fma_f64 v[34:35], v[28:29], v[43:44], v[34:35]
	s_waitcnt vmcnt(1)
	v_fma_f64 v[47:48], v[30:31], v[43:44], v[51:52]
	v_fma_f64 v[30:31], v[30:31], v[45:46], v[49:50]
	;; [unrolled: 1-line block ×5, first 2 shown]
	s_waitcnt vmcnt(0)
	v_subrev_u32_e32 v14, s16, v14
	v_fma_f64 v[34:35], v[45:46], s[14:15], v[34:35]
	v_fma_f64 v[47:48], v[45:46], s[14:15], v[47:48]
	;; [unrolled: 1-line block ×22, first 2 shown]
	v_lshlrev_b32_e32 v38, 2, v14
	v_ashrrev_i32_e32 v39, 31, v38
	v_lshlrev_b64 v[38:39], 4, v[38:39]
	v_add_co_u32_e32 v69, vcc, s6, v38
	v_addc_co_u32_e32 v70, vcc, v37, v39, vcc
	v_fma_f64 v[34:35], v[40:41], s[14:15], v[17:18]
	global_load_dwordx4 v[17:20], v[67:68], off
	global_load_dwordx4 v[22:25], v[67:68], off offset:48
	global_load_dwordx4 v[26:29], v[67:68], off offset:32
	;; [unrolled: 1-line block ×6, first 2 shown]
	global_load_dwordx4 v[51:54], v[69:70], off
	s_waitcnt vmcnt(0)
	v_fma_f64 v[57:58], v[51:52], 0, v[57:58]
	v_fma_f64 v[55:56], v[17:18], v[51:52], v[55:56]
	v_fma_f64 v[9:10], v[51:52], 0, v[9:10]
	v_fma_f64 v[34:35], v[32:33], v[51:52], v[34:35]
	v_fma_f64 v[17:18], v[17:18], v[53:54], v[57:58]
	v_fma_f64 v[57:58], v[19:20], v[51:52], v[59:60]
	v_fma_f64 v[55:56], v[53:54], s[14:15], v[55:56]
	v_fma_f64 v[59:60], v[51:52], 0, v[61:62]
	v_fma_f64 v[61:62], v[51:52], 0, v[65:66]
	v_fma_f64 v[9:10], v[32:33], v[53:54], v[9:10]
	v_fma_f64 v[34:35], v[53:54], s[14:15], v[34:35]
	v_fma_f64 v[17:18], v[47:48], 0, v[17:18]
	v_fma_f64 v[57:58], v[53:54], s[14:15], v[57:58]
	v_fma_f64 v[32:33], v[26:27], v[47:48], v[55:56]
	v_fma_f64 v[19:20], v[19:20], v[53:54], v[59:60]
	v_fma_f64 v[59:60], v[30:31], v[51:52], v[63:64]
	v_fma_f64 v[30:31], v[30:31], v[53:54], v[61:62]
	v_fma_f64 v[9:10], v[47:48], 0, v[9:10]
	v_fma_f64 v[26:27], v[26:27], v[49:50], v[17:18]
	v_fma_f64 v[17:18], v[28:29], v[47:48], v[57:58]
	v_fma_f64 v[51:52], v[49:50], s[14:15], v[32:33]
	v_fma_f64 v[59:60], v[53:54], s[14:15], v[59:60]
	v_fma_f64 v[9:10], v[24:25], v[49:50], v[9:10]
	v_fma_f64 v[26:27], v[43:44], 0, v[26:27]
	v_fma_f64 v[53:54], v[49:50], s[14:15], v[17:18]
	v_fma_f64 v[17:18], v[47:48], 0, v[19:20]
	v_fma_f64 v[9:10], v[43:44], 0, v[9:10]
	v_fma_f64 v[55:56], v[28:29], v[49:50], v[17:18]
	v_fma_f64 v[17:18], v[22:23], v[47:48], v[59:60]
	v_fma_f64 v[57:58], v[49:50], s[14:15], v[17:18]
	v_fma_f64 v[17:18], v[47:48], 0, v[30:31]
	v_fma_f64 v[59:60], v[22:23], v[49:50], v[17:18]
	v_fma_f64 v[17:18], v[24:25], v[47:48], v[34:35]
	v_fma_f64 v[61:62], v[49:50], s[14:15], v[17:18]
	global_load_dwordx4 v[28:31], v[67:68], off offset:112
	global_load_dwordx4 v[22:25], v[67:68], off offset:96
	;; [unrolled: 1-line block ×4, first 2 shown]
	v_fma_f64 v[49:50], v[43:44], 0, v[55:56]
	global_load_dword v11, v[11:12], off offset:768
	s_waitcnt vmcnt(1)
	v_fma_f64 v[47:48], v[32:33], v[43:44], v[51:52]
	v_fma_f64 v[51:52], v[43:44], 0, v[59:60]
	v_fma_f64 v[26:27], v[32:33], v[45:46], v[26:27]
	v_fma_f64 v[32:33], v[34:35], v[43:44], v[53:54]
	v_fma_f64 v[34:35], v[34:35], v[45:46], v[49:50]
	v_fma_f64 v[49:50], v[17:18], v[43:44], v[57:58]
	s_waitcnt vmcnt(0)
	v_subrev_u32_e32 v11, s16, v11
	v_fma_f64 v[47:48], v[45:46], s[14:15], v[47:48]
	v_fma_f64 v[51:52], v[17:18], v[45:46], v[51:52]
	v_fma_f64 v[17:18], v[19:20], v[43:44], v[61:62]
	v_fma_f64 v[32:33], v[45:46], s[14:15], v[32:33]
	v_fma_f64 v[43:44], v[19:20], v[45:46], v[9:10]
	v_fma_f64 v[49:50], v[45:46], s[14:15], v[49:50]
	v_fma_f64 v[9:10], v[22:23], v[38:39], v[47:48]
	v_fma_f64 v[53:54], v[45:46], s[14:15], v[17:18]
	v_fma_f64 v[17:18], v[38:39], 0, v[26:27]
	v_fma_f64 v[26:27], v[38:39], 0, v[51:52]
	v_fma_f64 v[19:20], v[24:25], v[38:39], v[32:33]
	v_fma_f64 v[32:33], v[38:39], 0, v[43:44]
	v_fma_f64 v[9:10], v[40:41], s[14:15], v[9:10]
	v_fma_f64 v[17:18], v[22:23], v[40:41], v[17:18]
	v_fma_f64 v[22:23], v[38:39], 0, v[34:35]
	v_fma_f64 v[26:27], v[28:29], v[40:41], v[26:27]
	v_fma_f64 v[19:20], v[40:41], s[14:15], v[19:20]
	v_fma_f64 v[22:23], v[24:25], v[40:41], v[22:23]
	v_fma_f64 v[24:25], v[28:29], v[38:39], v[49:50]
	v_fma_f64 v[28:29], v[30:31], v[38:39], v[53:54]
	v_fma_f64 v[30:31], v[30:31], v[40:41], v[32:33]
	v_lshlrev_b32_e32 v32, 2, v11
	v_ashrrev_i32_e32 v33, 31, v32
	v_add_co_u32_e32 v11, vcc, s17, v15
	v_lshlrev_b64 v[32:33], 4, v[32:33]
	v_addc_co_u32_e32 v12, vcc, 0, v16, vcc
	v_add_co_u32_e32 v67, vcc, s6, v32
	v_addc_co_u32_e32 v68, vcc, v37, v33, vcc
	v_fma_f64 v[24:25], v[40:41], s[14:15], v[24:25]
	v_fma_f64 v[28:29], v[40:41], s[14:15], v[28:29]
	global_load_dwordx4 v[38:41], v[11:12], off
	global_load_dwordx4 v[43:46], v[11:12], off offset:48
	global_load_dwordx4 v[47:50], v[11:12], off offset:32
	;; [unrolled: 1-line block ×6, first 2 shown]
	global_load_dwordx4 v[63:66], v[67:68], off
	v_add_co_u32_e32 v15, vcc, 0x8000, v15
	v_addc_co_u32_e32 v16, vcc, 0, v16, vcc
	s_waitcnt vmcnt(0)
	v_fma_f64 v[17:18], v[63:64], 0, v[17:18]
	v_fma_f64 v[9:10], v[38:39], v[63:64], v[9:10]
	;; [unrolled: 1-line block ×33, first 2 shown]
	global_load_dwordx4 v[17:20], v[11:12], off offset:112
	global_load_dwordx4 v[26:29], v[11:12], off offset:96
	;; [unrolled: 1-line block ×4, first 2 shown]
	v_fma_f64 v[11:12], v[32:33], 0, v[47:48]
	v_fma_f64 v[45:46], v[32:33], 0, v[49:50]
	s_waitcnt vmcnt(1)
	v_fma_f64 v[43:44], v[22:23], v[34:35], v[43:44]
	s_waitcnt vmcnt(0)
	v_fma_f64 v[9:10], v[38:39], v[32:33], v[9:10]
	v_fma_f64 v[11:12], v[38:39], v[34:35], v[11:12]
	;; [unrolled: 1-line block ×28, first 2 shown]
	s_andn2_b64 exec, exec, s[10:11]
	s_cbranch_execnz .LBB139_31
; %bb.32:
	s_or_b64 exec, exec, s[10:11]
.LBB139_33:
	s_or_b64 exec, exec, s[8:9]
.LBB139_34:
	s_or_b64 exec, exec, s[2:3]
.LBB139_35:
	v_mov_b32_dpp v11, v32 row_shr:1 row_mask:0xf bank_mask:0xf
	v_mov_b32_dpp v12, v33 row_shr:1 row_mask:0xf bank_mask:0xf
	v_add_f64 v[11:12], v[32:33], v[11:12]
	v_mov_b32_dpp v13, v24 row_shr:1 row_mask:0xf bank_mask:0xf
	v_mov_b32_dpp v14, v25 row_shr:1 row_mask:0xf bank_mask:0xf
	v_add_f64 v[13:14], v[24:25], v[13:14]
	v_mov_b32_dpp v17, v22 row_shr:1 row_mask:0xf bank_mask:0xf
	v_mov_b32_dpp v36, v28 row_shr:1 row_mask:0xf bank_mask:0xf
	;; [unrolled: 1-line block ×3, first 2 shown]
	v_add_f64 v[28:29], v[28:29], v[36:37]
	v_mov_b32_dpp v15, v11 row_shr:2 row_mask:0xf bank_mask:0xf
	v_mov_b32_dpp v16, v12 row_shr:2 row_mask:0xf bank_mask:0xf
	v_add_f64 v[11:12], v[11:12], v[15:16]
	v_mov_b32_dpp v15, v13 row_shr:2 row_mask:0xf bank_mask:0xf
	v_mov_b32_dpp v16, v14 row_shr:2 row_mask:0xf bank_mask:0xf
	;; [unrolled: 3-line block ×4, first 2 shown]
	v_mov_b32_dpp v19, v12 row_shr:4 row_mask:0xf bank_mask:0xe
	v_add_f64 v[11:12], v[11:12], v[18:19]
	v_mov_b32_dpp v18, v13 row_shr:4 row_mask:0xf bank_mask:0xe
	v_mov_b32_dpp v19, v14 row_shr:4 row_mask:0xf bank_mask:0xe
	v_add_f64 v[13:14], v[13:14], v[18:19]
	v_mov_b32_dpp v18, v23 row_shr:1 row_mask:0xf bank_mask:0xf
	v_add_f64 v[17:18], v[22:23], v[17:18]
	v_mov_b32_dpp v19, v15 row_shr:2 row_mask:0xf bank_mask:0xf
	v_mov_b32_dpp v20, v16 row_shr:2 row_mask:0xf bank_mask:0xf
	v_add_f64 v[15:16], v[15:16], v[19:20]
	v_mov_b32_dpp v22, v11 row_shr:8 row_mask:0xf bank_mask:0xc
	;; [unrolled: 3-line block ×3, first 2 shown]
	v_mov_b32_dpp v19, v17 row_shr:2 row_mask:0xf bank_mask:0xf
	v_mov_b32_dpp v20, v18 row_shr:2 row_mask:0xf bank_mask:0xf
	v_add_f64 v[17:18], v[17:18], v[19:20]
	v_mov_b32_dpp v23, v14 row_shr:8 row_mask:0xf bank_mask:0xc
	v_add_f64 v[13:14], v[13:14], v[22:23]
	v_mov_b32_dpp v22, v15 row_shr:4 row_mask:0xf bank_mask:0xe
	v_mov_b32_dpp v23, v16 row_shr:4 row_mask:0xf bank_mask:0xe
	v_add_f64 v[15:16], v[15:16], v[22:23]
	v_mov_b32_dpp v19, v11 row_bcast:15 row_mask:0xa bank_mask:0xf
	v_mov_b32_dpp v20, v12 row_bcast:15 row_mask:0xa bank_mask:0xf
	v_mov_b32_dpp v22, v17 row_shr:4 row_mask:0xf bank_mask:0xe
	v_mov_b32_dpp v23, v18 row_shr:4 row_mask:0xf bank_mask:0xe
	v_add_f64 v[17:18], v[17:18], v[22:23]
	v_mov_b32_dpp v22, v30 row_shr:1 row_mask:0xf bank_mask:0xf
	v_mov_b32_dpp v23, v31 row_shr:1 row_mask:0xf bank_mask:0xf
	v_add_f64 v[22:23], v[30:31], v[22:23]
	v_mov_b32_dpp v24, v15 row_shr:8 row_mask:0xf bank_mask:0xc
	v_mov_b32_dpp v25, v16 row_shr:8 row_mask:0xf bank_mask:0xc
	v_add_f64 v[15:16], v[15:16], v[24:25]
	v_add_f64 v[11:12], v[11:12], v[19:20]
	v_mov_b32_dpp v24, v17 row_shr:8 row_mask:0xf bank_mask:0xc
	v_mov_b32_dpp v25, v18 row_shr:8 row_mask:0xf bank_mask:0xc
	v_add_f64 v[17:18], v[17:18], v[24:25]
	v_mov_b32_dpp v24, v22 row_shr:2 row_mask:0xf bank_mask:0xf
	v_mov_b32_dpp v25, v23 row_shr:2 row_mask:0xf bank_mask:0xf
	v_add_f64 v[22:23], v[22:23], v[24:25]
	v_mov_b32_dpp v19, v13 row_bcast:15 row_mask:0xa bank_mask:0xf
	v_mov_b32_dpp v20, v14 row_bcast:15 row_mask:0xa bank_mask:0xf
	v_add_f64 v[13:14], v[13:14], v[19:20]
	v_mov_b32_dpp v19, v15 row_bcast:15 row_mask:0xa bank_mask:0xf
	v_mov_b32_dpp v20, v16 row_bcast:15 row_mask:0xa bank_mask:0xf
	;; [unrolled: 3-line block ×3, first 2 shown]
	v_add_f64 v[17:18], v[17:18], v[19:20]
	v_mov_b32_dpp v19, v22 row_shr:4 row_mask:0xf bank_mask:0xe
	v_mov_b32_dpp v20, v23 row_shr:4 row_mask:0xf bank_mask:0xe
	v_add_f64 v[30:31], v[22:23], v[19:20]
	v_mov_b32_dpp v37, v35 row_shr:1 row_mask:0xf bank_mask:0xf
	v_add_f64 v[34:35], v[34:35], v[36:37]
	v_mov_b32_dpp v36, v9 row_shr:1 row_mask:0xf bank_mask:0xf
	v_mov_b32_dpp v37, v10 row_shr:1 row_mask:0xf bank_mask:0xf
	v_add_f64 v[9:10], v[9:10], v[36:37]
	v_mov_b32_dpp v26, v11 row_bcast:31 row_mask:0xc bank_mask:0xf
	v_mov_b32_dpp v27, v12 row_bcast:31 row_mask:0xc bank_mask:0xf
	v_mov_b32_dpp v32, v30 row_shr:8 row_mask:0xf bank_mask:0xc
	v_mov_b32_dpp v33, v31 row_shr:8 row_mask:0xf bank_mask:0xc
	v_add_f64 v[30:31], v[30:31], v[32:33]
	v_mov_b32_dpp v32, v28 row_shr:2 row_mask:0xf bank_mask:0xf
	v_mov_b32_dpp v33, v29 row_shr:2 row_mask:0xf bank_mask:0xf
	v_add_f64 v[28:29], v[28:29], v[32:33]
	;; [unrolled: 3-line block ×4, first 2 shown]
	v_mov_b32_dpp v34, v30 row_bcast:15 row_mask:0xa bank_mask:0xf
	v_mov_b32_dpp v35, v28 row_shr:4 row_mask:0xf bank_mask:0xe
	v_mov_b32_dpp v36, v29 row_shr:4 row_mask:0xf bank_mask:0xe
	v_add_f64 v[28:29], v[28:29], v[35:36]
	v_mov_b32_dpp v35, v32 row_shr:4 row_mask:0xf bank_mask:0xe
	v_mov_b32_dpp v36, v33 row_shr:4 row_mask:0xf bank_mask:0xe
	v_add_f64 v[32:33], v[32:33], v[35:36]
	;; [unrolled: 3-line block ×3, first 2 shown]
	v_mov_b32_dpp v35, v31 row_bcast:15 row_mask:0xa bank_mask:0xf
	v_mov_b32_dpp v36, v28 row_shr:8 row_mask:0xf bank_mask:0xc
	v_mov_b32_dpp v37, v29 row_shr:8 row_mask:0xf bank_mask:0xc
	v_add_f64 v[28:29], v[28:29], v[36:37]
	v_mov_b32_dpp v36, v32 row_shr:8 row_mask:0xf bank_mask:0xc
	v_mov_b32_dpp v37, v33 row_shr:8 row_mask:0xf bank_mask:0xc
	v_add_f64 v[32:33], v[32:33], v[36:37]
	;; [unrolled: 3-line block ×3, first 2 shown]
	v_add_f64 v[9:10], v[30:31], v[34:35]
	v_mov_b32_dpp v30, v28 row_bcast:15 row_mask:0xa bank_mask:0xf
	v_mov_b32_dpp v31, v29 row_bcast:15 row_mask:0xa bank_mask:0xf
	v_add_f64 v[28:29], v[28:29], v[30:31]
	v_mov_b32_dpp v30, v32 row_bcast:15 row_mask:0xa bank_mask:0xf
	v_mov_b32_dpp v31, v33 row_bcast:15 row_mask:0xa bank_mask:0xf
	;; [unrolled: 3-line block ×4, first 2 shown]
	v_mov_b32_dpp v22, v15 row_bcast:31 row_mask:0xc bank_mask:0xf
	v_mov_b32_dpp v23, v16 row_bcast:31 row_mask:0xc bank_mask:0xf
	v_mov_b32_dpp v19, v17 row_bcast:31 row_mask:0xc bank_mask:0xf
	v_mov_b32_dpp v20, v18 row_bcast:31 row_mask:0xc bank_mask:0xf
	v_mov_b32_dpp v40, v9 row_bcast:31 row_mask:0xc bank_mask:0xf
	v_mov_b32_dpp v41, v10 row_bcast:31 row_mask:0xc bank_mask:0xf
	v_mov_b32_dpp v38, v28 row_bcast:31 row_mask:0xc bank_mask:0xf
	v_mov_b32_dpp v39, v29 row_bcast:31 row_mask:0xc bank_mask:0xf
	v_mov_b32_dpp v36, v30 row_bcast:31 row_mask:0xc bank_mask:0xf
	v_mov_b32_dpp v37, v31 row_bcast:31 row_mask:0xc bank_mask:0xf
	v_mov_b32_dpp v34, v32 row_bcast:31 row_mask:0xc bank_mask:0xf
	v_mov_b32_dpp v35, v33 row_bcast:31 row_mask:0xc bank_mask:0xf
	v_cmp_eq_u32_e32 vcc, 63, v0
	s_and_b64 exec, exec, vcc
	s_cbranch_execz .LBB139_8
; %bb.36:
	v_add_f64 v[13:14], v[13:14], v[24:25]
	v_add_f64 v[15:16], v[15:16], v[22:23]
	;; [unrolled: 1-line block ×8, first 2 shown]
	v_mul_f64 v[26:27], v[13:14], -v[7:8]
	v_mul_f64 v[13:14], v[5:6], v[13:14]
	v_mul_f64 v[28:29], v[17:18], -v[7:8]
	v_mul_f64 v[30:31], v[5:6], v[17:18]
	;; [unrolled: 2-line block ×4, first 2 shown]
	v_cmp_eq_f64_e32 vcc, 0, v[1:2]
	v_cmp_eq_f64_e64 s[0:1], 0, v[3:4]
	v_fma_f64 v[17:18], v[5:6], v[11:12], v[26:27]
	v_fma_f64 v[19:20], v[7:8], v[11:12], v[13:14]
	;; [unrolled: 1-line block ×8, first 2 shown]
	s_load_dwordx2 s[2:3], s[4:5], 0x60
	s_and_b64 s[0:1], vcc, s[0:1]
	v_lshlrev_b32_e32 v21, 2, v21
	s_and_saveexec_b64 s[4:5], s[0:1]
	s_xor_b64 s[0:1], exec, s[4:5]
	s_cbranch_execz .LBB139_38
; %bb.37:
	v_ashrrev_i32_e32 v22, 31, v21
	v_lshlrev_b64 v[0:1], 4, v[21:22]
	s_waitcnt lgkmcnt(0)
	v_mov_b32_e32 v2, s3
	v_add_co_u32_e32 v0, vcc, s2, v0
	v_addc_co_u32_e32 v1, vcc, v2, v1, vcc
	global_store_dwordx4 v[0:1], v[17:20], off
	global_store_dwordx4 v[0:1], v[13:16], off offset:16
	global_store_dwordx4 v[0:1], v[9:12], off offset:32
	;; [unrolled: 1-line block ×3, first 2 shown]
                                        ; implicit-def: $vgpr3_vgpr4
                                        ; implicit-def: $vgpr17_vgpr18
                                        ; implicit-def: $vgpr21
                                        ; implicit-def: $vgpr13_vgpr14
                                        ; implicit-def: $vgpr9_vgpr10
                                        ; implicit-def: $vgpr5_vgpr6
.LBB139_38:
	s_andn2_saveexec_b64 s[0:1], s[0:1]
	s_cbranch_execz .LBB139_8
; %bb.39:
	v_ashrrev_i32_e32 v22, 31, v21
	v_lshlrev_b64 v[21:22], 4, v[21:22]
	s_waitcnt lgkmcnt(0)
	v_mov_b32_e32 v0, s3
	v_add_co_u32_e32 v37, vcc, s2, v21
	v_addc_co_u32_e32 v38, vcc, v0, v22, vcc
	global_load_dwordx4 v[21:24], v[37:38], off
	global_load_dwordx4 v[25:28], v[37:38], off offset:16
	global_load_dwordx4 v[29:32], v[37:38], off offset:32
	;; [unrolled: 1-line block ×3, first 2 shown]
	s_waitcnt vmcnt(3)
	v_fma_f64 v[17:18], v[1:2], v[21:22], v[17:18]
	v_fma_f64 v[19:20], v[3:4], v[21:22], v[19:20]
	s_waitcnt vmcnt(2)
	v_fma_f64 v[13:14], v[1:2], v[25:26], v[13:14]
	v_fma_f64 v[15:16], v[3:4], v[25:26], v[15:16]
	;; [unrolled: 3-line block ×4, first 2 shown]
	v_fma_f64 v[5:6], -v[3:4], v[23:24], v[17:18]
	v_fma_f64 v[7:8], v[1:2], v[23:24], v[19:20]
	v_fma_f64 v[9:10], -v[3:4], v[27:28], v[13:14]
	v_fma_f64 v[11:12], v[1:2], v[27:28], v[15:16]
	;; [unrolled: 2-line block ×4, first 2 shown]
	global_store_dwordx4 v[37:38], v[5:8], off
	global_store_dwordx4 v[37:38], v[9:12], off offset:16
	global_store_dwordx4 v[37:38], v[13:16], off offset:32
	;; [unrolled: 1-line block ×3, first 2 shown]
	s_endpgm
	.section	.rodata,"a",@progbits
	.p2align	6, 0x0
	.amdhsa_kernel _ZN9rocsparseL18bsrxmvn_4x4_kernelILj128ELj64E21rocsparse_complex_numIdEiidS2_S2_EEvT3_20rocsparse_direction_NS_24const_host_device_scalarIT1_EES3_PKS3_PKT2_SC_S9_PKT4_PKT5_S7_PT6_21rocsparse_index_base_b
		.amdhsa_group_segment_fixed_size 0
		.amdhsa_private_segment_fixed_size 0
		.amdhsa_kernarg_size 112
		.amdhsa_user_sgpr_count 6
		.amdhsa_user_sgpr_private_segment_buffer 1
		.amdhsa_user_sgpr_dispatch_ptr 0
		.amdhsa_user_sgpr_queue_ptr 0
		.amdhsa_user_sgpr_kernarg_segment_ptr 1
		.amdhsa_user_sgpr_dispatch_id 0
		.amdhsa_user_sgpr_flat_scratch_init 0
		.amdhsa_user_sgpr_private_segment_size 0
		.amdhsa_uses_dynamic_stack 0
		.amdhsa_system_sgpr_private_segment_wavefront_offset 0
		.amdhsa_system_sgpr_workgroup_id_x 1
		.amdhsa_system_sgpr_workgroup_id_y 0
		.amdhsa_system_sgpr_workgroup_id_z 0
		.amdhsa_system_sgpr_workgroup_info 0
		.amdhsa_system_vgpr_workitem_id 0
		.amdhsa_next_free_vgpr 87
		.amdhsa_next_free_sgpr 22
		.amdhsa_reserve_vcc 1
		.amdhsa_reserve_flat_scratch 0
		.amdhsa_float_round_mode_32 0
		.amdhsa_float_round_mode_16_64 0
		.amdhsa_float_denorm_mode_32 3
		.amdhsa_float_denorm_mode_16_64 3
		.amdhsa_dx10_clamp 1
		.amdhsa_ieee_mode 1
		.amdhsa_fp16_overflow 0
		.amdhsa_exception_fp_ieee_invalid_op 0
		.amdhsa_exception_fp_denorm_src 0
		.amdhsa_exception_fp_ieee_div_zero 0
		.amdhsa_exception_fp_ieee_overflow 0
		.amdhsa_exception_fp_ieee_underflow 0
		.amdhsa_exception_fp_ieee_inexact 0
		.amdhsa_exception_int_div_zero 0
	.end_amdhsa_kernel
	.section	.text._ZN9rocsparseL18bsrxmvn_4x4_kernelILj128ELj64E21rocsparse_complex_numIdEiidS2_S2_EEvT3_20rocsparse_direction_NS_24const_host_device_scalarIT1_EES3_PKS3_PKT2_SC_S9_PKT4_PKT5_S7_PT6_21rocsparse_index_base_b,"axG",@progbits,_ZN9rocsparseL18bsrxmvn_4x4_kernelILj128ELj64E21rocsparse_complex_numIdEiidS2_S2_EEvT3_20rocsparse_direction_NS_24const_host_device_scalarIT1_EES3_PKS3_PKT2_SC_S9_PKT4_PKT5_S7_PT6_21rocsparse_index_base_b,comdat
.Lfunc_end139:
	.size	_ZN9rocsparseL18bsrxmvn_4x4_kernelILj128ELj64E21rocsparse_complex_numIdEiidS2_S2_EEvT3_20rocsparse_direction_NS_24const_host_device_scalarIT1_EES3_PKS3_PKT2_SC_S9_PKT4_PKT5_S7_PT6_21rocsparse_index_base_b, .Lfunc_end139-_ZN9rocsparseL18bsrxmvn_4x4_kernelILj128ELj64E21rocsparse_complex_numIdEiidS2_S2_EEvT3_20rocsparse_direction_NS_24const_host_device_scalarIT1_EES3_PKS3_PKT2_SC_S9_PKT4_PKT5_S7_PT6_21rocsparse_index_base_b
                                        ; -- End function
	.set _ZN9rocsparseL18bsrxmvn_4x4_kernelILj128ELj64E21rocsparse_complex_numIdEiidS2_S2_EEvT3_20rocsparse_direction_NS_24const_host_device_scalarIT1_EES3_PKS3_PKT2_SC_S9_PKT4_PKT5_S7_PT6_21rocsparse_index_base_b.num_vgpr, 87
	.set _ZN9rocsparseL18bsrxmvn_4x4_kernelILj128ELj64E21rocsparse_complex_numIdEiidS2_S2_EEvT3_20rocsparse_direction_NS_24const_host_device_scalarIT1_EES3_PKS3_PKT2_SC_S9_PKT4_PKT5_S7_PT6_21rocsparse_index_base_b.num_agpr, 0
	.set _ZN9rocsparseL18bsrxmvn_4x4_kernelILj128ELj64E21rocsparse_complex_numIdEiidS2_S2_EEvT3_20rocsparse_direction_NS_24const_host_device_scalarIT1_EES3_PKS3_PKT2_SC_S9_PKT4_PKT5_S7_PT6_21rocsparse_index_base_b.numbered_sgpr, 22
	.set _ZN9rocsparseL18bsrxmvn_4x4_kernelILj128ELj64E21rocsparse_complex_numIdEiidS2_S2_EEvT3_20rocsparse_direction_NS_24const_host_device_scalarIT1_EES3_PKS3_PKT2_SC_S9_PKT4_PKT5_S7_PT6_21rocsparse_index_base_b.num_named_barrier, 0
	.set _ZN9rocsparseL18bsrxmvn_4x4_kernelILj128ELj64E21rocsparse_complex_numIdEiidS2_S2_EEvT3_20rocsparse_direction_NS_24const_host_device_scalarIT1_EES3_PKS3_PKT2_SC_S9_PKT4_PKT5_S7_PT6_21rocsparse_index_base_b.private_seg_size, 0
	.set _ZN9rocsparseL18bsrxmvn_4x4_kernelILj128ELj64E21rocsparse_complex_numIdEiidS2_S2_EEvT3_20rocsparse_direction_NS_24const_host_device_scalarIT1_EES3_PKS3_PKT2_SC_S9_PKT4_PKT5_S7_PT6_21rocsparse_index_base_b.uses_vcc, 1
	.set _ZN9rocsparseL18bsrxmvn_4x4_kernelILj128ELj64E21rocsparse_complex_numIdEiidS2_S2_EEvT3_20rocsparse_direction_NS_24const_host_device_scalarIT1_EES3_PKS3_PKT2_SC_S9_PKT4_PKT5_S7_PT6_21rocsparse_index_base_b.uses_flat_scratch, 0
	.set _ZN9rocsparseL18bsrxmvn_4x4_kernelILj128ELj64E21rocsparse_complex_numIdEiidS2_S2_EEvT3_20rocsparse_direction_NS_24const_host_device_scalarIT1_EES3_PKS3_PKT2_SC_S9_PKT4_PKT5_S7_PT6_21rocsparse_index_base_b.has_dyn_sized_stack, 0
	.set _ZN9rocsparseL18bsrxmvn_4x4_kernelILj128ELj64E21rocsparse_complex_numIdEiidS2_S2_EEvT3_20rocsparse_direction_NS_24const_host_device_scalarIT1_EES3_PKS3_PKT2_SC_S9_PKT4_PKT5_S7_PT6_21rocsparse_index_base_b.has_recursion, 0
	.set _ZN9rocsparseL18bsrxmvn_4x4_kernelILj128ELj64E21rocsparse_complex_numIdEiidS2_S2_EEvT3_20rocsparse_direction_NS_24const_host_device_scalarIT1_EES3_PKS3_PKT2_SC_S9_PKT4_PKT5_S7_PT6_21rocsparse_index_base_b.has_indirect_call, 0
	.section	.AMDGPU.csdata,"",@progbits
; Kernel info:
; codeLenInByte = 9796
; TotalNumSgprs: 26
; NumVgprs: 87
; ScratchSize: 0
; MemoryBound: 0
; FloatMode: 240
; IeeeMode: 1
; LDSByteSize: 0 bytes/workgroup (compile time only)
; SGPRBlocks: 3
; VGPRBlocks: 21
; NumSGPRsForWavesPerEU: 26
; NumVGPRsForWavesPerEU: 87
; Occupancy: 2
; WaveLimiterHint : 1
; COMPUTE_PGM_RSRC2:SCRATCH_EN: 0
; COMPUTE_PGM_RSRC2:USER_SGPR: 6
; COMPUTE_PGM_RSRC2:TRAP_HANDLER: 0
; COMPUTE_PGM_RSRC2:TGID_X_EN: 1
; COMPUTE_PGM_RSRC2:TGID_Y_EN: 0
; COMPUTE_PGM_RSRC2:TGID_Z_EN: 0
; COMPUTE_PGM_RSRC2:TIDIG_COMP_CNT: 0
	.section	.text._ZN9rocsparseL18bsrxmvn_4x4_kernelILj128ELj4E21rocsparse_complex_numIdElidS2_S2_EEvT3_20rocsparse_direction_NS_24const_host_device_scalarIT1_EES3_PKS3_PKT2_SC_S9_PKT4_PKT5_S7_PT6_21rocsparse_index_base_b,"axG",@progbits,_ZN9rocsparseL18bsrxmvn_4x4_kernelILj128ELj4E21rocsparse_complex_numIdElidS2_S2_EEvT3_20rocsparse_direction_NS_24const_host_device_scalarIT1_EES3_PKS3_PKT2_SC_S9_PKT4_PKT5_S7_PT6_21rocsparse_index_base_b,comdat
	.globl	_ZN9rocsparseL18bsrxmvn_4x4_kernelILj128ELj4E21rocsparse_complex_numIdElidS2_S2_EEvT3_20rocsparse_direction_NS_24const_host_device_scalarIT1_EES3_PKS3_PKT2_SC_S9_PKT4_PKT5_S7_PT6_21rocsparse_index_base_b ; -- Begin function _ZN9rocsparseL18bsrxmvn_4x4_kernelILj128ELj4E21rocsparse_complex_numIdElidS2_S2_EEvT3_20rocsparse_direction_NS_24const_host_device_scalarIT1_EES3_PKS3_PKT2_SC_S9_PKT4_PKT5_S7_PT6_21rocsparse_index_base_b
	.p2align	8
	.type	_ZN9rocsparseL18bsrxmvn_4x4_kernelILj128ELj4E21rocsparse_complex_numIdElidS2_S2_EEvT3_20rocsparse_direction_NS_24const_host_device_scalarIT1_EES3_PKS3_PKT2_SC_S9_PKT4_PKT5_S7_PT6_21rocsparse_index_base_b,@function
_ZN9rocsparseL18bsrxmvn_4x4_kernelILj128ELj4E21rocsparse_complex_numIdElidS2_S2_EEvT3_20rocsparse_direction_NS_24const_host_device_scalarIT1_EES3_PKS3_PKT2_SC_S9_PKT4_PKT5_S7_PT6_21rocsparse_index_base_b: ; @_ZN9rocsparseL18bsrxmvn_4x4_kernelILj128ELj4E21rocsparse_complex_numIdElidS2_S2_EEvT3_20rocsparse_direction_NS_24const_host_device_scalarIT1_EES3_PKS3_PKT2_SC_S9_PKT4_PKT5_S7_PT6_21rocsparse_index_base_b
; %bb.0:
	s_load_dwordx2 s[0:1], s[4:5], 0x8
	s_load_dwordx2 s[16:17], s[4:5], 0x68
	s_add_u32 s7, s4, 8
	s_addc_u32 s8, s5, 0
	s_add_u32 s9, s4, 0x50
	s_addc_u32 s10, s5, 0
	s_waitcnt lgkmcnt(0)
	s_bitcmp1_b32 s17, 0
	s_cselect_b32 s1, s8, s1
	s_cselect_b32 s0, s7, s0
	v_mov_b32_e32 v1, s0
	v_mov_b32_e32 v2, s1
	flat_load_dwordx4 v[5:8], v[1:2]
	s_load_dwordx2 s[2:3], s[4:5], 0x50
	s_waitcnt lgkmcnt(0)
	s_cselect_b32 s0, s10, s3
	s_cselect_b32 s1, s9, s2
	v_mov_b32_e32 v1, s1
	v_mov_b32_e32 v2, s0
	flat_load_dwordx4 v[1:4], v[1:2]
	s_waitcnt vmcnt(0)
	v_cmp_eq_f64_e32 vcc, 0, v[5:6]
	v_cmp_eq_f64_e64 s[0:1], 0, v[7:8]
	s_and_b64 s[8:9], vcc, s[0:1]
	s_mov_b64 s[0:1], -1
	s_and_saveexec_b64 s[2:3], s[8:9]
	s_cbranch_execz .LBB140_2
; %bb.1:
	s_waitcnt lgkmcnt(0)
	v_cmp_neq_f64_e32 vcc, 1.0, v[1:2]
	v_cmp_neq_f64_e64 s[0:1], 0, v[3:4]
	s_or_b64 s[0:1], vcc, s[0:1]
	s_orn2_b64 s[0:1], s[0:1], exec
.LBB140_2:
	s_or_b64 exec, exec, s[2:3]
	s_and_saveexec_b64 s[2:3], s[0:1]
	s_cbranch_execz .LBB140_8
; %bb.3:
	s_load_dwordx2 s[8:9], s[4:5], 0x20
	s_load_dwordx2 s[0:1], s[4:5], 0x0
	v_lshrrev_b32_e32 v9, 2, v0
	v_lshl_or_b32 v21, s6, 5, v9
	s_mov_b64 s[2:3], 0
	s_waitcnt lgkmcnt(0)
	s_cmp_lg_u64 s[8:9], 0
	s_cbranch_scc0 .LBB140_9
; %bb.4:
	s_load_dword s6, s[4:5], 0x18
                                        ; implicit-def: $vgpr9
	s_waitcnt lgkmcnt(0)
	v_cmp_gt_i32_e32 vcc, s6, v21
	s_and_saveexec_b64 s[6:7], vcc
	s_xor_b64 s[6:7], exec, s[6:7]
	s_cbranch_execz .LBB140_6
; %bb.5:
	v_ashrrev_i32_e32 v22, 31, v21
	v_lshlrev_b64 v[9:10], 2, v[21:22]
	v_mov_b32_e32 v11, s9
	v_add_co_u32_e32 v9, vcc, s8, v9
	v_addc_co_u32_e32 v10, vcc, v11, v10, vcc
	global_load_dword v9, v[9:10], off
	s_mov_b64 s[2:3], exec
	s_waitcnt vmcnt(0)
	v_subrev_u32_e32 v9, s16, v9
.LBB140_6:
	s_or_b64 exec, exec, s[6:7]
	s_branch .LBB140_10
.LBB140_7:
	v_cmp_gt_i32_e32 vcc, s0, v21
	s_andn2_b64 s[2:3], s[2:3], exec
	s_and_b64 s[6:7], vcc, exec
	s_or_b64 s[2:3], s[2:3], s[6:7]
	s_and_b64 exec, exec, s[2:3]
	s_cbranch_execnz .LBB140_11
.LBB140_8:
	s_endpgm
.LBB140_9:
                                        ; implicit-def: $vgpr9
	s_cbranch_execnz .LBB140_7
.LBB140_10:
	v_mov_b32_e32 v21, v9
	s_and_b64 exec, exec, s[2:3]
	s_cbranch_execz .LBB140_8
.LBB140_11:
	s_load_dwordx8 s[8:15], s[4:5], 0x28
	v_ashrrev_i32_e32 v22, 31, v21
	v_lshlrev_b64 v[9:10], 3, v[21:22]
	v_and_b32_e32 v0, 3, v0
	s_waitcnt lgkmcnt(0)
	v_mov_b32_e32 v12, s9
	v_add_co_u32_e32 v11, vcc, s8, v9
	v_addc_co_u32_e32 v12, vcc, v12, v10, vcc
	global_load_dwordx2 v[15:16], v[11:12], off
	v_add_co_u32_e32 v11, vcc, 8, v11
	v_addc_co_u32_e32 v12, vcc, 0, v12, vcc
	v_mov_b32_e32 v13, s11
	v_add_co_u32_e32 v9, vcc, s10, v9
	s_cmp_eq_u64 s[10:11], 0
	v_addc_co_u32_e32 v10, vcc, v13, v10, vcc
	s_cselect_b64 vcc, -1, 0
	v_cndmask_b32_e32 v10, v10, v12, vcc
	v_cndmask_b32_e32 v9, v9, v11, vcc
	global_load_dwordx2 v[11:12], v[9:10], off
	s_load_dwordx2 s[10:11], s[4:5], 0x48
	v_mov_b32_e32 v17, s15
	s_cmp_eq_u32 s1, 1
	s_waitcnt vmcnt(1)
	v_subrev_co_u32_e32 v9, vcc, s16, v15
	v_subbrev_co_u32_e32 v10, vcc, 0, v16, vcc
	v_add_co_u32_e32 v9, vcc, v9, v0
	v_addc_co_u32_e32 v10, vcc, 0, v10, vcc
	v_lshlrev_b64 v[13:14], 7, v[9:10]
	s_waitcnt vmcnt(0)
	v_subrev_co_u32_e32 v11, vcc, s16, v11
	v_subbrev_co_u32_e32 v12, vcc, 0, v12, vcc
	v_cmp_lt_i64_e64 s[0:1], v[9:10], v[11:12]
	v_add_co_u32_e32 v13, vcc, s14, v13
	v_addc_co_u32_e32 v14, vcc, v17, v14, vcc
	s_cbranch_scc1 .LBB140_23
; %bb.12:
	v_mov_b32_e32 v24, 0
	v_mov_b32_e32 v30, 0
	;; [unrolled: 1-line block ×16, first 2 shown]
	s_and_saveexec_b64 s[14:15], s[0:1]
	s_cbranch_execz .LBB140_22
; %bb.13:
	v_or_b32_e32 v17, 4, v0
	v_subrev_co_u32_e32 v17, vcc, s16, v17
	v_subb_co_u32_e64 v18, s[2:3], 0, 0, vcc
	v_add_co_u32_e32 v17, vcc, v17, v15
	v_addc_co_u32_e32 v18, vcc, v18, v16, vcc
	v_cmp_gt_i64_e32 vcc, v[17:18], v[11:12]
	v_not_b32_e32 v20, v15
	v_cndmask_b32_e32 v18, v12, v18, vcc
	v_cndmask_b32_e32 v17, v11, v17, vcc
	v_sub_co_u32_e32 v22, vcc, s16, v0
	v_not_b32_e32 v19, v16
	v_subb_co_u32_e64 v23, s[2:3], 0, 0, vcc
	v_add_co_u32_e32 v20, vcc, v22, v20
	v_addc_co_u32_e32 v19, vcc, v23, v19, vcc
	v_add_co_u32_e32 v22, vcc, v20, v17
	v_addc_co_u32_e32 v23, vcc, v19, v18, vcc
	v_and_b32_e32 v17, 12, v22
	v_mov_b32_e32 v18, 0
	v_cmp_ne_u64_e32 vcc, 12, v[17:18]
	v_mov_b32_e32 v32, 0
	v_mov_b32_e32 v34, 0
	;; [unrolled: 1-line block ×20, first 2 shown]
	s_and_saveexec_b64 s[18:19], vcc
	s_cbranch_execz .LBB140_17
; %bb.14:
	v_lshrrev_b32_e32 v17, 2, v22
	v_add_u32_e32 v17, 1, v17
	v_and_b32_e32 v19, 3, v17
	v_lshlrev_b64 v[17:18], 2, v[9:10]
	v_mov_b32_e32 v20, s13
	v_add_co_u32_e32 v40, vcc, s12, v17
	v_addc_co_u32_e32 v41, vcc, v20, v18, vcc
	v_sub_co_u32_e32 v42, vcc, 0, v19
	v_mov_b32_e32 v24, 0
	s_mov_b32 s22, 0
	v_mov_b32_e32 v18, v10
	v_mov_b32_e32 v30, 0
	;; [unrolled: 1-line block ×9, first 2 shown]
	s_mov_b64 s[20:21], 0
	v_subb_co_u32_e64 v43, s[2:3], 0, 0, vcc
	v_mov_b32_e32 v25, 0
	s_brev_b32 s23, 1
	s_movk_i32 s17, 0x200
	s_waitcnt lgkmcnt(0)
	v_mov_b32_e32 v44, s11
	v_mov_b32_e32 v17, v9
	;; [unrolled: 1-line block ×10, first 2 shown]
.LBB140_15:                             ; =>This Inner Loop Header: Depth=1
	global_load_dword v65, v[40:41], off
	global_load_dwordx4 v[45:48], v[19:20], off offset:32
	global_load_dwordx4 v[49:52], v[19:20], off
	global_load_dwordx4 v[53:56], v[19:20], off offset:64
	global_load_dwordx4 v[57:60], v[19:20], off offset:96
	;; [unrolled: 1-line block ×3, first 2 shown]
	v_add_co_u32_e64 v17, s[2:3], 4, v17
	v_add_co_u32_e64 v40, s[6:7], 16, v40
	;; [unrolled: 1-line block ×3, first 2 shown]
	v_addc_co_u32_e64 v18, s[2:3], 0, v18, s[2:3]
	v_addc_co_u32_e64 v41, s[2:3], 0, v41, s[6:7]
	;; [unrolled: 1-line block ×3, first 2 shown]
	v_cmp_eq_u64_e64 s[2:3], 0, v[42:43]
	s_or_b64 s[20:21], s[2:3], s[20:21]
	s_waitcnt vmcnt(5)
	v_subrev_u32_e32 v65, s16, v65
	v_lshlrev_b32_e32 v65, 2, v65
	v_ashrrev_i32_e32 v66, 31, v65
	v_lshlrev_b64 v[65:66], 4, v[65:66]
	v_add_co_u32_e32 v69, vcc, s10, v65
	v_addc_co_u32_e32 v70, vcc, v44, v66, vcc
	global_load_dwordx4 v[65:68], v[69:70], off
	s_waitcnt vmcnt(0)
	v_fma_f64 v[24:25], v[65:66], 0, v[24:25]
	v_fma_f64 v[26:27], v[65:66], 0, v[26:27]
	;; [unrolled: 1-line block ×10, first 2 shown]
	global_load_dwordx4 v[24:27], v[69:70], off offset:16
	v_fma_f64 v[30:31], v[67:68], s[22:23], v[30:31]
	v_fma_f64 v[36:37], v[53:54], v[67:68], v[36:37]
	;; [unrolled: 1-line block ×6, first 2 shown]
	s_waitcnt vmcnt(0)
	v_fma_f64 v[36:37], v[24:25], 0, v[36:37]
	v_fma_f64 v[28:29], v[24:25], 0, v[49:50]
	v_fma_f64 v[32:33], v[24:25], 0, v[45:46]
	v_fma_f64 v[75:76], v[55:56], v[24:25], v[38:39]
	v_fma_f64 v[67:68], v[51:52], v[24:25], v[30:31]
	v_fma_f64 v[65:66], v[47:48], v[24:25], v[65:66]
	v_fma_f64 v[55:56], v[55:56], v[26:27], v[36:37]
	v_fma_f64 v[36:37], v[24:25], 0, v[57:58]
	v_fma_f64 v[71:72], v[51:52], v[26:27], v[28:29]
	global_load_dwordx4 v[28:31], v[19:20], off offset:16
	v_fma_f64 v[73:74], v[47:48], v[26:27], v[32:33]
	global_load_dwordx4 v[32:35], v[19:20], off offset:80
	global_load_dwordx4 v[45:48], v[19:20], off offset:112
	v_fma_f64 v[24:25], v[59:60], v[24:25], v[53:54]
	v_fma_f64 v[57:58], v[26:27], s[22:23], v[67:68]
	;; [unrolled: 1-line block ×3, first 2 shown]
	global_load_dwordx4 v[36:39], v[69:70], off offset:32
	global_load_dwordx4 v[49:52], v[69:70], off offset:48
	v_fma_f64 v[59:60], v[26:27], s[22:23], v[65:66]
	v_fma_f64 v[65:66], v[26:27], s[22:23], v[75:76]
	v_add_co_u32_e32 v19, vcc, s17, v19
	v_fma_f64 v[24:25], v[26:27], s[22:23], v[24:25]
	v_addc_co_u32_e32 v20, vcc, 0, v20, vcc
	s_waitcnt vmcnt(1)
	v_fma_f64 v[26:27], v[36:37], 0, v[71:72]
	v_fma_f64 v[57:58], v[28:29], v[36:37], v[57:58]
	;; [unrolled: 1-line block ×16, first 2 shown]
	s_waitcnt vmcnt(0)
	v_fma_f64 v[26:27], v[49:50], 0, v[26:27]
	v_fma_f64 v[28:29], v[30:31], v[49:50], v[28:29]
	;; [unrolled: 1-line block ×16, first 2 shown]
	s_andn2_b64 exec, exec, s[20:21]
	s_cbranch_execnz .LBB140_15
; %bb.16:
	s_or_b64 exec, exec, s[20:21]
.LBB140_17:
	s_or_b64 exec, exec, s[18:19]
	v_cmp_lt_u64_e32 vcc, 11, v[22:23]
	s_and_saveexec_b64 s[2:3], vcc
	s_cbranch_execz .LBB140_21
; %bb.18:
	v_lshlrev_b64 v[22:23], 2, v[17:18]
	v_mov_b32_e32 v40, s13
	v_add_co_u32_e32 v22, vcc, s12, v22
	v_addc_co_u32_e32 v23, vcc, v40, v23, vcc
	v_add_co_u32_e32 v22, vcc, 32, v22
	s_mov_b32 s8, 0
	v_addc_co_u32_e32 v23, vcc, 0, v23, vcc
	s_mov_b64 s[6:7], 0
	s_waitcnt lgkmcnt(0)
	v_mov_b32_e32 v44, s11
	s_brev_b32 s9, 1
	s_movk_i32 s17, 0x800
.LBB140_19:                             ; =>This Inner Loop Header: Depth=1
	global_load_dword v40, v[22:23], off offset:-32
	s_waitcnt vmcnt(0)
	v_subrev_u32_e32 v40, s16, v40
	v_lshlrev_b32_e32 v57, 2, v40
	v_ashrrev_i32_e32 v58, 31, v57
	v_lshlrev_b64 v[57:58], 4, v[57:58]
	global_load_dwordx4 v[40:43], v[19:20], off offset:48
	global_load_dwordx4 v[45:48], v[19:20], off offset:32
	;; [unrolled: 1-line block ×3, first 2 shown]
	global_load_dwordx4 v[53:56], v[19:20], off
	v_add_co_u32_e32 v73, vcc, s10, v57
	v_addc_co_u32_e32 v74, vcc, v44, v58, vcc
	global_load_dwordx4 v[57:60], v[73:74], off offset:48
	global_load_dwordx4 v[61:64], v[73:74], off offset:32
	;; [unrolled: 1-line block ×3, first 2 shown]
	global_load_dwordx4 v[69:72], v[73:74], off
	s_waitcnt vmcnt(0)
	v_fma_f64 v[24:25], v[69:70], 0, v[24:25]
	v_fma_f64 v[30:31], v[53:54], v[69:70], v[30:31]
	;; [unrolled: 1-line block ×34, first 2 shown]
	global_load_dwordx4 v[24:27], v[19:20], off offset:112
	global_load_dwordx4 v[28:31], v[19:20], off offset:96
	;; [unrolled: 1-line block ×4, first 2 shown]
	s_waitcnt vmcnt(2)
	v_fma_f64 v[32:33], v[28:29], v[69:70], v[32:33]
	v_fma_f64 v[28:29], v[28:29], v[71:72], v[34:35]
	s_waitcnt vmcnt(0)
	v_fma_f64 v[38:39], v[45:46], v[69:70], v[38:39]
	v_fma_f64 v[36:37], v[45:46], v[71:72], v[36:37]
	;; [unrolled: 1-line block ×25, first 2 shown]
	global_load_dword v24, v[22:23], off offset:-16
	v_fma_f64 v[83:84], v[42:43], v[59:60], v[36:37]
	v_fma_f64 v[61:62], v[59:60], s[8:9], v[28:29]
	;; [unrolled: 1-line block ×3, first 2 shown]
	s_waitcnt vmcnt(0)
	v_subrev_u32_e32 v24, s16, v24
	v_lshlrev_b32_e32 v40, 2, v24
	v_ashrrev_i32_e32 v41, 31, v40
	v_lshlrev_b64 v[40:41], 4, v[40:41]
	global_load_dwordx4 v[24:27], v[19:20], off offset:560
	global_load_dwordx4 v[28:31], v[19:20], off offset:544
	;; [unrolled: 1-line block ×4, first 2 shown]
	v_add_co_u32_e32 v59, vcc, s10, v40
	v_addc_co_u32_e32 v60, vcc, v44, v41, vcc
	global_load_dwordx4 v[40:43], v[59:60], off offset:48
	global_load_dwordx4 v[45:48], v[59:60], off offset:32
	;; [unrolled: 1-line block ×3, first 2 shown]
	global_load_dwordx4 v[53:56], v[59:60], off
	s_waitcnt vmcnt(0)
	v_fma_f64 v[63:64], v[53:54], 0, v[75:76]
	v_fma_f64 v[59:60], v[36:37], v[53:54], v[73:74]
	;; [unrolled: 1-line block ×33, first 2 shown]
	global_load_dwordx4 v[24:27], v[19:20], off offset:624
	global_load_dwordx4 v[28:31], v[19:20], off offset:608
	;; [unrolled: 1-line block ×4, first 2 shown]
	s_waitcnt vmcnt(0)
	v_fma_f64 v[69:70], v[36:37], v[53:54], v[81:82]
	v_fma_f64 v[36:37], v[36:37], v[55:56], v[71:72]
	;; [unrolled: 1-line block ×30, first 2 shown]
	global_load_dword v24, v[22:23], off
	v_fma_f64 v[73:74], v[42:43], s[8:9], v[28:29]
	s_waitcnt vmcnt(0)
	v_subrev_u32_e32 v24, s16, v24
	v_lshlrev_b32_e32 v40, 2, v24
	v_ashrrev_i32_e32 v41, 31, v40
	v_lshlrev_b64 v[40:41], 4, v[40:41]
	global_load_dwordx4 v[28:31], v[19:20], off offset:1072
	global_load_dwordx4 v[32:35], v[19:20], off offset:1056
	;; [unrolled: 1-line block ×4, first 2 shown]
	v_add_co_u32_e32 v57, vcc, s10, v40
	v_addc_co_u32_e32 v58, vcc, v44, v41, vcc
	global_load_dwordx4 v[45:48], v[57:58], off offset:48
	global_load_dwordx4 v[40:43], v[57:58], off offset:32
	;; [unrolled: 1-line block ×3, first 2 shown]
	global_load_dwordx4 v[53:56], v[57:58], off
	s_waitcnt vmcnt(0)
	v_fma_f64 v[57:58], v[36:37], v[53:54], v[59:60]
	v_fma_f64 v[59:60], v[53:54], 0, v[63:64]
	;; [unrolled: 1-line block ×32, first 2 shown]
	global_load_dwordx4 v[57:60], v[19:20], off offset:1136
	global_load_dwordx4 v[61:64], v[19:20], off offset:1120
	global_load_dwordx4 v[32:35], v[19:20], off offset:1104
	global_load_dwordx4 v[65:68], v[19:20], off offset:1088
	v_fma_f64 v[28:29], v[47:48], s[8:9], v[28:29]
	s_waitcnt vmcnt(0)
	v_fma_f64 v[30:31], v[65:66], v[53:54], v[69:70]
	v_fma_f64 v[38:39], v[65:66], v[55:56], v[38:39]
	;; [unrolled: 1-line block ×31, first 2 shown]
	global_load_dword v30, v[22:23], off offset:16
	global_load_dwordx4 v[45:48], v[19:20], off offset:1584
	global_load_dwordx4 v[49:52], v[19:20], off offset:1568
	;; [unrolled: 1-line block ×4, first 2 shown]
	s_waitcnt vmcnt(4)
	v_subrev_u32_e32 v30, s16, v30
	v_lshlrev_b32_e32 v30, 2, v30
	v_ashrrev_i32_e32 v31, 31, v30
	v_lshlrev_b64 v[30:31], 4, v[30:31]
	v_add_co_u32_e32 v30, vcc, s10, v30
	v_addc_co_u32_e32 v31, vcc, v44, v31, vcc
	global_load_dwordx4 v[61:64], v[30:31], off offset:48
	global_load_dwordx4 v[65:68], v[30:31], off offset:32
	;; [unrolled: 1-line block ×3, first 2 shown]
	global_load_dwordx4 v[73:76], v[30:31], off
	s_waitcnt vmcnt(0)
	v_fma_f64 v[24:25], v[57:58], v[73:74], v[24:25]
	v_fma_f64 v[26:27], v[73:74], 0, v[26:27]
	;; [unrolled: 1-line block ×33, first 2 shown]
	global_load_dwordx4 v[45:48], v[19:20], off offset:1648
	global_load_dwordx4 v[49:52], v[19:20], off offset:1632
	;; [unrolled: 1-line block ×4, first 2 shown]
	v_add_co_u32_e32 v19, vcc, s17, v19
	v_addc_co_u32_e32 v20, vcc, 0, v20, vcc
	v_add_co_u32_e32 v17, vcc, 16, v17
	v_addc_co_u32_e32 v18, vcc, 0, v18, vcc
	;; [unrolled: 2-line block ×3, first 2 shown]
	v_cmp_ge_i64_e32 vcc, v[17:18], v[11:12]
	s_or_b64 s[6:7], vcc, s[6:7]
	s_waitcnt vmcnt(0)
	v_fma_f64 v[32:33], v[36:37], v[73:74], v[32:33]
	v_fma_f64 v[34:35], v[36:37], v[75:76], v[34:35]
	v_fma_f64 v[32:33], v[75:76], s[8:9], v[32:33]
	v_fma_f64 v[34:35], v[69:70], 0, v[34:35]
	v_fma_f64 v[32:33], v[38:39], v[69:70], v[32:33]
	v_fma_f64 v[34:35], v[38:39], v[71:72], v[34:35]
	v_fma_f64 v[32:33], v[71:72], s[8:9], v[32:33]
	v_fma_f64 v[34:35], v[65:66], 0, v[34:35]
	v_fma_f64 v[32:33], v[53:54], v[65:66], v[32:33]
	v_fma_f64 v[34:35], v[53:54], v[67:68], v[34:35]
	v_fma_f64 v[32:33], v[67:68], s[8:9], v[32:33]
	v_fma_f64 v[32:33], v[55:56], v[61:62], v[32:33]
	v_fma_f64 v[38:39], v[63:64], s[8:9], v[32:33]
	v_fma_f64 v[32:33], v[61:62], 0, v[34:35]
	v_fma_f64 v[34:35], v[73:74], 0, v[42:43]
	v_fma_f64 v[36:37], v[55:56], v[63:64], v[32:33]
	v_fma_f64 v[32:33], v[49:50], v[73:74], v[40:41]
	v_fma_f64 v[34:35], v[49:50], v[75:76], v[34:35]
	v_fma_f64 v[32:33], v[75:76], s[8:9], v[32:33]
	v_fma_f64 v[34:35], v[69:70], 0, v[34:35]
	v_fma_f64 v[32:33], v[51:52], v[69:70], v[32:33]
	v_fma_f64 v[34:35], v[51:52], v[71:72], v[34:35]
	v_fma_f64 v[32:33], v[71:72], s[8:9], v[32:33]
	v_fma_f64 v[34:35], v[65:66], 0, v[34:35]
	v_fma_f64 v[32:33], v[45:46], v[65:66], v[32:33]
	v_fma_f64 v[34:35], v[45:46], v[67:68], v[34:35]
	v_fma_f64 v[32:33], v[67:68], s[8:9], v[32:33]
	v_fma_f64 v[34:35], v[61:62], 0, v[34:35]
	v_fma_f64 v[32:33], v[47:48], v[61:62], v[32:33]
	v_fma_f64 v[34:35], v[47:48], v[63:64], v[34:35]
	v_fma_f64 v[32:33], v[63:64], s[8:9], v[32:33]
	s_andn2_b64 exec, exec, s[6:7]
	s_cbranch_execnz .LBB140_19
; %bb.20:
	s_or_b64 exec, exec, s[6:7]
.LBB140_21:
	s_or_b64 exec, exec, s[2:3]
.LBB140_22:
	s_or_b64 exec, exec, s[14:15]
	s_cbranch_execz .LBB140_24
	s_branch .LBB140_35
.LBB140_23:
                                        ; implicit-def: $vgpr24_vgpr25
                                        ; implicit-def: $vgpr30_vgpr31
                                        ; implicit-def: $vgpr26_vgpr27
                                        ; implicit-def: $vgpr28_vgpr29
                                        ; implicit-def: $vgpr36_vgpr37
                                        ; implicit-def: $vgpr38_vgpr39
                                        ; implicit-def: $vgpr34_vgpr35
                                        ; implicit-def: $vgpr32_vgpr33
.LBB140_24:
	v_mov_b32_e32 v24, 0
	v_mov_b32_e32 v30, 0
	;; [unrolled: 1-line block ×16, first 2 shown]
	s_and_saveexec_b64 s[2:3], s[0:1]
	s_cbranch_execz .LBB140_34
; %bb.25:
	v_or_b32_e32 v17, 4, v0
	v_subrev_co_u32_e32 v17, vcc, s16, v17
	v_subb_co_u32_e64 v18, s[0:1], 0, 0, vcc
	v_add_co_u32_e32 v17, vcc, v17, v15
	v_addc_co_u32_e32 v18, vcc, v18, v16, vcc
	v_cmp_gt_i64_e32 vcc, v[17:18], v[11:12]
	v_not_b32_e32 v15, v15
	v_cndmask_b32_e32 v18, v12, v18, vcc
	v_cndmask_b32_e32 v17, v11, v17, vcc
	v_sub_co_u32_e32 v19, vcc, s16, v0
	v_not_b32_e32 v16, v16
	v_subb_co_u32_e64 v20, s[0:1], 0, 0, vcc
	v_add_co_u32_e32 v15, vcc, v19, v15
	v_addc_co_u32_e32 v16, vcc, v20, v16, vcc
	v_add_co_u32_e32 v15, vcc, v15, v17
	v_addc_co_u32_e32 v16, vcc, v16, v18, vcc
	v_and_b32_e32 v17, 12, v15
	v_mov_b32_e32 v18, 0
	v_cmp_ne_u64_e32 vcc, 12, v[17:18]
	v_mov_b32_e32 v32, 0
	v_mov_b32_e32 v34, 0
	;; [unrolled: 1-line block ×16, first 2 shown]
	s_and_saveexec_b64 s[0:1], vcc
	s_cbranch_execz .LBB140_29
; %bb.26:
	v_lshrrev_b32_e32 v17, 2, v15
	v_add_u32_e32 v17, 1, v17
	v_and_b32_e32 v19, 3, v17
	v_lshlrev_b64 v[17:18], 2, v[9:10]
	v_mov_b32_e32 v20, s13
	v_add_co_u32_e32 v17, vcc, s12, v17
	v_addc_co_u32_e32 v18, vcc, v20, v18, vcc
	v_sub_co_u32_e32 v19, vcc, 0, v19
	v_subb_co_u32_e64 v20, s[8:9], 0, 0, vcc
	v_mov_b32_e32 v24, 0
	s_mov_b32 s8, 0
	v_mov_b32_e32 v30, 0
	v_mov_b32_e32 v26, 0
	;; [unrolled: 1-line block ×7, first 2 shown]
	s_mov_b64 s[6:7], 0
	v_mov_b32_e32 v25, 0
	s_brev_b32 s9, 1
	s_movk_i32 s14, 0x200
	v_mov_b32_e32 v31, 0
	v_mov_b32_e32 v27, 0
	;; [unrolled: 1-line block ×7, first 2 shown]
	s_waitcnt lgkmcnt(0)
	v_mov_b32_e32 v22, s11
.LBB140_27:                             ; =>This Inner Loop Header: Depth=1
	global_load_dword v23, v[17:18], off
	global_load_dwordx4 v[40:43], v[13:14], off offset:48
	global_load_dwordx4 v[44:47], v[13:14], off offset:32
	;; [unrolled: 1-line block ×3, first 2 shown]
	global_load_dwordx4 v[52:55], v[13:14], off
	s_waitcnt vmcnt(4)
	v_subrev_u32_e32 v23, s16, v23
	v_lshlrev_b32_e32 v56, 2, v23
	v_ashrrev_i32_e32 v57, 31, v56
	v_lshlrev_b64 v[56:57], 4, v[56:57]
	v_add_co_u32_e32 v72, vcc, s10, v56
	v_addc_co_u32_e32 v73, vcc, v22, v57, vcc
	global_load_dwordx4 v[56:59], v[72:73], off offset:48
	global_load_dwordx4 v[60:63], v[72:73], off offset:32
	;; [unrolled: 1-line block ×3, first 2 shown]
	global_load_dwordx4 v[68:71], v[72:73], off
	s_waitcnt vmcnt(0)
	v_fma_f64 v[23:24], v[68:69], 0, v[24:25]
	v_fma_f64 v[30:31], v[52:53], v[68:69], v[30:31]
	;; [unrolled: 1-line block ×35, first 2 shown]
	global_load_dwordx4 v[32:35], v[13:14], off offset:112
	global_load_dwordx4 v[24:27], v[13:14], off offset:96
	;; [unrolled: 1-line block ×4, first 2 shown]
	v_add_co_u32_e32 v13, vcc, s14, v13
	v_addc_co_u32_e32 v14, vcc, 0, v14, vcc
	v_add_co_u32_e32 v9, vcc, 4, v9
	v_addc_co_u32_e32 v10, vcc, 0, v10, vcc
	;; [unrolled: 2-line block ×4, first 2 shown]
	v_cmp_eq_u64_e32 vcc, 0, v[19:20]
	s_or_b64 s[6:7], vcc, s[6:7]
	s_waitcnt vmcnt(1)
	v_fma_f64 v[40:41], v[28:29], v[62:63], v[40:41]
	s_waitcnt vmcnt(0)
	v_fma_f64 v[48:49], v[36:37], v[60:61], v[48:49]
	v_fma_f64 v[36:37], v[36:37], v[62:63], v[44:45]
	;; [unrolled: 1-line block ×28, first 2 shown]
	s_andn2_b64 exec, exec, s[6:7]
	s_cbranch_execnz .LBB140_27
; %bb.28:
	s_or_b64 exec, exec, s[6:7]
.LBB140_29:
	s_or_b64 exec, exec, s[0:1]
	v_cmp_lt_u64_e32 vcc, 11, v[15:16]
	s_and_saveexec_b64 s[0:1], vcc
	s_cbranch_execz .LBB140_33
; %bb.30:
	v_lshlrev_b64 v[15:16], 2, v[9:10]
	v_mov_b32_e32 v17, s13
	v_add_co_u32_e32 v15, vcc, s12, v15
	v_addc_co_u32_e32 v16, vcc, v17, v16, vcc
	v_add_co_u32_e32 v15, vcc, 32, v15
	s_mov_b32 s8, 0
	v_addc_co_u32_e32 v16, vcc, 0, v16, vcc
	s_mov_b64 s[6:7], 0
	s_waitcnt lgkmcnt(0)
	v_mov_b32_e32 v40, s11
	s_brev_b32 s9, 1
	s_movk_i32 s11, 0x800
.LBB140_31:                             ; =>This Inner Loop Header: Depth=1
	global_load_dword v17, v[15:16], off offset:-32
	s_waitcnt vmcnt(0)
	v_subrev_u32_e32 v17, s16, v17
	v_lshlrev_b32_e32 v22, 2, v17
	v_ashrrev_i32_e32 v23, 31, v22
	v_lshlrev_b64 v[22:23], 4, v[22:23]
	global_load_dwordx4 v[17:20], v[13:14], off offset:48
	global_load_dwordx4 v[41:44], v[13:14], off offset:32
	;; [unrolled: 1-line block ×3, first 2 shown]
	global_load_dwordx4 v[49:52], v[13:14], off
	v_add_co_u32_e32 v22, vcc, s10, v22
	v_addc_co_u32_e32 v23, vcc, v40, v23, vcc
	global_load_dwordx4 v[53:56], v[22:23], off offset:48
	global_load_dwordx4 v[57:60], v[22:23], off offset:32
	;; [unrolled: 1-line block ×3, first 2 shown]
	global_load_dwordx4 v[65:68], v[22:23], off
	s_waitcnt vmcnt(0)
	v_fma_f64 v[22:23], v[49:50], v[65:66], v[30:31]
	v_fma_f64 v[24:25], v[65:66], 0, v[24:25]
	;; [unrolled: 1-line block ×35, first 2 shown]
	global_load_dwordx4 v[17:20], v[13:14], off offset:112
	global_load_dwordx4 v[22:25], v[13:14], off offset:96
	;; [unrolled: 1-line block ×4, first 2 shown]
	v_fma_f64 v[34:35], v[57:58], 0, v[34:35]
	s_waitcnt vmcnt(0)
	v_fma_f64 v[38:39], v[30:31], v[57:58], v[38:39]
	v_fma_f64 v[30:31], v[30:31], v[59:60], v[41:42]
	;; [unrolled: 1-line block ×28, first 2 shown]
	global_load_dword v17, v[15:16], off offset:-16
	s_waitcnt vmcnt(0)
	v_subrev_u32_e32 v17, s16, v17
	v_lshlrev_b32_e32 v34, 2, v17
	v_ashrrev_i32_e32 v35, 31, v34
	v_lshlrev_b64 v[34:35], 4, v[34:35]
	global_load_dwordx4 v[17:20], v[13:14], off offset:560
	global_load_dwordx4 v[22:25], v[13:14], off offset:544
	;; [unrolled: 1-line block ×4, first 2 shown]
	v_add_co_u32_e32 v55, vcc, s10, v34
	v_addc_co_u32_e32 v56, vcc, v40, v35, vcc
	global_load_dwordx4 v[34:37], v[55:56], off offset:48
	global_load_dwordx4 v[41:44], v[55:56], off offset:32
	;; [unrolled: 1-line block ×3, first 2 shown]
	global_load_dwordx4 v[49:52], v[55:56], off
	s_waitcnt vmcnt(0)
	v_fma_f64 v[55:56], v[49:50], 0, v[57:58]
	v_fma_f64 v[38:39], v[30:31], v[49:50], v[38:39]
	;; [unrolled: 1-line block ×32, first 2 shown]
	global_load_dwordx4 v[17:20], v[13:14], off offset:624
	global_load_dwordx4 v[22:25], v[13:14], off offset:608
	;; [unrolled: 1-line block ×4, first 2 shown]
	v_fma_f64 v[47:48], v[41:42], 0, v[49:50]
	v_fma_f64 v[49:50], v[41:42], 0, v[53:54]
	s_waitcnt vmcnt(0)
	v_fma_f64 v[38:39], v[30:31], v[41:42], v[38:39]
	v_fma_f64 v[30:31], v[30:31], v[43:44], v[47:48]
	v_fma_f64 v[47:48], v[32:33], v[41:42], v[51:52]
	v_fma_f64 v[32:33], v[32:33], v[43:44], v[49:50]
	v_fma_f64 v[49:50], v[26:27], v[41:42], v[55:56]
	v_fma_f64 v[51:52], v[41:42], 0, v[57:58]
	v_fma_f64 v[38:39], v[43:44], s[8:9], v[38:39]
	v_fma_f64 v[30:31], v[34:35], 0, v[30:31]
	v_fma_f64 v[47:48], v[43:44], s[8:9], v[47:48]
	v_fma_f64 v[49:50], v[43:44], s[8:9], v[49:50]
	v_fma_f64 v[26:27], v[26:27], v[43:44], v[51:52]
	v_fma_f64 v[51:52], v[28:29], v[41:42], v[59:60]
	v_fma_f64 v[41:42], v[41:42], 0, v[45:46]
	v_fma_f64 v[38:39], v[22:23], v[34:35], v[38:39]
	v_fma_f64 v[53:54], v[22:23], v[36:37], v[30:31]
	v_fma_f64 v[22:23], v[24:25], v[34:35], v[47:48]
	v_fma_f64 v[51:52], v[43:44], s[8:9], v[51:52]
	v_fma_f64 v[28:29], v[28:29], v[43:44], v[41:42]
	v_fma_f64 v[38:39], v[36:37], s[8:9], v[38:39]
	v_fma_f64 v[55:56], v[36:37], s[8:9], v[22:23]
	v_fma_f64 v[22:23], v[34:35], 0, v[32:33]
	v_fma_f64 v[57:58], v[24:25], v[36:37], v[22:23]
	v_fma_f64 v[22:23], v[17:18], v[34:35], v[49:50]
	v_fma_f64 v[59:60], v[36:37], s[8:9], v[22:23]
	v_fma_f64 v[22:23], v[34:35], 0, v[26:27]
	v_fma_f64 v[61:62], v[17:18], v[36:37], v[22:23]
	v_fma_f64 v[17:18], v[19:20], v[34:35], v[51:52]
	v_fma_f64 v[63:64], v[36:37], s[8:9], v[17:18]
	v_fma_f64 v[17:18], v[34:35], 0, v[28:29]
	v_fma_f64 v[65:66], v[19:20], v[36:37], v[17:18]
	global_load_dword v17, v[15:16], off
	s_waitcnt vmcnt(0)
	v_subrev_u32_e32 v17, s16, v17
	v_lshlrev_b32_e32 v34, 2, v17
	v_ashrrev_i32_e32 v35, 31, v34
	v_lshlrev_b64 v[34:35], 4, v[34:35]
	global_load_dwordx4 v[17:20], v[13:14], off offset:1072
	global_load_dwordx4 v[22:25], v[13:14], off offset:1056
	;; [unrolled: 1-line block ×4, first 2 shown]
	v_add_co_u32_e32 v67, vcc, s10, v34
	v_addc_co_u32_e32 v68, vcc, v40, v35, vcc
	global_load_dwordx4 v[34:37], v[67:68], off offset:48
	global_load_dwordx4 v[41:44], v[67:68], off offset:32
	;; [unrolled: 1-line block ×3, first 2 shown]
	global_load_dwordx4 v[49:52], v[67:68], off
	s_waitcnt vmcnt(0)
	v_fma_f64 v[53:54], v[49:50], 0, v[53:54]
	v_fma_f64 v[38:39], v[30:31], v[49:50], v[38:39]
	;; [unrolled: 1-line block ×32, first 2 shown]
	global_load_dwordx4 v[30:33], v[13:14], off offset:1136
	global_load_dwordx4 v[22:25], v[13:14], off offset:1120
	;; [unrolled: 1-line block ×4, first 2 shown]
	v_fma_f64 v[47:48], v[41:42], 0, v[49:50]
	v_fma_f64 v[49:50], v[41:42], 0, v[53:54]
	s_waitcnt vmcnt(0)
	v_fma_f64 v[38:39], v[26:27], v[41:42], v[38:39]
	v_fma_f64 v[26:27], v[26:27], v[43:44], v[47:48]
	;; [unrolled: 1-line block ×30, first 2 shown]
	global_load_dword v34, v[15:16], off offset:16
	s_waitcnt vmcnt(0)
	v_subrev_u32_e32 v34, s16, v34
	v_lshlrev_b32_e32 v38, 2, v34
	v_ashrrev_i32_e32 v39, 31, v38
	v_lshlrev_b64 v[38:39], 4, v[38:39]
	global_load_dwordx4 v[34:37], v[13:14], off offset:1584
	global_load_dwordx4 v[41:44], v[13:14], off offset:1568
	;; [unrolled: 1-line block ×4, first 2 shown]
	v_add_co_u32_e32 v38, vcc, s10, v38
	v_addc_co_u32_e32 v39, vcc, v40, v39, vcc
	global_load_dwordx4 v[53:56], v[38:39], off offset:48
	global_load_dwordx4 v[57:60], v[38:39], off offset:32
	;; [unrolled: 1-line block ×3, first 2 shown]
	global_load_dwordx4 v[65:68], v[38:39], off
	s_waitcnt vmcnt(0)
	v_fma_f64 v[17:18], v[49:50], v[65:66], v[17:18]
	v_fma_f64 v[19:20], v[65:66], 0, v[19:20]
	;; [unrolled: 1-line block ×33, first 2 shown]
	global_load_dwordx4 v[17:20], v[13:14], off offset:1648
	global_load_dwordx4 v[24:27], v[13:14], off offset:1632
	;; [unrolled: 1-line block ×4, first 2 shown]
	v_add_co_u32_e32 v13, vcc, s11, v13
	v_addc_co_u32_e32 v14, vcc, 0, v14, vcc
	v_add_co_u32_e32 v9, vcc, 16, v9
	v_addc_co_u32_e32 v10, vcc, 0, v10, vcc
	;; [unrolled: 2-line block ×3, first 2 shown]
	v_cmp_ge_i64_e32 vcc, v[9:10], v[11:12]
	s_or_b64 s[6:7], vcc, s[6:7]
	s_waitcnt vmcnt(0)
	v_fma_f64 v[38:39], v[32:33], v[57:58], v[38:39]
	v_fma_f64 v[32:33], v[32:33], v[59:60], v[41:42]
	;; [unrolled: 1-line block ×31, first 2 shown]
	s_andn2_b64 exec, exec, s[6:7]
	s_cbranch_execnz .LBB140_31
; %bb.32:
	s_or_b64 exec, exec, s[6:7]
.LBB140_33:
	s_or_b64 exec, exec, s[0:1]
.LBB140_34:
	s_or_b64 exec, exec, s[2:3]
.LBB140_35:
	v_mov_b32_dpp v9, v30 row_shr:1 row_mask:0xf bank_mask:0xf
	v_mov_b32_dpp v10, v31 row_shr:1 row_mask:0xf bank_mask:0xf
	v_add_f64 v[9:10], v[30:31], v[9:10]
	v_mov_b32_dpp v11, v24 row_shr:1 row_mask:0xf bank_mask:0xf
	v_mov_b32_dpp v12, v25 row_shr:1 row_mask:0xf bank_mask:0xf
	;; [unrolled: 1-line block ×6, first 2 shown]
	v_add_f64 v[11:12], v[24:25], v[11:12]
	v_add_f64 v[13:14], v[28:29], v[13:14]
	v_mov_b32_dpp v15, v26 row_shr:1 row_mask:0xf bank_mask:0xf
	v_mov_b32_dpp v16, v27 row_shr:1 row_mask:0xf bank_mask:0xf
	;; [unrolled: 1-line block ×6, first 2 shown]
	v_add_f64 v[30:31], v[32:33], v[30:31]
	v_mov_b32_dpp v32, v34 row_shr:1 row_mask:0xf bank_mask:0xf
	v_mov_b32_dpp v33, v35 row_shr:1 row_mask:0xf bank_mask:0xf
	v_add_f64 v[15:16], v[26:27], v[15:16]
	v_add_f64 v[24:25], v[38:39], v[24:25]
	;; [unrolled: 1-line block ×4, first 2 shown]
	v_mov_b32_dpp v26, v9 row_shr:2 row_mask:0xf bank_mask:0xf
	v_mov_b32_dpp v27, v10 row_shr:2 row_mask:0xf bank_mask:0xf
	;; [unrolled: 1-line block ×16, first 2 shown]
	v_cmp_eq_u32_e32 vcc, 3, v0
	s_and_b64 exec, exec, vcc
	s_cbranch_execz .LBB140_8
; %bb.36:
	v_add_f64 v[11:12], v[11:12], v[22:23]
	v_add_f64 v[22:23], v[13:14], v[19:20]
	;; [unrolled: 1-line block ×8, first 2 shown]
	v_mul_f64 v[19:20], v[11:12], -v[7:8]
	v_mul_f64 v[11:12], v[5:6], v[11:12]
	v_mul_f64 v[28:29], v[13:14], -v[7:8]
	v_mul_f64 v[30:31], v[5:6], v[13:14]
	;; [unrolled: 2-line block ×4, first 2 shown]
	v_cmp_eq_f64_e32 vcc, 0, v[1:2]
	v_cmp_eq_f64_e64 s[0:1], 0, v[3:4]
	v_fma_f64 v[17:18], v[5:6], v[9:10], v[19:20]
	v_fma_f64 v[19:20], v[7:8], v[9:10], v[11:12]
	;; [unrolled: 1-line block ×8, first 2 shown]
	s_load_dwordx2 s[2:3], s[4:5], 0x60
	s_and_b64 s[0:1], vcc, s[0:1]
	v_lshlrev_b32_e32 v21, 2, v21
	s_and_saveexec_b64 s[4:5], s[0:1]
	s_xor_b64 s[0:1], exec, s[4:5]
	s_cbranch_execz .LBB140_38
; %bb.37:
	v_ashrrev_i32_e32 v22, 31, v21
	v_lshlrev_b64 v[0:1], 4, v[21:22]
	s_waitcnt lgkmcnt(0)
	v_mov_b32_e32 v2, s3
	v_add_co_u32_e32 v0, vcc, s2, v0
	v_addc_co_u32_e32 v1, vcc, v2, v1, vcc
	global_store_dwordx4 v[0:1], v[17:20], off
	global_store_dwordx4 v[0:1], v[13:16], off offset:16
	global_store_dwordx4 v[0:1], v[9:12], off offset:32
	;; [unrolled: 1-line block ×3, first 2 shown]
                                        ; implicit-def: $vgpr3_vgpr4
                                        ; implicit-def: $vgpr17_vgpr18
                                        ; implicit-def: $vgpr21
                                        ; implicit-def: $vgpr13_vgpr14
                                        ; implicit-def: $vgpr9_vgpr10
                                        ; implicit-def: $vgpr5_vgpr6
.LBB140_38:
	s_andn2_saveexec_b64 s[0:1], s[0:1]
	s_cbranch_execz .LBB140_8
; %bb.39:
	v_ashrrev_i32_e32 v22, 31, v21
	v_lshlrev_b64 v[21:22], 4, v[21:22]
	s_waitcnt lgkmcnt(0)
	v_mov_b32_e32 v0, s3
	v_add_co_u32_e32 v37, vcc, s2, v21
	v_addc_co_u32_e32 v38, vcc, v0, v22, vcc
	global_load_dwordx4 v[21:24], v[37:38], off
	global_load_dwordx4 v[25:28], v[37:38], off offset:16
	global_load_dwordx4 v[29:32], v[37:38], off offset:32
	;; [unrolled: 1-line block ×3, first 2 shown]
	s_waitcnt vmcnt(3)
	v_fma_f64 v[17:18], v[1:2], v[21:22], v[17:18]
	v_fma_f64 v[19:20], v[3:4], v[21:22], v[19:20]
	s_waitcnt vmcnt(2)
	v_fma_f64 v[13:14], v[1:2], v[25:26], v[13:14]
	v_fma_f64 v[15:16], v[3:4], v[25:26], v[15:16]
	s_waitcnt vmcnt(1)
	v_fma_f64 v[21:22], v[1:2], v[29:30], v[9:10]
	v_fma_f64 v[25:26], v[3:4], v[29:30], v[11:12]
	s_waitcnt vmcnt(0)
	v_fma_f64 v[29:30], v[1:2], v[33:34], v[5:6]
	v_fma_f64 v[33:34], v[3:4], v[33:34], v[7:8]
	v_fma_f64 v[5:6], -v[3:4], v[23:24], v[17:18]
	v_fma_f64 v[7:8], v[1:2], v[23:24], v[19:20]
	v_fma_f64 v[9:10], -v[3:4], v[27:28], v[13:14]
	v_fma_f64 v[11:12], v[1:2], v[27:28], v[15:16]
	;; [unrolled: 2-line block ×4, first 2 shown]
	global_store_dwordx4 v[37:38], v[5:8], off
	global_store_dwordx4 v[37:38], v[9:12], off offset:16
	global_store_dwordx4 v[37:38], v[13:16], off offset:32
	;; [unrolled: 1-line block ×3, first 2 shown]
	s_endpgm
	.section	.rodata,"a",@progbits
	.p2align	6, 0x0
	.amdhsa_kernel _ZN9rocsparseL18bsrxmvn_4x4_kernelILj128ELj4E21rocsparse_complex_numIdElidS2_S2_EEvT3_20rocsparse_direction_NS_24const_host_device_scalarIT1_EES3_PKS3_PKT2_SC_S9_PKT4_PKT5_S7_PT6_21rocsparse_index_base_b
		.amdhsa_group_segment_fixed_size 0
		.amdhsa_private_segment_fixed_size 0
		.amdhsa_kernarg_size 112
		.amdhsa_user_sgpr_count 6
		.amdhsa_user_sgpr_private_segment_buffer 1
		.amdhsa_user_sgpr_dispatch_ptr 0
		.amdhsa_user_sgpr_queue_ptr 0
		.amdhsa_user_sgpr_kernarg_segment_ptr 1
		.amdhsa_user_sgpr_dispatch_id 0
		.amdhsa_user_sgpr_flat_scratch_init 0
		.amdhsa_user_sgpr_private_segment_size 0
		.amdhsa_uses_dynamic_stack 0
		.amdhsa_system_sgpr_private_segment_wavefront_offset 0
		.amdhsa_system_sgpr_workgroup_id_x 1
		.amdhsa_system_sgpr_workgroup_id_y 0
		.amdhsa_system_sgpr_workgroup_id_z 0
		.amdhsa_system_sgpr_workgroup_info 0
		.amdhsa_system_vgpr_workitem_id 0
		.amdhsa_next_free_vgpr 85
		.amdhsa_next_free_sgpr 24
		.amdhsa_reserve_vcc 1
		.amdhsa_reserve_flat_scratch 0
		.amdhsa_float_round_mode_32 0
		.amdhsa_float_round_mode_16_64 0
		.amdhsa_float_denorm_mode_32 3
		.amdhsa_float_denorm_mode_16_64 3
		.amdhsa_dx10_clamp 1
		.amdhsa_ieee_mode 1
		.amdhsa_fp16_overflow 0
		.amdhsa_exception_fp_ieee_invalid_op 0
		.amdhsa_exception_fp_denorm_src 0
		.amdhsa_exception_fp_ieee_div_zero 0
		.amdhsa_exception_fp_ieee_overflow 0
		.amdhsa_exception_fp_ieee_underflow 0
		.amdhsa_exception_fp_ieee_inexact 0
		.amdhsa_exception_int_div_zero 0
	.end_amdhsa_kernel
	.section	.text._ZN9rocsparseL18bsrxmvn_4x4_kernelILj128ELj4E21rocsparse_complex_numIdElidS2_S2_EEvT3_20rocsparse_direction_NS_24const_host_device_scalarIT1_EES3_PKS3_PKT2_SC_S9_PKT4_PKT5_S7_PT6_21rocsparse_index_base_b,"axG",@progbits,_ZN9rocsparseL18bsrxmvn_4x4_kernelILj128ELj4E21rocsparse_complex_numIdElidS2_S2_EEvT3_20rocsparse_direction_NS_24const_host_device_scalarIT1_EES3_PKS3_PKT2_SC_S9_PKT4_PKT5_S7_PT6_21rocsparse_index_base_b,comdat
.Lfunc_end140:
	.size	_ZN9rocsparseL18bsrxmvn_4x4_kernelILj128ELj4E21rocsparse_complex_numIdElidS2_S2_EEvT3_20rocsparse_direction_NS_24const_host_device_scalarIT1_EES3_PKS3_PKT2_SC_S9_PKT4_PKT5_S7_PT6_21rocsparse_index_base_b, .Lfunc_end140-_ZN9rocsparseL18bsrxmvn_4x4_kernelILj128ELj4E21rocsparse_complex_numIdElidS2_S2_EEvT3_20rocsparse_direction_NS_24const_host_device_scalarIT1_EES3_PKS3_PKT2_SC_S9_PKT4_PKT5_S7_PT6_21rocsparse_index_base_b
                                        ; -- End function
	.set _ZN9rocsparseL18bsrxmvn_4x4_kernelILj128ELj4E21rocsparse_complex_numIdElidS2_S2_EEvT3_20rocsparse_direction_NS_24const_host_device_scalarIT1_EES3_PKS3_PKT2_SC_S9_PKT4_PKT5_S7_PT6_21rocsparse_index_base_b.num_vgpr, 85
	.set _ZN9rocsparseL18bsrxmvn_4x4_kernelILj128ELj4E21rocsparse_complex_numIdElidS2_S2_EEvT3_20rocsparse_direction_NS_24const_host_device_scalarIT1_EES3_PKS3_PKT2_SC_S9_PKT4_PKT5_S7_PT6_21rocsparse_index_base_b.num_agpr, 0
	.set _ZN9rocsparseL18bsrxmvn_4x4_kernelILj128ELj4E21rocsparse_complex_numIdElidS2_S2_EEvT3_20rocsparse_direction_NS_24const_host_device_scalarIT1_EES3_PKS3_PKT2_SC_S9_PKT4_PKT5_S7_PT6_21rocsparse_index_base_b.numbered_sgpr, 24
	.set _ZN9rocsparseL18bsrxmvn_4x4_kernelILj128ELj4E21rocsparse_complex_numIdElidS2_S2_EEvT3_20rocsparse_direction_NS_24const_host_device_scalarIT1_EES3_PKS3_PKT2_SC_S9_PKT4_PKT5_S7_PT6_21rocsparse_index_base_b.num_named_barrier, 0
	.set _ZN9rocsparseL18bsrxmvn_4x4_kernelILj128ELj4E21rocsparse_complex_numIdElidS2_S2_EEvT3_20rocsparse_direction_NS_24const_host_device_scalarIT1_EES3_PKS3_PKT2_SC_S9_PKT4_PKT5_S7_PT6_21rocsparse_index_base_b.private_seg_size, 0
	.set _ZN9rocsparseL18bsrxmvn_4x4_kernelILj128ELj4E21rocsparse_complex_numIdElidS2_S2_EEvT3_20rocsparse_direction_NS_24const_host_device_scalarIT1_EES3_PKS3_PKT2_SC_S9_PKT4_PKT5_S7_PT6_21rocsparse_index_base_b.uses_vcc, 1
	.set _ZN9rocsparseL18bsrxmvn_4x4_kernelILj128ELj4E21rocsparse_complex_numIdElidS2_S2_EEvT3_20rocsparse_direction_NS_24const_host_device_scalarIT1_EES3_PKS3_PKT2_SC_S9_PKT4_PKT5_S7_PT6_21rocsparse_index_base_b.uses_flat_scratch, 0
	.set _ZN9rocsparseL18bsrxmvn_4x4_kernelILj128ELj4E21rocsparse_complex_numIdElidS2_S2_EEvT3_20rocsparse_direction_NS_24const_host_device_scalarIT1_EES3_PKS3_PKT2_SC_S9_PKT4_PKT5_S7_PT6_21rocsparse_index_base_b.has_dyn_sized_stack, 0
	.set _ZN9rocsparseL18bsrxmvn_4x4_kernelILj128ELj4E21rocsparse_complex_numIdElidS2_S2_EEvT3_20rocsparse_direction_NS_24const_host_device_scalarIT1_EES3_PKS3_PKT2_SC_S9_PKT4_PKT5_S7_PT6_21rocsparse_index_base_b.has_recursion, 0
	.set _ZN9rocsparseL18bsrxmvn_4x4_kernelILj128ELj4E21rocsparse_complex_numIdElidS2_S2_EEvT3_20rocsparse_direction_NS_24const_host_device_scalarIT1_EES3_PKS3_PKT2_SC_S9_PKT4_PKT5_S7_PT6_21rocsparse_index_base_b.has_indirect_call, 0
	.section	.AMDGPU.csdata,"",@progbits
; Kernel info:
; codeLenInByte = 9088
; TotalNumSgprs: 28
; NumVgprs: 85
; ScratchSize: 0
; MemoryBound: 0
; FloatMode: 240
; IeeeMode: 1
; LDSByteSize: 0 bytes/workgroup (compile time only)
; SGPRBlocks: 3
; VGPRBlocks: 21
; NumSGPRsForWavesPerEU: 28
; NumVGPRsForWavesPerEU: 85
; Occupancy: 2
; WaveLimiterHint : 1
; COMPUTE_PGM_RSRC2:SCRATCH_EN: 0
; COMPUTE_PGM_RSRC2:USER_SGPR: 6
; COMPUTE_PGM_RSRC2:TRAP_HANDLER: 0
; COMPUTE_PGM_RSRC2:TGID_X_EN: 1
; COMPUTE_PGM_RSRC2:TGID_Y_EN: 0
; COMPUTE_PGM_RSRC2:TGID_Z_EN: 0
; COMPUTE_PGM_RSRC2:TIDIG_COMP_CNT: 0
	.section	.text._ZN9rocsparseL18bsrxmvn_4x4_kernelILj128ELj8E21rocsparse_complex_numIdElidS2_S2_EEvT3_20rocsparse_direction_NS_24const_host_device_scalarIT1_EES3_PKS3_PKT2_SC_S9_PKT4_PKT5_S7_PT6_21rocsparse_index_base_b,"axG",@progbits,_ZN9rocsparseL18bsrxmvn_4x4_kernelILj128ELj8E21rocsparse_complex_numIdElidS2_S2_EEvT3_20rocsparse_direction_NS_24const_host_device_scalarIT1_EES3_PKS3_PKT2_SC_S9_PKT4_PKT5_S7_PT6_21rocsparse_index_base_b,comdat
	.globl	_ZN9rocsparseL18bsrxmvn_4x4_kernelILj128ELj8E21rocsparse_complex_numIdElidS2_S2_EEvT3_20rocsparse_direction_NS_24const_host_device_scalarIT1_EES3_PKS3_PKT2_SC_S9_PKT4_PKT5_S7_PT6_21rocsparse_index_base_b ; -- Begin function _ZN9rocsparseL18bsrxmvn_4x4_kernelILj128ELj8E21rocsparse_complex_numIdElidS2_S2_EEvT3_20rocsparse_direction_NS_24const_host_device_scalarIT1_EES3_PKS3_PKT2_SC_S9_PKT4_PKT5_S7_PT6_21rocsparse_index_base_b
	.p2align	8
	.type	_ZN9rocsparseL18bsrxmvn_4x4_kernelILj128ELj8E21rocsparse_complex_numIdElidS2_S2_EEvT3_20rocsparse_direction_NS_24const_host_device_scalarIT1_EES3_PKS3_PKT2_SC_S9_PKT4_PKT5_S7_PT6_21rocsparse_index_base_b,@function
_ZN9rocsparseL18bsrxmvn_4x4_kernelILj128ELj8E21rocsparse_complex_numIdElidS2_S2_EEvT3_20rocsparse_direction_NS_24const_host_device_scalarIT1_EES3_PKS3_PKT2_SC_S9_PKT4_PKT5_S7_PT6_21rocsparse_index_base_b: ; @_ZN9rocsparseL18bsrxmvn_4x4_kernelILj128ELj8E21rocsparse_complex_numIdElidS2_S2_EEvT3_20rocsparse_direction_NS_24const_host_device_scalarIT1_EES3_PKS3_PKT2_SC_S9_PKT4_PKT5_S7_PT6_21rocsparse_index_base_b
; %bb.0:
	s_load_dwordx2 s[0:1], s[4:5], 0x8
	s_load_dwordx2 s[16:17], s[4:5], 0x68
	s_add_u32 s7, s4, 8
	s_addc_u32 s8, s5, 0
	s_add_u32 s9, s4, 0x50
	s_addc_u32 s10, s5, 0
	s_waitcnt lgkmcnt(0)
	s_bitcmp1_b32 s17, 0
	s_cselect_b32 s1, s8, s1
	s_cselect_b32 s0, s7, s0
	v_mov_b32_e32 v1, s0
	v_mov_b32_e32 v2, s1
	flat_load_dwordx4 v[5:8], v[1:2]
	s_load_dwordx2 s[2:3], s[4:5], 0x50
	s_waitcnt lgkmcnt(0)
	s_cselect_b32 s0, s10, s3
	s_cselect_b32 s1, s9, s2
	v_mov_b32_e32 v1, s1
	v_mov_b32_e32 v2, s0
	flat_load_dwordx4 v[1:4], v[1:2]
	s_waitcnt vmcnt(0)
	v_cmp_eq_f64_e32 vcc, 0, v[5:6]
	v_cmp_eq_f64_e64 s[0:1], 0, v[7:8]
	s_and_b64 s[8:9], vcc, s[0:1]
	s_mov_b64 s[0:1], -1
	s_and_saveexec_b64 s[2:3], s[8:9]
	s_cbranch_execz .LBB141_2
; %bb.1:
	s_waitcnt lgkmcnt(0)
	v_cmp_neq_f64_e32 vcc, 1.0, v[1:2]
	v_cmp_neq_f64_e64 s[0:1], 0, v[3:4]
	s_or_b64 s[0:1], vcc, s[0:1]
	s_orn2_b64 s[0:1], s[0:1], exec
.LBB141_2:
	s_or_b64 exec, exec, s[2:3]
	s_and_saveexec_b64 s[2:3], s[0:1]
	s_cbranch_execz .LBB141_8
; %bb.3:
	s_load_dwordx2 s[8:9], s[4:5], 0x20
	s_load_dwordx2 s[0:1], s[4:5], 0x0
	v_lshrrev_b32_e32 v9, 3, v0
	v_lshl_or_b32 v21, s6, 4, v9
	s_mov_b64 s[2:3], 0
	s_waitcnt lgkmcnt(0)
	s_cmp_lg_u64 s[8:9], 0
	s_cbranch_scc0 .LBB141_9
; %bb.4:
	s_load_dword s6, s[4:5], 0x18
                                        ; implicit-def: $vgpr9
	s_waitcnt lgkmcnt(0)
	v_cmp_gt_i32_e32 vcc, s6, v21
	s_and_saveexec_b64 s[6:7], vcc
	s_xor_b64 s[6:7], exec, s[6:7]
	s_cbranch_execz .LBB141_6
; %bb.5:
	v_ashrrev_i32_e32 v22, 31, v21
	v_lshlrev_b64 v[9:10], 2, v[21:22]
	v_mov_b32_e32 v11, s9
	v_add_co_u32_e32 v9, vcc, s8, v9
	v_addc_co_u32_e32 v10, vcc, v11, v10, vcc
	global_load_dword v9, v[9:10], off
	s_mov_b64 s[2:3], exec
	s_waitcnt vmcnt(0)
	v_subrev_u32_e32 v9, s16, v9
.LBB141_6:
	s_or_b64 exec, exec, s[6:7]
	s_branch .LBB141_10
.LBB141_7:
	v_cmp_gt_i32_e32 vcc, s0, v21
	s_andn2_b64 s[2:3], s[2:3], exec
	s_and_b64 s[6:7], vcc, exec
	s_or_b64 s[2:3], s[2:3], s[6:7]
	s_and_b64 exec, exec, s[2:3]
	s_cbranch_execnz .LBB141_11
.LBB141_8:
	s_endpgm
.LBB141_9:
                                        ; implicit-def: $vgpr9
	s_cbranch_execnz .LBB141_7
.LBB141_10:
	v_mov_b32_e32 v21, v9
	s_and_b64 exec, exec, s[2:3]
	s_cbranch_execz .LBB141_8
.LBB141_11:
	s_load_dwordx8 s[8:15], s[4:5], 0x28
	v_ashrrev_i32_e32 v22, 31, v21
	v_lshlrev_b64 v[9:10], 3, v[21:22]
	v_and_b32_e32 v0, 7, v0
	s_waitcnt lgkmcnt(0)
	v_mov_b32_e32 v12, s9
	v_add_co_u32_e32 v11, vcc, s8, v9
	v_addc_co_u32_e32 v12, vcc, v12, v10, vcc
	global_load_dwordx2 v[15:16], v[11:12], off
	v_add_co_u32_e32 v11, vcc, 8, v11
	v_addc_co_u32_e32 v12, vcc, 0, v12, vcc
	v_mov_b32_e32 v13, s11
	v_add_co_u32_e32 v9, vcc, s10, v9
	s_cmp_eq_u64 s[10:11], 0
	v_addc_co_u32_e32 v10, vcc, v13, v10, vcc
	s_cselect_b64 vcc, -1, 0
	v_cndmask_b32_e32 v10, v10, v12, vcc
	v_cndmask_b32_e32 v9, v9, v11, vcc
	global_load_dwordx2 v[11:12], v[9:10], off
	s_load_dwordx2 s[10:11], s[4:5], 0x48
	v_mov_b32_e32 v17, s15
	s_cmp_eq_u32 s1, 1
	s_waitcnt vmcnt(1)
	v_subrev_co_u32_e32 v9, vcc, s16, v15
	v_subbrev_co_u32_e32 v10, vcc, 0, v16, vcc
	v_add_co_u32_e32 v9, vcc, v9, v0
	v_addc_co_u32_e32 v10, vcc, 0, v10, vcc
	v_lshlrev_b64 v[13:14], 7, v[9:10]
	s_waitcnt vmcnt(0)
	v_subrev_co_u32_e32 v11, vcc, s16, v11
	v_subbrev_co_u32_e32 v12, vcc, 0, v12, vcc
	v_cmp_lt_i64_e64 s[0:1], v[9:10], v[11:12]
	v_add_co_u32_e32 v13, vcc, s14, v13
	v_addc_co_u32_e32 v14, vcc, v17, v14, vcc
	s_cbranch_scc1 .LBB141_23
; %bb.12:
	v_mov_b32_e32 v24, 0
	v_mov_b32_e32 v30, 0
	v_mov_b32_e32 v26, 0
	v_mov_b32_e32 v28, 0
	v_mov_b32_e32 v36, 0
	v_mov_b32_e32 v38, 0
	v_mov_b32_e32 v34, 0
	v_mov_b32_e32 v32, 0
	v_mov_b32_e32 v25, 0
	v_mov_b32_e32 v31, 0
	v_mov_b32_e32 v27, 0
	v_mov_b32_e32 v29, 0
	v_mov_b32_e32 v37, 0
	v_mov_b32_e32 v39, 0
	v_mov_b32_e32 v35, 0
	v_mov_b32_e32 v33, 0
	s_and_saveexec_b64 s[14:15], s[0:1]
	s_cbranch_execz .LBB141_22
; %bb.13:
	v_or_b32_e32 v17, 8, v0
	v_subrev_co_u32_e32 v17, vcc, s16, v17
	v_subb_co_u32_e64 v18, s[2:3], 0, 0, vcc
	v_add_co_u32_e32 v17, vcc, v17, v15
	v_addc_co_u32_e32 v18, vcc, v18, v16, vcc
	v_cmp_gt_i64_e32 vcc, v[17:18], v[11:12]
	v_not_b32_e32 v20, v15
	v_cndmask_b32_e32 v18, v12, v18, vcc
	v_cndmask_b32_e32 v17, v11, v17, vcc
	v_sub_co_u32_e32 v22, vcc, s16, v0
	v_not_b32_e32 v19, v16
	v_subb_co_u32_e64 v23, s[2:3], 0, 0, vcc
	v_add_co_u32_e32 v20, vcc, v22, v20
	v_addc_co_u32_e32 v19, vcc, v23, v19, vcc
	v_add_co_u32_e32 v22, vcc, v20, v17
	v_addc_co_u32_e32 v23, vcc, v19, v18, vcc
	v_and_b32_e32 v17, 24, v22
	v_mov_b32_e32 v18, 0
	v_cmp_ne_u64_e32 vcc, 24, v[17:18]
	v_mov_b32_e32 v32, 0
	v_mov_b32_e32 v34, 0
	v_mov_b32_e32 v38, 0
	v_mov_b32_e32 v36, 0
	v_mov_b32_e32 v28, 0
	v_mov_b32_e32 v26, 0
	v_mov_b32_e32 v30, 0
	v_mov_b32_e32 v24, 0
	v_mov_b32_e32 v20, v14
	v_mov_b32_e32 v18, v10
	v_mov_b32_e32 v33, 0
	v_mov_b32_e32 v35, 0
	v_mov_b32_e32 v39, 0
	v_mov_b32_e32 v37, 0
	v_mov_b32_e32 v29, 0
	v_mov_b32_e32 v27, 0
	v_mov_b32_e32 v31, 0
	v_mov_b32_e32 v25, 0
	v_mov_b32_e32 v19, v13
	v_mov_b32_e32 v17, v9
	s_and_saveexec_b64 s[18:19], vcc
	s_cbranch_execz .LBB141_17
; %bb.14:
	v_lshrrev_b32_e32 v17, 3, v22
	v_add_u32_e32 v17, 1, v17
	v_and_b32_e32 v19, 3, v17
	v_lshlrev_b64 v[17:18], 2, v[9:10]
	v_mov_b32_e32 v20, s13
	v_add_co_u32_e32 v40, vcc, s12, v17
	v_addc_co_u32_e32 v41, vcc, v20, v18, vcc
	v_sub_co_u32_e32 v42, vcc, 0, v19
	v_mov_b32_e32 v24, 0
	s_mov_b32 s22, 0
	v_mov_b32_e32 v18, v10
	v_mov_b32_e32 v30, 0
	;; [unrolled: 1-line block ×9, first 2 shown]
	s_mov_b64 s[20:21], 0
	v_subb_co_u32_e64 v43, s[2:3], 0, 0, vcc
	v_mov_b32_e32 v25, 0
	s_brev_b32 s23, 1
	s_movk_i32 s17, 0x400
	s_waitcnt lgkmcnt(0)
	v_mov_b32_e32 v44, s11
	v_mov_b32_e32 v17, v9
	;; [unrolled: 1-line block ×10, first 2 shown]
.LBB141_15:                             ; =>This Inner Loop Header: Depth=1
	global_load_dword v65, v[40:41], off
	global_load_dwordx4 v[45:48], v[19:20], off offset:32
	global_load_dwordx4 v[49:52], v[19:20], off
	global_load_dwordx4 v[53:56], v[19:20], off offset:64
	global_load_dwordx4 v[57:60], v[19:20], off offset:96
	;; [unrolled: 1-line block ×3, first 2 shown]
	v_add_co_u32_e64 v17, s[2:3], 8, v17
	v_add_co_u32_e64 v40, s[6:7], 32, v40
	;; [unrolled: 1-line block ×3, first 2 shown]
	v_addc_co_u32_e64 v18, s[2:3], 0, v18, s[2:3]
	v_addc_co_u32_e64 v41, s[2:3], 0, v41, s[6:7]
	;; [unrolled: 1-line block ×3, first 2 shown]
	v_cmp_eq_u64_e64 s[2:3], 0, v[42:43]
	s_or_b64 s[20:21], s[2:3], s[20:21]
	s_waitcnt vmcnt(5)
	v_subrev_u32_e32 v65, s16, v65
	v_lshlrev_b32_e32 v65, 2, v65
	v_ashrrev_i32_e32 v66, 31, v65
	v_lshlrev_b64 v[65:66], 4, v[65:66]
	v_add_co_u32_e32 v69, vcc, s10, v65
	v_addc_co_u32_e32 v70, vcc, v44, v66, vcc
	global_load_dwordx4 v[65:68], v[69:70], off
	s_waitcnt vmcnt(0)
	v_fma_f64 v[24:25], v[65:66], 0, v[24:25]
	v_fma_f64 v[26:27], v[65:66], 0, v[26:27]
	;; [unrolled: 1-line block ×10, first 2 shown]
	global_load_dwordx4 v[24:27], v[69:70], off offset:16
	v_fma_f64 v[30:31], v[67:68], s[22:23], v[30:31]
	v_fma_f64 v[36:37], v[53:54], v[67:68], v[36:37]
	;; [unrolled: 1-line block ×6, first 2 shown]
	s_waitcnt vmcnt(0)
	v_fma_f64 v[36:37], v[24:25], 0, v[36:37]
	v_fma_f64 v[28:29], v[24:25], 0, v[49:50]
	;; [unrolled: 1-line block ×9, first 2 shown]
	global_load_dwordx4 v[28:31], v[19:20], off offset:16
	v_fma_f64 v[73:74], v[47:48], v[26:27], v[32:33]
	global_load_dwordx4 v[32:35], v[19:20], off offset:80
	global_load_dwordx4 v[45:48], v[19:20], off offset:112
	v_fma_f64 v[24:25], v[59:60], v[24:25], v[53:54]
	v_fma_f64 v[57:58], v[26:27], s[22:23], v[67:68]
	;; [unrolled: 1-line block ×3, first 2 shown]
	global_load_dwordx4 v[36:39], v[69:70], off offset:32
	global_load_dwordx4 v[49:52], v[69:70], off offset:48
	v_fma_f64 v[59:60], v[26:27], s[22:23], v[65:66]
	v_fma_f64 v[65:66], v[26:27], s[22:23], v[75:76]
	v_add_co_u32_e32 v19, vcc, s17, v19
	v_fma_f64 v[24:25], v[26:27], s[22:23], v[24:25]
	v_addc_co_u32_e32 v20, vcc, 0, v20, vcc
	s_waitcnt vmcnt(1)
	v_fma_f64 v[26:27], v[36:37], 0, v[71:72]
	v_fma_f64 v[57:58], v[28:29], v[36:37], v[57:58]
	;; [unrolled: 1-line block ×16, first 2 shown]
	s_waitcnt vmcnt(0)
	v_fma_f64 v[26:27], v[49:50], 0, v[26:27]
	v_fma_f64 v[28:29], v[30:31], v[49:50], v[28:29]
	;; [unrolled: 1-line block ×16, first 2 shown]
	s_andn2_b64 exec, exec, s[20:21]
	s_cbranch_execnz .LBB141_15
; %bb.16:
	s_or_b64 exec, exec, s[20:21]
.LBB141_17:
	s_or_b64 exec, exec, s[18:19]
	v_cmp_lt_u64_e32 vcc, 23, v[22:23]
	s_and_saveexec_b64 s[2:3], vcc
	s_cbranch_execz .LBB141_21
; %bb.18:
	v_lshlrev_b64 v[22:23], 2, v[17:18]
	v_mov_b32_e32 v40, s13
	v_add_co_u32_e32 v22, vcc, s12, v22
	v_addc_co_u32_e32 v23, vcc, v40, v23, vcc
	v_add_co_u32_e32 v22, vcc, 64, v22
	s_mov_b32 s8, 0
	v_addc_co_u32_e32 v23, vcc, 0, v23, vcc
	s_mov_b64 s[6:7], 0
	s_waitcnt lgkmcnt(0)
	v_mov_b32_e32 v44, s11
	s_brev_b32 s9, 1
	s_movk_i32 s17, 0x1000
.LBB141_19:                             ; =>This Inner Loop Header: Depth=1
	global_load_dword v40, v[22:23], off offset:-64
	s_waitcnt vmcnt(0)
	v_subrev_u32_e32 v40, s16, v40
	v_lshlrev_b32_e32 v57, 2, v40
	v_ashrrev_i32_e32 v58, 31, v57
	v_lshlrev_b64 v[57:58], 4, v[57:58]
	global_load_dwordx4 v[40:43], v[19:20], off offset:48
	global_load_dwordx4 v[45:48], v[19:20], off offset:32
	;; [unrolled: 1-line block ×3, first 2 shown]
	global_load_dwordx4 v[53:56], v[19:20], off
	v_add_co_u32_e32 v73, vcc, s10, v57
	v_addc_co_u32_e32 v74, vcc, v44, v58, vcc
	global_load_dwordx4 v[57:60], v[73:74], off offset:48
	global_load_dwordx4 v[61:64], v[73:74], off offset:32
	;; [unrolled: 1-line block ×3, first 2 shown]
	global_load_dwordx4 v[69:72], v[73:74], off
	s_waitcnt vmcnt(0)
	v_fma_f64 v[24:25], v[69:70], 0, v[24:25]
	v_fma_f64 v[30:31], v[53:54], v[69:70], v[30:31]
	;; [unrolled: 1-line block ×34, first 2 shown]
	global_load_dwordx4 v[24:27], v[19:20], off offset:112
	global_load_dwordx4 v[28:31], v[19:20], off offset:96
	;; [unrolled: 1-line block ×4, first 2 shown]
	s_waitcnt vmcnt(2)
	v_fma_f64 v[32:33], v[28:29], v[69:70], v[32:33]
	v_fma_f64 v[28:29], v[28:29], v[71:72], v[34:35]
	s_waitcnt vmcnt(0)
	v_fma_f64 v[38:39], v[45:46], v[69:70], v[38:39]
	v_fma_f64 v[36:37], v[45:46], v[71:72], v[36:37]
	v_fma_f64 v[32:33], v[71:72], s[8:9], v[32:33]
	v_fma_f64 v[28:29], v[65:66], 0, v[28:29]
	v_fma_f64 v[38:39], v[71:72], s[8:9], v[38:39]
	v_fma_f64 v[36:37], v[65:66], 0, v[36:37]
	v_fma_f64 v[32:33], v[30:31], v[65:66], v[32:33]
	v_fma_f64 v[28:29], v[30:31], v[67:68], v[28:29]
	v_fma_f64 v[38:39], v[47:48], v[65:66], v[38:39]
	v_fma_f64 v[36:37], v[47:48], v[67:68], v[36:37]
	v_fma_f64 v[32:33], v[67:68], s[8:9], v[32:33]
	v_fma_f64 v[28:29], v[61:62], 0, v[28:29]
	v_fma_f64 v[38:39], v[67:68], s[8:9], v[38:39]
	v_fma_f64 v[36:37], v[61:62], 0, v[36:37]
	v_fma_f64 v[30:31], v[24:25], v[61:62], v[32:33]
	v_fma_f64 v[24:25], v[24:25], v[63:64], v[28:29]
	v_fma_f64 v[38:39], v[40:41], v[61:62], v[38:39]
	v_fma_f64 v[36:37], v[40:41], v[63:64], v[36:37]
	v_fma_f64 v[30:31], v[63:64], s[8:9], v[30:31]
	v_fma_f64 v[24:25], v[57:58], 0, v[24:25]
	v_fma_f64 v[38:39], v[63:64], s[8:9], v[38:39]
	v_fma_f64 v[36:37], v[57:58], 0, v[36:37]
	v_fma_f64 v[28:29], v[26:27], v[57:58], v[30:31]
	v_fma_f64 v[38:39], v[42:43], v[57:58], v[38:39]
	v_fma_f64 v[57:58], v[26:27], v[59:60], v[24:25]
	global_load_dword v24, v[22:23], off offset:-32
	v_fma_f64 v[83:84], v[42:43], v[59:60], v[36:37]
	v_fma_f64 v[61:62], v[59:60], s[8:9], v[28:29]
	;; [unrolled: 1-line block ×3, first 2 shown]
	s_waitcnt vmcnt(0)
	v_subrev_u32_e32 v24, s16, v24
	v_lshlrev_b32_e32 v40, 2, v24
	v_ashrrev_i32_e32 v41, 31, v40
	v_lshlrev_b64 v[40:41], 4, v[40:41]
	global_load_dwordx4 v[24:27], v[19:20], off offset:1072
	global_load_dwordx4 v[28:31], v[19:20], off offset:1056
	;; [unrolled: 1-line block ×4, first 2 shown]
	v_add_co_u32_e32 v59, vcc, s10, v40
	v_addc_co_u32_e32 v60, vcc, v44, v41, vcc
	global_load_dwordx4 v[40:43], v[59:60], off offset:48
	global_load_dwordx4 v[45:48], v[59:60], off offset:32
	;; [unrolled: 1-line block ×3, first 2 shown]
	global_load_dwordx4 v[53:56], v[59:60], off
	s_waitcnt vmcnt(0)
	v_fma_f64 v[63:64], v[53:54], 0, v[75:76]
	v_fma_f64 v[59:60], v[36:37], v[53:54], v[73:74]
	v_fma_f64 v[71:72], v[53:54], 0, v[83:84]
	v_fma_f64 v[36:37], v[36:37], v[55:56], v[63:64]
	v_fma_f64 v[59:60], v[55:56], s[8:9], v[59:60]
	v_fma_f64 v[36:37], v[49:50], 0, v[36:37]
	v_fma_f64 v[59:60], v[38:39], v[49:50], v[59:60]
	v_fma_f64 v[36:37], v[38:39], v[51:52], v[36:37]
	v_fma_f64 v[59:60], v[51:52], s[8:9], v[59:60]
	v_fma_f64 v[36:37], v[45:46], 0, v[36:37]
	v_fma_f64 v[38:39], v[32:33], v[45:46], v[59:60]
	v_fma_f64 v[32:33], v[32:33], v[47:48], v[36:37]
	v_fma_f64 v[38:39], v[47:48], s[8:9], v[38:39]
	v_fma_f64 v[32:33], v[40:41], 0, v[32:33]
	v_fma_f64 v[36:37], v[34:35], v[40:41], v[38:39]
	v_fma_f64 v[63:64], v[34:35], v[42:43], v[32:33]
	v_fma_f64 v[32:33], v[28:29], v[53:54], v[77:78]
	v_fma_f64 v[34:35], v[53:54], 0, v[79:80]
	v_fma_f64 v[59:60], v[42:43], s[8:9], v[36:37]
	v_fma_f64 v[32:33], v[55:56], s[8:9], v[32:33]
	v_fma_f64 v[28:29], v[28:29], v[55:56], v[34:35]
	v_fma_f64 v[32:33], v[30:31], v[49:50], v[32:33]
	v_fma_f64 v[28:29], v[49:50], 0, v[28:29]
	v_fma_f64 v[32:33], v[51:52], s[8:9], v[32:33]
	v_fma_f64 v[28:29], v[30:31], v[51:52], v[28:29]
	v_fma_f64 v[30:31], v[24:25], v[45:46], v[32:33]
	v_fma_f64 v[28:29], v[45:46], 0, v[28:29]
	v_fma_f64 v[30:31], v[47:48], s[8:9], v[30:31]
	v_fma_f64 v[24:25], v[24:25], v[47:48], v[28:29]
	v_fma_f64 v[28:29], v[26:27], v[40:41], v[30:31]
	v_fma_f64 v[24:25], v[40:41], 0, v[24:25]
	v_fma_f64 v[65:66], v[42:43], s[8:9], v[28:29]
	v_fma_f64 v[67:68], v[26:27], v[42:43], v[24:25]
	global_load_dwordx4 v[24:27], v[19:20], off offset:1136
	global_load_dwordx4 v[28:31], v[19:20], off offset:1120
	;; [unrolled: 1-line block ×4, first 2 shown]
	s_waitcnt vmcnt(0)
	v_fma_f64 v[69:70], v[36:37], v[53:54], v[81:82]
	v_fma_f64 v[36:37], v[36:37], v[55:56], v[71:72]
	;; [unrolled: 1-line block ×30, first 2 shown]
	global_load_dword v24, v[22:23], off
	v_fma_f64 v[73:74], v[42:43], s[8:9], v[28:29]
	s_waitcnt vmcnt(0)
	v_subrev_u32_e32 v24, s16, v24
	v_lshlrev_b32_e32 v40, 2, v24
	v_ashrrev_i32_e32 v41, 31, v40
	v_lshlrev_b64 v[40:41], 4, v[40:41]
	global_load_dwordx4 v[28:31], v[19:20], off offset:2096
	global_load_dwordx4 v[32:35], v[19:20], off offset:2080
	;; [unrolled: 1-line block ×4, first 2 shown]
	v_add_co_u32_e32 v57, vcc, s10, v40
	v_addc_co_u32_e32 v58, vcc, v44, v41, vcc
	global_load_dwordx4 v[45:48], v[57:58], off offset:48
	global_load_dwordx4 v[40:43], v[57:58], off offset:32
	;; [unrolled: 1-line block ×3, first 2 shown]
	global_load_dwordx4 v[53:56], v[57:58], off
	s_waitcnt vmcnt(0)
	v_fma_f64 v[57:58], v[36:37], v[53:54], v[59:60]
	v_fma_f64 v[59:60], v[53:54], 0, v[63:64]
	;; [unrolled: 1-line block ×32, first 2 shown]
	global_load_dwordx4 v[57:60], v[19:20], off offset:2160
	global_load_dwordx4 v[61:64], v[19:20], off offset:2144
	;; [unrolled: 1-line block ×4, first 2 shown]
	v_fma_f64 v[28:29], v[47:48], s[8:9], v[28:29]
	s_waitcnt vmcnt(0)
	v_fma_f64 v[30:31], v[65:66], v[53:54], v[69:70]
	v_fma_f64 v[38:39], v[65:66], v[55:56], v[38:39]
	;; [unrolled: 1-line block ×31, first 2 shown]
	global_load_dword v30, v[22:23], off offset:32
	global_load_dwordx4 v[45:48], v[19:20], off offset:3120
	global_load_dwordx4 v[49:52], v[19:20], off offset:3104
	;; [unrolled: 1-line block ×4, first 2 shown]
	s_waitcnt vmcnt(4)
	v_subrev_u32_e32 v30, s16, v30
	v_lshlrev_b32_e32 v30, 2, v30
	v_ashrrev_i32_e32 v31, 31, v30
	v_lshlrev_b64 v[30:31], 4, v[30:31]
	v_add_co_u32_e32 v30, vcc, s10, v30
	v_addc_co_u32_e32 v31, vcc, v44, v31, vcc
	global_load_dwordx4 v[61:64], v[30:31], off offset:48
	global_load_dwordx4 v[65:68], v[30:31], off offset:32
	;; [unrolled: 1-line block ×3, first 2 shown]
	global_load_dwordx4 v[73:76], v[30:31], off
	s_waitcnt vmcnt(0)
	v_fma_f64 v[24:25], v[57:58], v[73:74], v[24:25]
	v_fma_f64 v[26:27], v[73:74], 0, v[26:27]
	;; [unrolled: 1-line block ×33, first 2 shown]
	global_load_dwordx4 v[45:48], v[19:20], off offset:3184
	global_load_dwordx4 v[49:52], v[19:20], off offset:3168
	;; [unrolled: 1-line block ×4, first 2 shown]
	v_add_co_u32_e32 v19, vcc, s17, v19
	v_addc_co_u32_e32 v20, vcc, 0, v20, vcc
	v_add_co_u32_e32 v17, vcc, 32, v17
	v_addc_co_u32_e32 v18, vcc, 0, v18, vcc
	;; [unrolled: 2-line block ×3, first 2 shown]
	v_cmp_ge_i64_e32 vcc, v[17:18], v[11:12]
	s_or_b64 s[6:7], vcc, s[6:7]
	s_waitcnt vmcnt(0)
	v_fma_f64 v[32:33], v[36:37], v[73:74], v[32:33]
	v_fma_f64 v[34:35], v[36:37], v[75:76], v[34:35]
	;; [unrolled: 1-line block ×31, first 2 shown]
	s_andn2_b64 exec, exec, s[6:7]
	s_cbranch_execnz .LBB141_19
; %bb.20:
	s_or_b64 exec, exec, s[6:7]
.LBB141_21:
	s_or_b64 exec, exec, s[2:3]
.LBB141_22:
	s_or_b64 exec, exec, s[14:15]
	s_cbranch_execz .LBB141_24
	s_branch .LBB141_35
.LBB141_23:
                                        ; implicit-def: $vgpr24_vgpr25
                                        ; implicit-def: $vgpr30_vgpr31
                                        ; implicit-def: $vgpr26_vgpr27
                                        ; implicit-def: $vgpr28_vgpr29
                                        ; implicit-def: $vgpr36_vgpr37
                                        ; implicit-def: $vgpr38_vgpr39
                                        ; implicit-def: $vgpr34_vgpr35
                                        ; implicit-def: $vgpr32_vgpr33
.LBB141_24:
	v_mov_b32_e32 v24, 0
	v_mov_b32_e32 v30, 0
	;; [unrolled: 1-line block ×16, first 2 shown]
	s_and_saveexec_b64 s[2:3], s[0:1]
	s_cbranch_execz .LBB141_34
; %bb.25:
	v_or_b32_e32 v17, 8, v0
	v_subrev_co_u32_e32 v17, vcc, s16, v17
	v_subb_co_u32_e64 v18, s[0:1], 0, 0, vcc
	v_add_co_u32_e32 v17, vcc, v17, v15
	v_addc_co_u32_e32 v18, vcc, v18, v16, vcc
	v_cmp_gt_i64_e32 vcc, v[17:18], v[11:12]
	v_not_b32_e32 v15, v15
	v_cndmask_b32_e32 v18, v12, v18, vcc
	v_cndmask_b32_e32 v17, v11, v17, vcc
	v_sub_co_u32_e32 v19, vcc, s16, v0
	v_not_b32_e32 v16, v16
	v_subb_co_u32_e64 v20, s[0:1], 0, 0, vcc
	v_add_co_u32_e32 v15, vcc, v19, v15
	v_addc_co_u32_e32 v16, vcc, v20, v16, vcc
	v_add_co_u32_e32 v15, vcc, v15, v17
	v_addc_co_u32_e32 v16, vcc, v16, v18, vcc
	v_and_b32_e32 v17, 24, v15
	v_mov_b32_e32 v18, 0
	v_cmp_ne_u64_e32 vcc, 24, v[17:18]
	v_mov_b32_e32 v32, 0
	v_mov_b32_e32 v34, 0
	;; [unrolled: 1-line block ×16, first 2 shown]
	s_and_saveexec_b64 s[0:1], vcc
	s_cbranch_execz .LBB141_29
; %bb.26:
	v_lshrrev_b32_e32 v17, 3, v15
	v_add_u32_e32 v17, 1, v17
	v_and_b32_e32 v19, 3, v17
	v_lshlrev_b64 v[17:18], 2, v[9:10]
	v_mov_b32_e32 v20, s13
	v_add_co_u32_e32 v17, vcc, s12, v17
	v_addc_co_u32_e32 v18, vcc, v20, v18, vcc
	v_sub_co_u32_e32 v19, vcc, 0, v19
	v_subb_co_u32_e64 v20, s[8:9], 0, 0, vcc
	v_mov_b32_e32 v24, 0
	s_mov_b32 s8, 0
	v_mov_b32_e32 v30, 0
	v_mov_b32_e32 v26, 0
	;; [unrolled: 1-line block ×7, first 2 shown]
	s_mov_b64 s[6:7], 0
	v_mov_b32_e32 v25, 0
	s_brev_b32 s9, 1
	s_movk_i32 s14, 0x400
	v_mov_b32_e32 v31, 0
	v_mov_b32_e32 v27, 0
	;; [unrolled: 1-line block ×7, first 2 shown]
	s_waitcnt lgkmcnt(0)
	v_mov_b32_e32 v22, s11
.LBB141_27:                             ; =>This Inner Loop Header: Depth=1
	global_load_dword v23, v[17:18], off
	global_load_dwordx4 v[40:43], v[13:14], off offset:48
	global_load_dwordx4 v[44:47], v[13:14], off offset:32
	;; [unrolled: 1-line block ×3, first 2 shown]
	global_load_dwordx4 v[52:55], v[13:14], off
	s_waitcnt vmcnt(4)
	v_subrev_u32_e32 v23, s16, v23
	v_lshlrev_b32_e32 v56, 2, v23
	v_ashrrev_i32_e32 v57, 31, v56
	v_lshlrev_b64 v[56:57], 4, v[56:57]
	v_add_co_u32_e32 v72, vcc, s10, v56
	v_addc_co_u32_e32 v73, vcc, v22, v57, vcc
	global_load_dwordx4 v[56:59], v[72:73], off offset:48
	global_load_dwordx4 v[60:63], v[72:73], off offset:32
	;; [unrolled: 1-line block ×3, first 2 shown]
	global_load_dwordx4 v[68:71], v[72:73], off
	s_waitcnt vmcnt(0)
	v_fma_f64 v[23:24], v[68:69], 0, v[24:25]
	v_fma_f64 v[30:31], v[52:53], v[68:69], v[30:31]
	v_fma_f64 v[28:29], v[54:55], v[68:69], v[28:29]
	v_fma_f64 v[25:26], v[68:69], 0, v[26:27]
	v_fma_f64 v[38:39], v[48:49], v[68:69], v[38:39]
	v_fma_f64 v[34:35], v[68:69], 0, v[34:35]
	v_fma_f64 v[36:37], v[68:69], 0, v[36:37]
	v_fma_f64 v[32:33], v[50:51], v[68:69], v[32:33]
	v_fma_f64 v[23:24], v[52:53], v[70:71], v[23:24]
	v_fma_f64 v[30:31], v[70:71], s[8:9], v[30:31]
	v_fma_f64 v[28:29], v[70:71], s[8:9], v[28:29]
	v_fma_f64 v[25:26], v[54:55], v[70:71], v[25:26]
	v_fma_f64 v[38:39], v[70:71], s[8:9], v[38:39]
	v_fma_f64 v[34:35], v[50:51], v[70:71], v[34:35]
	v_fma_f64 v[36:37], v[48:49], v[70:71], v[36:37]
	v_fma_f64 v[32:33], v[70:71], s[8:9], v[32:33]
	v_fma_f64 v[23:24], v[64:65], 0, v[23:24]
	v_fma_f64 v[30:31], v[44:45], v[64:65], v[30:31]
	v_fma_f64 v[44:45], v[44:45], v[66:67], v[23:24]
	v_fma_f64 v[23:24], v[46:47], v[64:65], v[28:29]
	v_fma_f64 v[48:49], v[66:67], s[8:9], v[30:31]
	v_fma_f64 v[44:45], v[60:61], 0, v[44:45]
	v_fma_f64 v[50:51], v[66:67], s[8:9], v[23:24]
	v_fma_f64 v[23:24], v[64:65], 0, v[25:26]
	v_fma_f64 v[46:47], v[46:47], v[66:67], v[23:24]
	v_fma_f64 v[23:24], v[40:41], v[64:65], v[38:39]
	v_fma_f64 v[46:47], v[60:61], 0, v[46:47]
	v_fma_f64 v[52:53], v[66:67], s[8:9], v[23:24]
	v_fma_f64 v[23:24], v[64:65], 0, v[36:37]
	v_fma_f64 v[40:41], v[40:41], v[66:67], v[23:24]
	v_fma_f64 v[23:24], v[42:43], v[64:65], v[32:33]
	v_fma_f64 v[40:41], v[60:61], 0, v[40:41]
	v_fma_f64 v[54:55], v[66:67], s[8:9], v[23:24]
	v_fma_f64 v[23:24], v[64:65], 0, v[34:35]
	v_fma_f64 v[42:43], v[42:43], v[66:67], v[23:24]
	global_load_dwordx4 v[32:35], v[13:14], off offset:112
	global_load_dwordx4 v[24:27], v[13:14], off offset:96
	;; [unrolled: 1-line block ×4, first 2 shown]
	v_add_co_u32_e32 v13, vcc, s14, v13
	v_addc_co_u32_e32 v14, vcc, 0, v14, vcc
	v_add_co_u32_e32 v9, vcc, 8, v9
	v_addc_co_u32_e32 v10, vcc, 0, v10, vcc
	;; [unrolled: 2-line block ×4, first 2 shown]
	v_cmp_eq_u64_e32 vcc, 0, v[19:20]
	s_or_b64 s[6:7], vcc, s[6:7]
	s_waitcnt vmcnt(1)
	v_fma_f64 v[40:41], v[28:29], v[62:63], v[40:41]
	s_waitcnt vmcnt(0)
	v_fma_f64 v[48:49], v[36:37], v[60:61], v[48:49]
	v_fma_f64 v[36:37], v[36:37], v[62:63], v[44:45]
	v_fma_f64 v[44:45], v[38:39], v[60:61], v[50:51]
	v_fma_f64 v[38:39], v[38:39], v[62:63], v[46:47]
	v_fma_f64 v[46:47], v[28:29], v[60:61], v[52:53]
	v_fma_f64 v[28:29], v[30:31], v[60:61], v[54:55]
	v_fma_f64 v[48:49], v[62:63], s[8:9], v[48:49]
	v_fma_f64 v[44:45], v[62:63], s[8:9], v[44:45]
	v_fma_f64 v[46:47], v[62:63], s[8:9], v[46:47]
	v_fma_f64 v[50:51], v[62:63], s[8:9], v[28:29]
	v_fma_f64 v[28:29], v[60:61], 0, v[42:43]
	v_fma_f64 v[42:43], v[30:31], v[62:63], v[28:29]
	v_fma_f64 v[28:29], v[24:25], v[56:57], v[48:49]
	v_fma_f64 v[30:31], v[58:59], s[8:9], v[28:29]
	v_fma_f64 v[28:29], v[56:57], 0, v[36:37]
	v_fma_f64 v[36:37], v[56:57], 0, v[38:39]
	v_fma_f64 v[24:25], v[24:25], v[58:59], v[28:29]
	v_fma_f64 v[28:29], v[26:27], v[56:57], v[44:45]
	v_fma_f64 v[26:27], v[26:27], v[58:59], v[36:37]
	v_fma_f64 v[36:37], v[32:33], v[56:57], v[46:47]
	v_fma_f64 v[28:29], v[58:59], s[8:9], v[28:29]
	v_fma_f64 v[38:39], v[58:59], s[8:9], v[36:37]
	v_fma_f64 v[36:37], v[56:57], 0, v[40:41]
	v_fma_f64 v[40:41], v[56:57], 0, v[42:43]
	v_fma_f64 v[36:37], v[32:33], v[58:59], v[36:37]
	v_fma_f64 v[32:33], v[34:35], v[56:57], v[50:51]
	v_fma_f64 v[34:35], v[34:35], v[58:59], v[40:41]
	v_fma_f64 v[32:33], v[58:59], s[8:9], v[32:33]
	s_andn2_b64 exec, exec, s[6:7]
	s_cbranch_execnz .LBB141_27
; %bb.28:
	s_or_b64 exec, exec, s[6:7]
.LBB141_29:
	s_or_b64 exec, exec, s[0:1]
	v_cmp_lt_u64_e32 vcc, 23, v[15:16]
	s_and_saveexec_b64 s[0:1], vcc
	s_cbranch_execz .LBB141_33
; %bb.30:
	v_lshlrev_b64 v[15:16], 2, v[9:10]
	v_mov_b32_e32 v17, s13
	v_add_co_u32_e32 v15, vcc, s12, v15
	v_addc_co_u32_e32 v16, vcc, v17, v16, vcc
	v_add_co_u32_e32 v15, vcc, 64, v15
	s_mov_b32 s8, 0
	v_addc_co_u32_e32 v16, vcc, 0, v16, vcc
	s_mov_b64 s[6:7], 0
	s_waitcnt lgkmcnt(0)
	v_mov_b32_e32 v40, s11
	s_brev_b32 s9, 1
	s_movk_i32 s11, 0x1000
.LBB141_31:                             ; =>This Inner Loop Header: Depth=1
	global_load_dword v17, v[15:16], off offset:-64
	s_waitcnt vmcnt(0)
	v_subrev_u32_e32 v17, s16, v17
	v_lshlrev_b32_e32 v22, 2, v17
	v_ashrrev_i32_e32 v23, 31, v22
	v_lshlrev_b64 v[22:23], 4, v[22:23]
	global_load_dwordx4 v[17:20], v[13:14], off offset:48
	global_load_dwordx4 v[41:44], v[13:14], off offset:32
	;; [unrolled: 1-line block ×3, first 2 shown]
	global_load_dwordx4 v[49:52], v[13:14], off
	v_add_co_u32_e32 v22, vcc, s10, v22
	v_addc_co_u32_e32 v23, vcc, v40, v23, vcc
	global_load_dwordx4 v[53:56], v[22:23], off offset:48
	global_load_dwordx4 v[57:60], v[22:23], off offset:32
	;; [unrolled: 1-line block ×3, first 2 shown]
	global_load_dwordx4 v[65:68], v[22:23], off
	s_waitcnt vmcnt(0)
	v_fma_f64 v[22:23], v[49:50], v[65:66], v[30:31]
	v_fma_f64 v[24:25], v[65:66], 0, v[24:25]
	;; [unrolled: 1-line block ×35, first 2 shown]
	global_load_dwordx4 v[17:20], v[13:14], off offset:112
	global_load_dwordx4 v[22:25], v[13:14], off offset:96
	;; [unrolled: 1-line block ×4, first 2 shown]
	v_fma_f64 v[34:35], v[57:58], 0, v[34:35]
	s_waitcnt vmcnt(0)
	v_fma_f64 v[38:39], v[30:31], v[57:58], v[38:39]
	v_fma_f64 v[30:31], v[30:31], v[59:60], v[41:42]
	;; [unrolled: 1-line block ×28, first 2 shown]
	global_load_dword v17, v[15:16], off offset:-32
	s_waitcnt vmcnt(0)
	v_subrev_u32_e32 v17, s16, v17
	v_lshlrev_b32_e32 v34, 2, v17
	v_ashrrev_i32_e32 v35, 31, v34
	v_lshlrev_b64 v[34:35], 4, v[34:35]
	global_load_dwordx4 v[17:20], v[13:14], off offset:1072
	global_load_dwordx4 v[22:25], v[13:14], off offset:1056
	;; [unrolled: 1-line block ×4, first 2 shown]
	v_add_co_u32_e32 v55, vcc, s10, v34
	v_addc_co_u32_e32 v56, vcc, v40, v35, vcc
	global_load_dwordx4 v[34:37], v[55:56], off offset:48
	global_load_dwordx4 v[41:44], v[55:56], off offset:32
	;; [unrolled: 1-line block ×3, first 2 shown]
	global_load_dwordx4 v[49:52], v[55:56], off
	s_waitcnt vmcnt(0)
	v_fma_f64 v[55:56], v[49:50], 0, v[57:58]
	v_fma_f64 v[38:39], v[30:31], v[49:50], v[38:39]
	;; [unrolled: 1-line block ×32, first 2 shown]
	global_load_dwordx4 v[17:20], v[13:14], off offset:1136
	global_load_dwordx4 v[22:25], v[13:14], off offset:1120
	;; [unrolled: 1-line block ×4, first 2 shown]
	v_fma_f64 v[47:48], v[41:42], 0, v[49:50]
	v_fma_f64 v[49:50], v[41:42], 0, v[53:54]
	s_waitcnt vmcnt(0)
	v_fma_f64 v[38:39], v[30:31], v[41:42], v[38:39]
	v_fma_f64 v[30:31], v[30:31], v[43:44], v[47:48]
	;; [unrolled: 1-line block ×30, first 2 shown]
	global_load_dword v17, v[15:16], off
	s_waitcnt vmcnt(0)
	v_subrev_u32_e32 v17, s16, v17
	v_lshlrev_b32_e32 v34, 2, v17
	v_ashrrev_i32_e32 v35, 31, v34
	v_lshlrev_b64 v[34:35], 4, v[34:35]
	global_load_dwordx4 v[17:20], v[13:14], off offset:2096
	global_load_dwordx4 v[22:25], v[13:14], off offset:2080
	;; [unrolled: 1-line block ×4, first 2 shown]
	v_add_co_u32_e32 v67, vcc, s10, v34
	v_addc_co_u32_e32 v68, vcc, v40, v35, vcc
	global_load_dwordx4 v[34:37], v[67:68], off offset:48
	global_load_dwordx4 v[41:44], v[67:68], off offset:32
	;; [unrolled: 1-line block ×3, first 2 shown]
	global_load_dwordx4 v[49:52], v[67:68], off
	s_waitcnt vmcnt(0)
	v_fma_f64 v[53:54], v[49:50], 0, v[53:54]
	v_fma_f64 v[38:39], v[30:31], v[49:50], v[38:39]
	;; [unrolled: 1-line block ×32, first 2 shown]
	global_load_dwordx4 v[30:33], v[13:14], off offset:2160
	global_load_dwordx4 v[22:25], v[13:14], off offset:2144
	;; [unrolled: 1-line block ×4, first 2 shown]
	v_fma_f64 v[47:48], v[41:42], 0, v[49:50]
	v_fma_f64 v[49:50], v[41:42], 0, v[53:54]
	s_waitcnt vmcnt(0)
	v_fma_f64 v[38:39], v[26:27], v[41:42], v[38:39]
	v_fma_f64 v[26:27], v[26:27], v[43:44], v[47:48]
	;; [unrolled: 1-line block ×30, first 2 shown]
	global_load_dword v34, v[15:16], off offset:32
	s_waitcnt vmcnt(0)
	v_subrev_u32_e32 v34, s16, v34
	v_lshlrev_b32_e32 v38, 2, v34
	v_ashrrev_i32_e32 v39, 31, v38
	v_lshlrev_b64 v[38:39], 4, v[38:39]
	global_load_dwordx4 v[34:37], v[13:14], off offset:3120
	global_load_dwordx4 v[41:44], v[13:14], off offset:3104
	;; [unrolled: 1-line block ×4, first 2 shown]
	v_add_co_u32_e32 v38, vcc, s10, v38
	v_addc_co_u32_e32 v39, vcc, v40, v39, vcc
	global_load_dwordx4 v[53:56], v[38:39], off offset:48
	global_load_dwordx4 v[57:60], v[38:39], off offset:32
	;; [unrolled: 1-line block ×3, first 2 shown]
	global_load_dwordx4 v[65:68], v[38:39], off
	s_waitcnt vmcnt(0)
	v_fma_f64 v[17:18], v[49:50], v[65:66], v[17:18]
	v_fma_f64 v[19:20], v[65:66], 0, v[19:20]
	;; [unrolled: 1-line block ×33, first 2 shown]
	global_load_dwordx4 v[17:20], v[13:14], off offset:3184
	global_load_dwordx4 v[24:27], v[13:14], off offset:3168
	global_load_dwordx4 v[28:31], v[13:14], off offset:3152
	global_load_dwordx4 v[32:35], v[13:14], off offset:3136
	v_add_co_u32_e32 v13, vcc, s11, v13
	v_addc_co_u32_e32 v14, vcc, 0, v14, vcc
	v_add_co_u32_e32 v9, vcc, 32, v9
	v_addc_co_u32_e32 v10, vcc, 0, v10, vcc
	;; [unrolled: 2-line block ×3, first 2 shown]
	v_cmp_ge_i64_e32 vcc, v[9:10], v[11:12]
	s_or_b64 s[6:7], vcc, s[6:7]
	s_waitcnt vmcnt(0)
	v_fma_f64 v[38:39], v[32:33], v[57:58], v[38:39]
	v_fma_f64 v[32:33], v[32:33], v[59:60], v[41:42]
	;; [unrolled: 1-line block ×31, first 2 shown]
	s_andn2_b64 exec, exec, s[6:7]
	s_cbranch_execnz .LBB141_31
; %bb.32:
	s_or_b64 exec, exec, s[6:7]
.LBB141_33:
	s_or_b64 exec, exec, s[0:1]
.LBB141_34:
	s_or_b64 exec, exec, s[2:3]
.LBB141_35:
	v_mov_b32_dpp v9, v30 row_shr:1 row_mask:0xf bank_mask:0xf
	v_mov_b32_dpp v10, v31 row_shr:1 row_mask:0xf bank_mask:0xf
	v_add_f64 v[9:10], v[30:31], v[9:10]
	v_mov_b32_dpp v11, v24 row_shr:1 row_mask:0xf bank_mask:0xf
	v_mov_b32_dpp v12, v25 row_shr:1 row_mask:0xf bank_mask:0xf
	;; [unrolled: 1-line block ×4, first 2 shown]
	v_add_f64 v[11:12], v[24:25], v[11:12]
	v_add_f64 v[13:14], v[28:29], v[13:14]
	v_mov_b32_dpp v17, v26 row_shr:1 row_mask:0xf bank_mask:0xf
	v_mov_b32_dpp v18, v27 row_shr:1 row_mask:0xf bank_mask:0xf
	v_add_f64 v[17:18], v[26:27], v[17:18]
	v_mov_b32_dpp v15, v9 row_shr:2 row_mask:0xf bank_mask:0xf
	v_mov_b32_dpp v16, v10 row_shr:2 row_mask:0xf bank_mask:0xf
	;; [unrolled: 3-line block ×14, first 2 shown]
	v_mov_b32_dpp v22, v11 row_shr:4 row_mask:0xf bank_mask:0xe
	v_mov_b32_dpp v23, v12 row_shr:4 row_mask:0xf bank_mask:0xe
	;; [unrolled: 1-line block ×14, first 2 shown]
	v_cmp_eq_u32_e32 vcc, 7, v0
	s_and_b64 exec, exec, vcc
	s_cbranch_execz .LBB141_8
; %bb.36:
	v_add_f64 v[11:12], v[11:12], v[22:23]
	v_add_f64 v[22:23], v[13:14], v[19:20]
	;; [unrolled: 1-line block ×8, first 2 shown]
	v_mul_f64 v[19:20], v[11:12], -v[7:8]
	v_mul_f64 v[11:12], v[5:6], v[11:12]
	v_mul_f64 v[28:29], v[13:14], -v[7:8]
	v_mul_f64 v[30:31], v[5:6], v[13:14]
	;; [unrolled: 2-line block ×4, first 2 shown]
	v_cmp_eq_f64_e32 vcc, 0, v[1:2]
	v_cmp_eq_f64_e64 s[0:1], 0, v[3:4]
	v_fma_f64 v[17:18], v[5:6], v[9:10], v[19:20]
	v_fma_f64 v[19:20], v[7:8], v[9:10], v[11:12]
	;; [unrolled: 1-line block ×8, first 2 shown]
	s_load_dwordx2 s[2:3], s[4:5], 0x60
	s_and_b64 s[0:1], vcc, s[0:1]
	v_lshlrev_b32_e32 v21, 2, v21
	s_and_saveexec_b64 s[4:5], s[0:1]
	s_xor_b64 s[0:1], exec, s[4:5]
	s_cbranch_execz .LBB141_38
; %bb.37:
	v_ashrrev_i32_e32 v22, 31, v21
	v_lshlrev_b64 v[0:1], 4, v[21:22]
	s_waitcnt lgkmcnt(0)
	v_mov_b32_e32 v2, s3
	v_add_co_u32_e32 v0, vcc, s2, v0
	v_addc_co_u32_e32 v1, vcc, v2, v1, vcc
	global_store_dwordx4 v[0:1], v[17:20], off
	global_store_dwordx4 v[0:1], v[13:16], off offset:16
	global_store_dwordx4 v[0:1], v[9:12], off offset:32
	;; [unrolled: 1-line block ×3, first 2 shown]
                                        ; implicit-def: $vgpr3_vgpr4
                                        ; implicit-def: $vgpr17_vgpr18
                                        ; implicit-def: $vgpr21
                                        ; implicit-def: $vgpr13_vgpr14
                                        ; implicit-def: $vgpr9_vgpr10
                                        ; implicit-def: $vgpr5_vgpr6
.LBB141_38:
	s_andn2_saveexec_b64 s[0:1], s[0:1]
	s_cbranch_execz .LBB141_8
; %bb.39:
	v_ashrrev_i32_e32 v22, 31, v21
	v_lshlrev_b64 v[21:22], 4, v[21:22]
	s_waitcnt lgkmcnt(0)
	v_mov_b32_e32 v0, s3
	v_add_co_u32_e32 v37, vcc, s2, v21
	v_addc_co_u32_e32 v38, vcc, v0, v22, vcc
	global_load_dwordx4 v[21:24], v[37:38], off
	global_load_dwordx4 v[25:28], v[37:38], off offset:16
	global_load_dwordx4 v[29:32], v[37:38], off offset:32
	global_load_dwordx4 v[33:36], v[37:38], off offset:48
	s_waitcnt vmcnt(3)
	v_fma_f64 v[17:18], v[1:2], v[21:22], v[17:18]
	v_fma_f64 v[19:20], v[3:4], v[21:22], v[19:20]
	s_waitcnt vmcnt(2)
	v_fma_f64 v[13:14], v[1:2], v[25:26], v[13:14]
	v_fma_f64 v[15:16], v[3:4], v[25:26], v[15:16]
	;; [unrolled: 3-line block ×4, first 2 shown]
	v_fma_f64 v[5:6], -v[3:4], v[23:24], v[17:18]
	v_fma_f64 v[7:8], v[1:2], v[23:24], v[19:20]
	v_fma_f64 v[9:10], -v[3:4], v[27:28], v[13:14]
	v_fma_f64 v[11:12], v[1:2], v[27:28], v[15:16]
	;; [unrolled: 2-line block ×4, first 2 shown]
	global_store_dwordx4 v[37:38], v[5:8], off
	global_store_dwordx4 v[37:38], v[9:12], off offset:16
	global_store_dwordx4 v[37:38], v[13:16], off offset:32
	;; [unrolled: 1-line block ×3, first 2 shown]
	s_endpgm
	.section	.rodata,"a",@progbits
	.p2align	6, 0x0
	.amdhsa_kernel _ZN9rocsparseL18bsrxmvn_4x4_kernelILj128ELj8E21rocsparse_complex_numIdElidS2_S2_EEvT3_20rocsparse_direction_NS_24const_host_device_scalarIT1_EES3_PKS3_PKT2_SC_S9_PKT4_PKT5_S7_PT6_21rocsparse_index_base_b
		.amdhsa_group_segment_fixed_size 0
		.amdhsa_private_segment_fixed_size 0
		.amdhsa_kernarg_size 112
		.amdhsa_user_sgpr_count 6
		.amdhsa_user_sgpr_private_segment_buffer 1
		.amdhsa_user_sgpr_dispatch_ptr 0
		.amdhsa_user_sgpr_queue_ptr 0
		.amdhsa_user_sgpr_kernarg_segment_ptr 1
		.amdhsa_user_sgpr_dispatch_id 0
		.amdhsa_user_sgpr_flat_scratch_init 0
		.amdhsa_user_sgpr_private_segment_size 0
		.amdhsa_uses_dynamic_stack 0
		.amdhsa_system_sgpr_private_segment_wavefront_offset 0
		.amdhsa_system_sgpr_workgroup_id_x 1
		.amdhsa_system_sgpr_workgroup_id_y 0
		.amdhsa_system_sgpr_workgroup_id_z 0
		.amdhsa_system_sgpr_workgroup_info 0
		.amdhsa_system_vgpr_workitem_id 0
		.amdhsa_next_free_vgpr 85
		.amdhsa_next_free_sgpr 24
		.amdhsa_reserve_vcc 1
		.amdhsa_reserve_flat_scratch 0
		.amdhsa_float_round_mode_32 0
		.amdhsa_float_round_mode_16_64 0
		.amdhsa_float_denorm_mode_32 3
		.amdhsa_float_denorm_mode_16_64 3
		.amdhsa_dx10_clamp 1
		.amdhsa_ieee_mode 1
		.amdhsa_fp16_overflow 0
		.amdhsa_exception_fp_ieee_invalid_op 0
		.amdhsa_exception_fp_denorm_src 0
		.amdhsa_exception_fp_ieee_div_zero 0
		.amdhsa_exception_fp_ieee_overflow 0
		.amdhsa_exception_fp_ieee_underflow 0
		.amdhsa_exception_fp_ieee_inexact 0
		.amdhsa_exception_int_div_zero 0
	.end_amdhsa_kernel
	.section	.text._ZN9rocsparseL18bsrxmvn_4x4_kernelILj128ELj8E21rocsparse_complex_numIdElidS2_S2_EEvT3_20rocsparse_direction_NS_24const_host_device_scalarIT1_EES3_PKS3_PKT2_SC_S9_PKT4_PKT5_S7_PT6_21rocsparse_index_base_b,"axG",@progbits,_ZN9rocsparseL18bsrxmvn_4x4_kernelILj128ELj8E21rocsparse_complex_numIdElidS2_S2_EEvT3_20rocsparse_direction_NS_24const_host_device_scalarIT1_EES3_PKS3_PKT2_SC_S9_PKT4_PKT5_S7_PT6_21rocsparse_index_base_b,comdat
.Lfunc_end141:
	.size	_ZN9rocsparseL18bsrxmvn_4x4_kernelILj128ELj8E21rocsparse_complex_numIdElidS2_S2_EEvT3_20rocsparse_direction_NS_24const_host_device_scalarIT1_EES3_PKS3_PKT2_SC_S9_PKT4_PKT5_S7_PT6_21rocsparse_index_base_b, .Lfunc_end141-_ZN9rocsparseL18bsrxmvn_4x4_kernelILj128ELj8E21rocsparse_complex_numIdElidS2_S2_EEvT3_20rocsparse_direction_NS_24const_host_device_scalarIT1_EES3_PKS3_PKT2_SC_S9_PKT4_PKT5_S7_PT6_21rocsparse_index_base_b
                                        ; -- End function
	.set _ZN9rocsparseL18bsrxmvn_4x4_kernelILj128ELj8E21rocsparse_complex_numIdElidS2_S2_EEvT3_20rocsparse_direction_NS_24const_host_device_scalarIT1_EES3_PKS3_PKT2_SC_S9_PKT4_PKT5_S7_PT6_21rocsparse_index_base_b.num_vgpr, 85
	.set _ZN9rocsparseL18bsrxmvn_4x4_kernelILj128ELj8E21rocsparse_complex_numIdElidS2_S2_EEvT3_20rocsparse_direction_NS_24const_host_device_scalarIT1_EES3_PKS3_PKT2_SC_S9_PKT4_PKT5_S7_PT6_21rocsparse_index_base_b.num_agpr, 0
	.set _ZN9rocsparseL18bsrxmvn_4x4_kernelILj128ELj8E21rocsparse_complex_numIdElidS2_S2_EEvT3_20rocsparse_direction_NS_24const_host_device_scalarIT1_EES3_PKS3_PKT2_SC_S9_PKT4_PKT5_S7_PT6_21rocsparse_index_base_b.numbered_sgpr, 24
	.set _ZN9rocsparseL18bsrxmvn_4x4_kernelILj128ELj8E21rocsparse_complex_numIdElidS2_S2_EEvT3_20rocsparse_direction_NS_24const_host_device_scalarIT1_EES3_PKS3_PKT2_SC_S9_PKT4_PKT5_S7_PT6_21rocsparse_index_base_b.num_named_barrier, 0
	.set _ZN9rocsparseL18bsrxmvn_4x4_kernelILj128ELj8E21rocsparse_complex_numIdElidS2_S2_EEvT3_20rocsparse_direction_NS_24const_host_device_scalarIT1_EES3_PKS3_PKT2_SC_S9_PKT4_PKT5_S7_PT6_21rocsparse_index_base_b.private_seg_size, 0
	.set _ZN9rocsparseL18bsrxmvn_4x4_kernelILj128ELj8E21rocsparse_complex_numIdElidS2_S2_EEvT3_20rocsparse_direction_NS_24const_host_device_scalarIT1_EES3_PKS3_PKT2_SC_S9_PKT4_PKT5_S7_PT6_21rocsparse_index_base_b.uses_vcc, 1
	.set _ZN9rocsparseL18bsrxmvn_4x4_kernelILj128ELj8E21rocsparse_complex_numIdElidS2_S2_EEvT3_20rocsparse_direction_NS_24const_host_device_scalarIT1_EES3_PKS3_PKT2_SC_S9_PKT4_PKT5_S7_PT6_21rocsparse_index_base_b.uses_flat_scratch, 0
	.set _ZN9rocsparseL18bsrxmvn_4x4_kernelILj128ELj8E21rocsparse_complex_numIdElidS2_S2_EEvT3_20rocsparse_direction_NS_24const_host_device_scalarIT1_EES3_PKS3_PKT2_SC_S9_PKT4_PKT5_S7_PT6_21rocsparse_index_base_b.has_dyn_sized_stack, 0
	.set _ZN9rocsparseL18bsrxmvn_4x4_kernelILj128ELj8E21rocsparse_complex_numIdElidS2_S2_EEvT3_20rocsparse_direction_NS_24const_host_device_scalarIT1_EES3_PKS3_PKT2_SC_S9_PKT4_PKT5_S7_PT6_21rocsparse_index_base_b.has_recursion, 0
	.set _ZN9rocsparseL18bsrxmvn_4x4_kernelILj128ELj8E21rocsparse_complex_numIdElidS2_S2_EEvT3_20rocsparse_direction_NS_24const_host_device_scalarIT1_EES3_PKS3_PKT2_SC_S9_PKT4_PKT5_S7_PT6_21rocsparse_index_base_b.has_indirect_call, 0
	.section	.AMDGPU.csdata,"",@progbits
; Kernel info:
; codeLenInByte = 9288
; TotalNumSgprs: 28
; NumVgprs: 85
; ScratchSize: 0
; MemoryBound: 0
; FloatMode: 240
; IeeeMode: 1
; LDSByteSize: 0 bytes/workgroup (compile time only)
; SGPRBlocks: 3
; VGPRBlocks: 21
; NumSGPRsForWavesPerEU: 28
; NumVGPRsForWavesPerEU: 85
; Occupancy: 2
; WaveLimiterHint : 1
; COMPUTE_PGM_RSRC2:SCRATCH_EN: 0
; COMPUTE_PGM_RSRC2:USER_SGPR: 6
; COMPUTE_PGM_RSRC2:TRAP_HANDLER: 0
; COMPUTE_PGM_RSRC2:TGID_X_EN: 1
; COMPUTE_PGM_RSRC2:TGID_Y_EN: 0
; COMPUTE_PGM_RSRC2:TGID_Z_EN: 0
; COMPUTE_PGM_RSRC2:TIDIG_COMP_CNT: 0
	.section	.text._ZN9rocsparseL18bsrxmvn_4x4_kernelILj128ELj16E21rocsparse_complex_numIdElidS2_S2_EEvT3_20rocsparse_direction_NS_24const_host_device_scalarIT1_EES3_PKS3_PKT2_SC_S9_PKT4_PKT5_S7_PT6_21rocsparse_index_base_b,"axG",@progbits,_ZN9rocsparseL18bsrxmvn_4x4_kernelILj128ELj16E21rocsparse_complex_numIdElidS2_S2_EEvT3_20rocsparse_direction_NS_24const_host_device_scalarIT1_EES3_PKS3_PKT2_SC_S9_PKT4_PKT5_S7_PT6_21rocsparse_index_base_b,comdat
	.globl	_ZN9rocsparseL18bsrxmvn_4x4_kernelILj128ELj16E21rocsparse_complex_numIdElidS2_S2_EEvT3_20rocsparse_direction_NS_24const_host_device_scalarIT1_EES3_PKS3_PKT2_SC_S9_PKT4_PKT5_S7_PT6_21rocsparse_index_base_b ; -- Begin function _ZN9rocsparseL18bsrxmvn_4x4_kernelILj128ELj16E21rocsparse_complex_numIdElidS2_S2_EEvT3_20rocsparse_direction_NS_24const_host_device_scalarIT1_EES3_PKS3_PKT2_SC_S9_PKT4_PKT5_S7_PT6_21rocsparse_index_base_b
	.p2align	8
	.type	_ZN9rocsparseL18bsrxmvn_4x4_kernelILj128ELj16E21rocsparse_complex_numIdElidS2_S2_EEvT3_20rocsparse_direction_NS_24const_host_device_scalarIT1_EES3_PKS3_PKT2_SC_S9_PKT4_PKT5_S7_PT6_21rocsparse_index_base_b,@function
_ZN9rocsparseL18bsrxmvn_4x4_kernelILj128ELj16E21rocsparse_complex_numIdElidS2_S2_EEvT3_20rocsparse_direction_NS_24const_host_device_scalarIT1_EES3_PKS3_PKT2_SC_S9_PKT4_PKT5_S7_PT6_21rocsparse_index_base_b: ; @_ZN9rocsparseL18bsrxmvn_4x4_kernelILj128ELj16E21rocsparse_complex_numIdElidS2_S2_EEvT3_20rocsparse_direction_NS_24const_host_device_scalarIT1_EES3_PKS3_PKT2_SC_S9_PKT4_PKT5_S7_PT6_21rocsparse_index_base_b
; %bb.0:
	s_load_dwordx2 s[0:1], s[4:5], 0x8
	s_load_dwordx2 s[16:17], s[4:5], 0x68
	s_add_u32 s7, s4, 8
	s_addc_u32 s8, s5, 0
	s_add_u32 s9, s4, 0x50
	s_addc_u32 s10, s5, 0
	s_waitcnt lgkmcnt(0)
	s_bitcmp1_b32 s17, 0
	s_cselect_b32 s1, s8, s1
	s_cselect_b32 s0, s7, s0
	v_mov_b32_e32 v1, s0
	v_mov_b32_e32 v2, s1
	flat_load_dwordx4 v[5:8], v[1:2]
	s_load_dwordx2 s[2:3], s[4:5], 0x50
	s_waitcnt lgkmcnt(0)
	s_cselect_b32 s0, s10, s3
	s_cselect_b32 s1, s9, s2
	v_mov_b32_e32 v1, s1
	v_mov_b32_e32 v2, s0
	flat_load_dwordx4 v[1:4], v[1:2]
	s_waitcnt vmcnt(0)
	v_cmp_eq_f64_e32 vcc, 0, v[5:6]
	v_cmp_eq_f64_e64 s[0:1], 0, v[7:8]
	s_and_b64 s[8:9], vcc, s[0:1]
	s_mov_b64 s[0:1], -1
	s_and_saveexec_b64 s[2:3], s[8:9]
	s_cbranch_execz .LBB142_2
; %bb.1:
	s_waitcnt lgkmcnt(0)
	v_cmp_neq_f64_e32 vcc, 1.0, v[1:2]
	v_cmp_neq_f64_e64 s[0:1], 0, v[3:4]
	s_or_b64 s[0:1], vcc, s[0:1]
	s_orn2_b64 s[0:1], s[0:1], exec
.LBB142_2:
	s_or_b64 exec, exec, s[2:3]
	s_and_saveexec_b64 s[2:3], s[0:1]
	s_cbranch_execz .LBB142_8
; %bb.3:
	s_load_dwordx2 s[8:9], s[4:5], 0x20
	s_load_dwordx2 s[0:1], s[4:5], 0x0
	v_lshrrev_b32_e32 v9, 4, v0
	v_lshl_or_b32 v21, s6, 3, v9
	s_mov_b64 s[2:3], 0
	s_waitcnt lgkmcnt(0)
	s_cmp_lg_u64 s[8:9], 0
	s_cbranch_scc0 .LBB142_9
; %bb.4:
	s_load_dword s6, s[4:5], 0x18
                                        ; implicit-def: $vgpr9
	s_waitcnt lgkmcnt(0)
	v_cmp_gt_i32_e32 vcc, s6, v21
	s_and_saveexec_b64 s[6:7], vcc
	s_xor_b64 s[6:7], exec, s[6:7]
	s_cbranch_execz .LBB142_6
; %bb.5:
	v_ashrrev_i32_e32 v22, 31, v21
	v_lshlrev_b64 v[9:10], 2, v[21:22]
	v_mov_b32_e32 v11, s9
	v_add_co_u32_e32 v9, vcc, s8, v9
	v_addc_co_u32_e32 v10, vcc, v11, v10, vcc
	global_load_dword v9, v[9:10], off
	s_mov_b64 s[2:3], exec
	s_waitcnt vmcnt(0)
	v_subrev_u32_e32 v9, s16, v9
.LBB142_6:
	s_or_b64 exec, exec, s[6:7]
	s_branch .LBB142_10
.LBB142_7:
	v_cmp_gt_i32_e32 vcc, s0, v21
	s_andn2_b64 s[2:3], s[2:3], exec
	s_and_b64 s[6:7], vcc, exec
	s_or_b64 s[2:3], s[2:3], s[6:7]
	s_and_b64 exec, exec, s[2:3]
	s_cbranch_execnz .LBB142_11
.LBB142_8:
	s_endpgm
.LBB142_9:
                                        ; implicit-def: $vgpr9
	s_cbranch_execnz .LBB142_7
.LBB142_10:
	v_mov_b32_e32 v21, v9
	s_and_b64 exec, exec, s[2:3]
	s_cbranch_execz .LBB142_8
.LBB142_11:
	s_load_dwordx8 s[8:15], s[4:5], 0x28
	v_ashrrev_i32_e32 v22, 31, v21
	v_lshlrev_b64 v[9:10], 3, v[21:22]
	v_and_b32_e32 v0, 15, v0
	s_waitcnt lgkmcnt(0)
	v_mov_b32_e32 v12, s9
	v_add_co_u32_e32 v11, vcc, s8, v9
	v_addc_co_u32_e32 v12, vcc, v12, v10, vcc
	global_load_dwordx2 v[15:16], v[11:12], off
	v_add_co_u32_e32 v11, vcc, 8, v11
	v_addc_co_u32_e32 v12, vcc, 0, v12, vcc
	v_mov_b32_e32 v13, s11
	v_add_co_u32_e32 v9, vcc, s10, v9
	s_cmp_eq_u64 s[10:11], 0
	v_addc_co_u32_e32 v10, vcc, v13, v10, vcc
	s_cselect_b64 vcc, -1, 0
	v_cndmask_b32_e32 v10, v10, v12, vcc
	v_cndmask_b32_e32 v9, v9, v11, vcc
	global_load_dwordx2 v[11:12], v[9:10], off
	s_load_dwordx2 s[10:11], s[4:5], 0x48
	v_mov_b32_e32 v17, s15
	s_cmp_eq_u32 s1, 1
	s_waitcnt vmcnt(1)
	v_subrev_co_u32_e32 v9, vcc, s16, v15
	v_subbrev_co_u32_e32 v10, vcc, 0, v16, vcc
	v_add_co_u32_e32 v9, vcc, v9, v0
	v_addc_co_u32_e32 v10, vcc, 0, v10, vcc
	v_lshlrev_b64 v[13:14], 7, v[9:10]
	s_waitcnt vmcnt(0)
	v_subrev_co_u32_e32 v11, vcc, s16, v11
	v_subbrev_co_u32_e32 v12, vcc, 0, v12, vcc
	v_cmp_lt_i64_e64 s[0:1], v[9:10], v[11:12]
	v_add_co_u32_e32 v13, vcc, s14, v13
	v_addc_co_u32_e32 v14, vcc, v17, v14, vcc
	s_cbranch_scc1 .LBB142_23
; %bb.12:
	v_mov_b32_e32 v32, 0
	v_mov_b32_e32 v36, 0
	;; [unrolled: 1-line block ×16, first 2 shown]
	s_and_saveexec_b64 s[14:15], s[0:1]
	s_cbranch_execz .LBB142_22
; %bb.13:
	v_or_b32_e32 v17, 16, v0
	v_subrev_co_u32_e32 v17, vcc, s16, v17
	v_subb_co_u32_e64 v18, s[2:3], 0, 0, vcc
	v_add_co_u32_e32 v17, vcc, v17, v15
	v_addc_co_u32_e32 v18, vcc, v18, v16, vcc
	v_cmp_gt_i64_e32 vcc, v[17:18], v[11:12]
	v_not_b32_e32 v20, v15
	v_cndmask_b32_e32 v18, v12, v18, vcc
	v_cndmask_b32_e32 v17, v11, v17, vcc
	v_sub_co_u32_e32 v22, vcc, s16, v0
	v_not_b32_e32 v19, v16
	v_subb_co_u32_e64 v23, s[2:3], 0, 0, vcc
	v_add_co_u32_e32 v20, vcc, v22, v20
	v_addc_co_u32_e32 v19, vcc, v23, v19, vcc
	v_add_co_u32_e32 v22, vcc, v20, v17
	v_addc_co_u32_e32 v23, vcc, v19, v18, vcc
	v_and_b32_e32 v17, 48, v22
	v_mov_b32_e32 v18, 0
	v_cmp_ne_u64_e32 vcc, 48, v[17:18]
	v_mov_b32_e32 v26, 0
	v_mov_b32_e32 v24, 0
	v_mov_b32_e32 v38, 0
	v_mov_b32_e32 v34, 0
	v_mov_b32_e32 v30, 0
	v_mov_b32_e32 v28, 0
	v_mov_b32_e32 v36, 0
	v_mov_b32_e32 v32, 0
	v_mov_b32_e32 v20, v14
	v_mov_b32_e32 v18, v10
	v_mov_b32_e32 v27, 0
	v_mov_b32_e32 v25, 0
	v_mov_b32_e32 v39, 0
	v_mov_b32_e32 v35, 0
	v_mov_b32_e32 v31, 0
	v_mov_b32_e32 v29, 0
	v_mov_b32_e32 v37, 0
	v_mov_b32_e32 v33, 0
	v_mov_b32_e32 v19, v13
	v_mov_b32_e32 v17, v9
	s_and_saveexec_b64 s[18:19], vcc
	s_cbranch_execz .LBB142_17
; %bb.14:
	v_lshrrev_b32_e32 v17, 4, v22
	v_add_u32_e32 v17, 1, v17
	v_and_b32_e32 v19, 3, v17
	v_lshlrev_b64 v[17:18], 2, v[9:10]
	v_mov_b32_e32 v20, s13
	v_add_co_u32_e32 v40, vcc, s12, v17
	v_addc_co_u32_e32 v41, vcc, v20, v18, vcc
	v_sub_co_u32_e32 v42, vcc, 0, v19
	v_mov_b32_e32 v32, 0
	s_mov_b32 s22, 0
	v_mov_b32_e32 v18, v10
	v_mov_b32_e32 v36, 0
	;; [unrolled: 1-line block ×9, first 2 shown]
	s_mov_b64 s[20:21], 0
	v_subb_co_u32_e64 v43, s[2:3], 0, 0, vcc
	v_mov_b32_e32 v33, 0
	s_brev_b32 s23, 1
	s_movk_i32 s17, 0x800
	s_waitcnt lgkmcnt(0)
	v_mov_b32_e32 v44, s11
	v_mov_b32_e32 v17, v9
	;; [unrolled: 1-line block ×10, first 2 shown]
.LBB142_15:                             ; =>This Inner Loop Header: Depth=1
	global_load_dword v65, v[40:41], off
	global_load_dwordx4 v[45:48], v[19:20], off offset:32
	global_load_dwordx4 v[49:52], v[19:20], off
	global_load_dwordx4 v[53:56], v[19:20], off offset:64
	global_load_dwordx4 v[57:60], v[19:20], off offset:96
	;; [unrolled: 1-line block ×3, first 2 shown]
	v_add_co_u32_e64 v17, s[2:3], 16, v17
	v_add_co_u32_e64 v40, s[6:7], 64, v40
	;; [unrolled: 1-line block ×3, first 2 shown]
	v_addc_co_u32_e64 v18, s[2:3], 0, v18, s[2:3]
	v_addc_co_u32_e64 v41, s[2:3], 0, v41, s[6:7]
	;; [unrolled: 1-line block ×3, first 2 shown]
	v_cmp_eq_u64_e64 s[2:3], 0, v[42:43]
	s_or_b64 s[20:21], s[2:3], s[20:21]
	s_waitcnt vmcnt(5)
	v_subrev_u32_e32 v65, s16, v65
	v_lshlrev_b32_e32 v65, 2, v65
	v_ashrrev_i32_e32 v66, 31, v65
	v_lshlrev_b64 v[65:66], 4, v[65:66]
	v_add_co_u32_e32 v69, vcc, s10, v65
	v_addc_co_u32_e32 v70, vcc, v44, v66, vcc
	global_load_dwordx4 v[65:68], v[69:70], off
	s_waitcnt vmcnt(0)
	v_fma_f64 v[26:27], v[57:58], v[65:66], v[26:27]
	v_fma_f64 v[24:25], v[65:66], 0, v[24:25]
	;; [unrolled: 1-line block ×10, first 2 shown]
	global_load_dwordx4 v[24:27], v[69:70], off offset:16
	v_fma_f64 v[36:37], v[67:68], s[22:23], v[36:37]
	v_fma_f64 v[32:33], v[49:50], v[67:68], v[32:33]
	;; [unrolled: 1-line block ×6, first 2 shown]
	s_waitcnt vmcnt(0)
	v_fma_f64 v[67:68], v[51:52], v[24:25], v[36:37]
	v_fma_f64 v[36:37], v[24:25], 0, v[53:54]
	;; [unrolled: 1-line block ×9, first 2 shown]
	global_load_dwordx4 v[28:31], v[19:20], off offset:16
	v_fma_f64 v[75:76], v[47:48], v[26:27], v[32:33]
	global_load_dwordx4 v[32:35], v[19:20], off offset:80
	global_load_dwordx4 v[45:48], v[19:20], off offset:112
	v_fma_f64 v[24:25], v[59:60], v[24:25], v[65:66]
	v_fma_f64 v[65:66], v[26:27], s[22:23], v[73:74]
	;; [unrolled: 1-line block ×3, first 2 shown]
	global_load_dwordx4 v[36:39], v[69:70], off offset:32
	global_load_dwordx4 v[49:52], v[69:70], off offset:48
	v_fma_f64 v[59:60], v[26:27], s[22:23], v[67:68]
	v_fma_f64 v[53:54], v[26:27], s[22:23], v[53:54]
	v_add_co_u32_e32 v19, vcc, s17, v19
	v_fma_f64 v[24:25], v[26:27], s[22:23], v[24:25]
	v_addc_co_u32_e32 v20, vcc, 0, v20, vcc
	s_waitcnt vmcnt(1)
	v_fma_f64 v[26:27], v[36:37], 0, v[71:72]
	v_fma_f64 v[59:60], v[28:29], v[36:37], v[59:60]
	;; [unrolled: 1-line block ×16, first 2 shown]
	s_waitcnt vmcnt(0)
	v_fma_f64 v[26:27], v[49:50], 0, v[26:27]
	v_fma_f64 v[28:29], v[30:31], v[49:50], v[28:29]
	;; [unrolled: 1-line block ×16, first 2 shown]
	s_andn2_b64 exec, exec, s[20:21]
	s_cbranch_execnz .LBB142_15
; %bb.16:
	s_or_b64 exec, exec, s[20:21]
.LBB142_17:
	s_or_b64 exec, exec, s[18:19]
	v_cmp_lt_u64_e32 vcc, 47, v[22:23]
	s_and_saveexec_b64 s[6:7], vcc
	s_cbranch_execz .LBB142_21
; %bb.18:
	v_lshlrev_b64 v[22:23], 2, v[17:18]
	v_mov_b32_e32 v40, s13
	v_add_co_u32_e32 v22, vcc, s12, v22
	v_addc_co_u32_e32 v23, vcc, v40, v23, vcc
	v_add_co_u32_e32 v22, vcc, 0x80, v22
	s_mov_b32 s18, 0
	v_addc_co_u32_e32 v23, vcc, 0, v23, vcc
	s_mov_b64 s[8:9], 0
	s_waitcnt lgkmcnt(0)
	v_mov_b32_e32 v46, s11
	s_brev_b32 s19, 1
	s_movk_i32 s17, 0x1000
.LBB142_19:                             ; =>This Inner Loop Header: Depth=1
	global_load_dword v40, v[22:23], off offset:-128
	s_waitcnt vmcnt(0)
	v_subrev_u32_e32 v40, s16, v40
	v_lshlrev_b32_e32 v44, 2, v40
	v_ashrrev_i32_e32 v45, 31, v44
	v_lshlrev_b64 v[44:45], 4, v[44:45]
	global_load_dwordx4 v[40:43], v[19:20], off offset:48
	global_load_dwordx4 v[47:50], v[19:20], off offset:32
	;; [unrolled: 1-line block ×3, first 2 shown]
	global_load_dwordx4 v[55:58], v[19:20], off
	v_add_co_u32_e32 v44, vcc, s10, v44
	v_addc_co_u32_e32 v45, vcc, v46, v45, vcc
	global_load_dwordx4 v[59:62], v[44:45], off offset:48
	global_load_dwordx4 v[63:66], v[44:45], off offset:32
	;; [unrolled: 1-line block ×3, first 2 shown]
	global_load_dwordx4 v[71:74], v[44:45], off
	s_waitcnt vmcnt(0)
	v_fma_f64 v[32:33], v[71:72], 0, v[32:33]
	v_fma_f64 v[30:31], v[47:48], v[71:72], v[30:31]
	;; [unrolled: 1-line block ×33, first 2 shown]
	global_load_dwordx4 v[28:31], v[19:20], off offset:112
	global_load_dwordx4 v[40:43], v[19:20], off offset:96
	;; [unrolled: 1-line block ×4, first 2 shown]
	v_fma_f64 v[44:45], v[61:62], s[18:19], v[36:37]
	s_waitcnt vmcnt(2)
	v_fma_f64 v[26:27], v[40:41], v[71:72], v[26:27]
	v_fma_f64 v[24:25], v[40:41], v[73:74], v[24:25]
	s_waitcnt vmcnt(0)
	v_fma_f64 v[32:33], v[51:52], v[71:72], v[38:39]
	v_fma_f64 v[34:35], v[51:52], v[73:74], v[34:35]
	;; [unrolled: 1-line block ×27, first 2 shown]
	global_load_dword v24, v[22:23], off offset:-64
	v_fma_f64 v[83:84], v[49:50], v[61:62], v[32:33]
	s_waitcnt vmcnt(0)
	v_subrev_u32_e32 v24, s16, v24
	v_lshlrev_b32_e32 v40, 2, v24
	v_ashrrev_i32_e32 v41, 31, v40
	v_lshlrev_b64 v[40:41], 4, v[40:41]
	global_load_dwordx4 v[24:27], v[19:20], off offset:2096
	global_load_dwordx4 v[28:31], v[19:20], off offset:2080
	;; [unrolled: 1-line block ×4, first 2 shown]
	v_add_co_u32_e32 v61, vcc, s10, v40
	v_addc_co_u32_e32 v62, vcc, v46, v41, vcc
	global_load_dwordx4 v[40:43], v[61:62], off offset:48
	global_load_dwordx4 v[47:50], v[61:62], off offset:32
	;; [unrolled: 1-line block ×3, first 2 shown]
	global_load_dwordx4 v[55:58], v[61:62], off
	s_waitcnt vmcnt(0)
	v_fma_f64 v[61:62], v[55:56], 0, v[75:76]
	v_fma_f64 v[44:45], v[36:37], v[55:56], v[44:45]
	;; [unrolled: 1-line block ×33, first 2 shown]
	global_load_dwordx4 v[24:27], v[19:20], off offset:2160
	global_load_dwordx4 v[28:31], v[19:20], off offset:2144
	;; [unrolled: 1-line block ×4, first 2 shown]
	s_waitcnt vmcnt(0)
	v_fma_f64 v[61:62], v[36:37], v[55:56], v[81:82]
	v_fma_f64 v[36:37], v[36:37], v[57:58], v[71:72]
	;; [unrolled: 1-line block ×30, first 2 shown]
	global_load_dword v26, v[22:23], off
	v_add_co_u32_e32 v24, vcc, s17, v19
	v_addc_co_u32_e32 v25, vcc, 0, v20, vcc
	v_fma_f64 v[75:76], v[42:43], s[18:19], v[28:29]
	s_waitcnt vmcnt(0)
	v_subrev_u32_e32 v26, s16, v26
	v_lshlrev_b32_e32 v30, 2, v26
	v_ashrrev_i32_e32 v31, 31, v30
	v_lshlrev_b64 v[30:31], 4, v[30:31]
	global_load_dwordx4 v[26:29], v[24:25], off
	global_load_dwordx4 v[32:35], v[24:25], off offset:48
	global_load_dwordx4 v[36:39], v[24:25], off offset:32
	;; [unrolled: 1-line block ×3, first 2 shown]
	v_add_co_u32_e32 v30, vcc, s10, v30
	v_addc_co_u32_e32 v31, vcc, v46, v31, vcc
	global_load_dwordx4 v[47:50], v[30:31], off offset:48
	global_load_dwordx4 v[51:54], v[30:31], off offset:32
	;; [unrolled: 1-line block ×3, first 2 shown]
	global_load_dwordx4 v[59:62], v[30:31], off
	s_waitcnt vmcnt(0)
	v_fma_f64 v[30:31], v[26:27], v[59:60], v[44:45]
	v_fma_f64 v[44:45], v[59:60], 0, v[65:66]
	;; [unrolled: 1-line block ×33, first 2 shown]
	global_load_dwordx4 v[40:43], v[24:25], off offset:112
	global_load_dwordx4 v[63:66], v[24:25], off offset:96
	;; [unrolled: 1-line block ×4, first 2 shown]
	s_waitcnt vmcnt(0)
	v_fma_f64 v[26:27], v[67:68], v[59:60], v[71:72]
	v_fma_f64 v[36:37], v[67:68], v[61:62], v[36:37]
	;; [unrolled: 1-line block ×31, first 2 shown]
	global_load_dword v32, v[22:23], off offset:64
	global_load_dwordx4 v[47:50], v[24:25], off offset:2096
	global_load_dwordx4 v[51:54], v[24:25], off offset:2080
	;; [unrolled: 1-line block ×4, first 2 shown]
	s_waitcnt vmcnt(4)
	v_subrev_u32_e32 v32, s16, v32
	v_lshlrev_b32_e32 v32, 2, v32
	v_ashrrev_i32_e32 v33, 31, v32
	v_lshlrev_b64 v[32:33], 4, v[32:33]
	v_add_co_u32_e32 v32, vcc, s10, v32
	v_addc_co_u32_e32 v33, vcc, v46, v33, vcc
	global_load_dwordx4 v[63:66], v[32:33], off offset:48
	global_load_dwordx4 v[67:70], v[32:33], off offset:32
	;; [unrolled: 1-line block ×3, first 2 shown]
	global_load_dwordx4 v[75:78], v[32:33], off
	v_add_co_u32_e32 v17, vcc, 64, v17
	v_addc_co_u32_e32 v18, vcc, 0, v18, vcc
	v_add_co_u32_e32 v22, vcc, 0x100, v22
	v_addc_co_u32_e32 v23, vcc, 0, v23, vcc
	v_cmp_ge_i64_e64 s[2:3], v[17:18], v[11:12]
	v_add_co_u32_e32 v19, vcc, 0x2000, v19
	v_addc_co_u32_e32 v20, vcc, 0, v20, vcc
	s_or_b64 s[8:9], s[2:3], s[8:9]
	s_waitcnt vmcnt(0)
	v_fma_f64 v[28:29], v[59:60], v[75:76], v[28:29]
	v_fma_f64 v[30:31], v[75:76], 0, v[30:31]
	;; [unrolled: 1-line block ×32, first 2 shown]
	global_load_dwordx4 v[47:50], v[24:25], off offset:2160
	global_load_dwordx4 v[51:54], v[24:25], off offset:2144
	;; [unrolled: 1-line block ×4, first 2 shown]
	s_waitcnt vmcnt(0)
	v_fma_f64 v[24:25], v[59:60], v[75:76], v[26:27]
	v_fma_f64 v[26:27], v[75:76], 0, v[34:35]
	;; [unrolled: 1-line block ×32, first 2 shown]
	s_andn2_b64 exec, exec, s[8:9]
	s_cbranch_execnz .LBB142_19
; %bb.20:
	s_or_b64 exec, exec, s[8:9]
.LBB142_21:
	s_or_b64 exec, exec, s[6:7]
.LBB142_22:
	s_or_b64 exec, exec, s[14:15]
	s_cbranch_execz .LBB142_24
	s_branch .LBB142_35
.LBB142_23:
                                        ; implicit-def: $vgpr32_vgpr33
                                        ; implicit-def: $vgpr36_vgpr37
                                        ; implicit-def: $vgpr28_vgpr29
                                        ; implicit-def: $vgpr30_vgpr31
                                        ; implicit-def: $vgpr34_vgpr35
                                        ; implicit-def: $vgpr38_vgpr39
                                        ; implicit-def: $vgpr24_vgpr25
                                        ; implicit-def: $vgpr26_vgpr27
.LBB142_24:
	v_mov_b32_e32 v32, 0
	v_mov_b32_e32 v36, 0
	v_mov_b32_e32 v28, 0
	v_mov_b32_e32 v30, 0
	v_mov_b32_e32 v34, 0
	v_mov_b32_e32 v38, 0
	v_mov_b32_e32 v24, 0
	v_mov_b32_e32 v26, 0
	v_mov_b32_e32 v33, 0
	v_mov_b32_e32 v37, 0
	v_mov_b32_e32 v29, 0
	v_mov_b32_e32 v31, 0
	v_mov_b32_e32 v35, 0
	v_mov_b32_e32 v39, 0
	v_mov_b32_e32 v25, 0
	v_mov_b32_e32 v27, 0
	s_and_saveexec_b64 s[2:3], s[0:1]
	s_cbranch_execz .LBB142_34
; %bb.25:
	v_or_b32_e32 v17, 16, v0
	v_subrev_co_u32_e32 v17, vcc, s16, v17
	v_subb_co_u32_e64 v18, s[0:1], 0, 0, vcc
	v_add_co_u32_e32 v17, vcc, v17, v15
	v_addc_co_u32_e32 v18, vcc, v18, v16, vcc
	v_cmp_gt_i64_e32 vcc, v[17:18], v[11:12]
	v_not_b32_e32 v15, v15
	v_cndmask_b32_e32 v18, v12, v18, vcc
	v_cndmask_b32_e32 v17, v11, v17, vcc
	v_sub_co_u32_e32 v19, vcc, s16, v0
	v_not_b32_e32 v16, v16
	v_subb_co_u32_e64 v20, s[0:1], 0, 0, vcc
	v_add_co_u32_e32 v15, vcc, v19, v15
	v_addc_co_u32_e32 v16, vcc, v20, v16, vcc
	v_add_co_u32_e32 v15, vcc, v15, v17
	v_addc_co_u32_e32 v16, vcc, v16, v18, vcc
	v_and_b32_e32 v17, 48, v15
	v_mov_b32_e32 v18, 0
	v_cmp_ne_u64_e32 vcc, 48, v[17:18]
	v_mov_b32_e32 v26, 0
	v_mov_b32_e32 v24, 0
	;; [unrolled: 1-line block ×16, first 2 shown]
	s_and_saveexec_b64 s[0:1], vcc
	s_cbranch_execz .LBB142_29
; %bb.26:
	v_lshrrev_b32_e32 v17, 4, v15
	v_add_u32_e32 v17, 1, v17
	v_and_b32_e32 v19, 3, v17
	v_lshlrev_b64 v[17:18], 2, v[9:10]
	v_mov_b32_e32 v20, s13
	v_add_co_u32_e32 v17, vcc, s12, v17
	v_addc_co_u32_e32 v18, vcc, v20, v18, vcc
	v_sub_co_u32_e32 v19, vcc, 0, v19
	v_subb_co_u32_e64 v20, s[8:9], 0, 0, vcc
	v_mov_b32_e32 v32, 0
	s_mov_b32 s8, 0
	v_mov_b32_e32 v36, 0
	v_mov_b32_e32 v28, 0
	;; [unrolled: 1-line block ×7, first 2 shown]
	s_mov_b64 s[6:7], 0
	v_mov_b32_e32 v33, 0
	s_brev_b32 s9, 1
	s_movk_i32 s14, 0x800
	v_mov_b32_e32 v37, 0
	v_mov_b32_e32 v29, 0
	;; [unrolled: 1-line block ×7, first 2 shown]
	s_waitcnt lgkmcnt(0)
	v_mov_b32_e32 v22, s11
.LBB142_27:                             ; =>This Inner Loop Header: Depth=1
	global_load_dword v23, v[17:18], off
	global_load_dwordx4 v[40:43], v[13:14], off offset:48
	global_load_dwordx4 v[44:47], v[13:14], off offset:32
	global_load_dwordx4 v[48:51], v[13:14], off offset:16
	global_load_dwordx4 v[52:55], v[13:14], off
	s_waitcnt vmcnt(4)
	v_subrev_u32_e32 v23, s16, v23
	v_lshlrev_b32_e32 v56, 2, v23
	v_ashrrev_i32_e32 v57, 31, v56
	v_lshlrev_b64 v[56:57], 4, v[56:57]
	v_add_co_u32_e32 v72, vcc, s10, v56
	v_addc_co_u32_e32 v73, vcc, v22, v57, vcc
	global_load_dwordx4 v[56:59], v[72:73], off offset:48
	global_load_dwordx4 v[60:63], v[72:73], off offset:32
	;; [unrolled: 1-line block ×3, first 2 shown]
	global_load_dwordx4 v[68:71], v[72:73], off
	s_waitcnt vmcnt(0)
	v_fma_f64 v[28:29], v[68:69], 0, v[28:29]
	v_fma_f64 v[30:31], v[54:55], v[68:69], v[30:31]
	;; [unrolled: 1-line block ×34, first 2 shown]
	global_load_dwordx4 v[40:43], v[13:14], off offset:112
	global_load_dwordx4 v[23:26], v[13:14], off offset:96
	global_load_dwordx4 v[27:30], v[13:14], off offset:80
	global_load_dwordx4 v[31:34], v[13:14], off offset:64
	v_add_co_u32_e32 v13, vcc, s14, v13
	v_addc_co_u32_e32 v14, vcc, 0, v14, vcc
	v_add_co_u32_e32 v9, vcc, 16, v9
	v_addc_co_u32_e32 v10, vcc, 0, v10, vcc
	;; [unrolled: 2-line block ×4, first 2 shown]
	v_cmp_eq_u64_e32 vcc, 0, v[19:20]
	s_or_b64 s[6:7], vcc, s[6:7]
	s_waitcnt vmcnt(0)
	v_fma_f64 v[35:36], v[31:32], v[60:61], v[36:37]
	v_fma_f64 v[31:32], v[31:32], v[62:63], v[44:45]
	;; [unrolled: 1-line block ×30, first 2 shown]
	s_andn2_b64 exec, exec, s[6:7]
	s_cbranch_execnz .LBB142_27
; %bb.28:
	s_or_b64 exec, exec, s[6:7]
.LBB142_29:
	s_or_b64 exec, exec, s[0:1]
	v_cmp_lt_u64_e32 vcc, 47, v[15:16]
	s_and_saveexec_b64 s[6:7], vcc
	s_cbranch_execz .LBB142_33
; %bb.30:
	v_lshlrev_b64 v[15:16], 2, v[9:10]
	v_mov_b32_e32 v17, s13
	v_add_co_u32_e32 v15, vcc, s12, v15
	v_addc_co_u32_e32 v16, vcc, v17, v16, vcc
	v_add_co_u32_e32 v15, vcc, 0x80, v15
	s_mov_b32 s12, 0
	v_addc_co_u32_e32 v16, vcc, 0, v16, vcc
	s_mov_b64 s[8:9], 0
	s_waitcnt lgkmcnt(0)
	v_mov_b32_e32 v40, s11
	s_brev_b32 s13, 1
	s_movk_i32 s11, 0x1000
.LBB142_31:                             ; =>This Inner Loop Header: Depth=1
	global_load_dword v17, v[15:16], off offset:-128
	s_waitcnt vmcnt(0)
	v_subrev_u32_e32 v17, s16, v17
	v_lshlrev_b32_e32 v22, 2, v17
	v_ashrrev_i32_e32 v23, 31, v22
	v_lshlrev_b64 v[22:23], 4, v[22:23]
	global_load_dwordx4 v[17:20], v[13:14], off offset:48
	global_load_dwordx4 v[41:44], v[13:14], off offset:32
	;; [unrolled: 1-line block ×3, first 2 shown]
	global_load_dwordx4 v[49:52], v[13:14], off
	v_add_co_u32_e32 v22, vcc, s10, v22
	v_addc_co_u32_e32 v23, vcc, v40, v23, vcc
	global_load_dwordx4 v[53:56], v[22:23], off offset:48
	global_load_dwordx4 v[57:60], v[22:23], off offset:32
	;; [unrolled: 1-line block ×3, first 2 shown]
	global_load_dwordx4 v[65:68], v[22:23], off
	s_waitcnt vmcnt(0)
	v_fma_f64 v[22:23], v[49:50], v[65:66], v[36:37]
	v_fma_f64 v[32:33], v[65:66], 0, v[32:33]
	v_fma_f64 v[30:31], v[51:52], v[65:66], v[30:31]
	v_fma_f64 v[28:29], v[65:66], 0, v[28:29]
	v_fma_f64 v[36:37], v[45:46], v[65:66], v[38:39]
	v_fma_f64 v[34:35], v[65:66], 0, v[34:35]
	v_fma_f64 v[26:27], v[47:48], v[65:66], v[26:27]
	v_fma_f64 v[24:25], v[65:66], 0, v[24:25]
	v_fma_f64 v[22:23], v[67:68], s[12:13], v[22:23]
	v_fma_f64 v[32:33], v[49:50], v[67:68], v[32:33]
	v_fma_f64 v[30:31], v[67:68], s[12:13], v[30:31]
	v_fma_f64 v[28:29], v[51:52], v[67:68], v[28:29]
	v_fma_f64 v[36:37], v[67:68], s[12:13], v[36:37]
	v_fma_f64 v[34:35], v[45:46], v[67:68], v[34:35]
	v_fma_f64 v[26:27], v[67:68], s[12:13], v[26:27]
	v_fma_f64 v[24:25], v[47:48], v[67:68], v[24:25]
	v_fma_f64 v[22:23], v[41:42], v[61:62], v[22:23]
	v_fma_f64 v[38:39], v[63:64], s[12:13], v[22:23]
	v_fma_f64 v[22:23], v[61:62], 0, v[32:33]
	v_fma_f64 v[41:42], v[41:42], v[63:64], v[22:23]
	v_fma_f64 v[22:23], v[43:44], v[61:62], v[30:31]
	v_fma_f64 v[41:42], v[57:58], 0, v[41:42]
	v_fma_f64 v[45:46], v[63:64], s[12:13], v[22:23]
	v_fma_f64 v[22:23], v[61:62], 0, v[28:29]
	v_fma_f64 v[43:44], v[43:44], v[63:64], v[22:23]
	v_fma_f64 v[22:23], v[17:18], v[61:62], v[36:37]
	v_fma_f64 v[43:44], v[57:58], 0, v[43:44]
	v_fma_f64 v[36:37], v[63:64], s[12:13], v[22:23]
	v_fma_f64 v[22:23], v[61:62], 0, v[34:35]
	v_fma_f64 v[34:35], v[17:18], v[63:64], v[22:23]
	v_fma_f64 v[17:18], v[19:20], v[61:62], v[26:27]
	v_fma_f64 v[34:35], v[57:58], 0, v[34:35]
	v_fma_f64 v[47:48], v[63:64], s[12:13], v[17:18]
	v_fma_f64 v[17:18], v[61:62], 0, v[24:25]
	v_fma_f64 v[49:50], v[19:20], v[63:64], v[17:18]
	global_load_dwordx4 v[17:20], v[13:14], off offset:112
	global_load_dwordx4 v[22:25], v[13:14], off offset:96
	;; [unrolled: 1-line block ×4, first 2 shown]
	s_waitcnt vmcnt(1)
	v_fma_f64 v[36:37], v[26:27], v[57:58], v[36:37]
	s_waitcnt vmcnt(0)
	v_fma_f64 v[38:39], v[30:31], v[57:58], v[38:39]
	v_fma_f64 v[30:31], v[30:31], v[59:60], v[41:42]
	;; [unrolled: 1-line block ×28, first 2 shown]
	global_load_dword v17, v[15:16], off offset:-64
	s_waitcnt vmcnt(0)
	v_subrev_u32_e32 v17, s16, v17
	v_lshlrev_b32_e32 v34, 2, v17
	v_ashrrev_i32_e32 v35, 31, v34
	v_lshlrev_b64 v[34:35], 4, v[34:35]
	global_load_dwordx4 v[17:20], v[13:14], off offset:2096
	global_load_dwordx4 v[22:25], v[13:14], off offset:2080
	;; [unrolled: 1-line block ×4, first 2 shown]
	v_add_co_u32_e32 v55, vcc, s10, v34
	v_addc_co_u32_e32 v56, vcc, v40, v35, vcc
	global_load_dwordx4 v[34:37], v[55:56], off offset:48
	global_load_dwordx4 v[41:44], v[55:56], off offset:32
	global_load_dwordx4 v[45:48], v[55:56], off offset:16
	global_load_dwordx4 v[49:52], v[55:56], off
	s_waitcnt vmcnt(0)
	v_fma_f64 v[55:56], v[49:50], 0, v[57:58]
	v_fma_f64 v[38:39], v[30:31], v[49:50], v[38:39]
	;; [unrolled: 1-line block ×32, first 2 shown]
	global_load_dwordx4 v[17:20], v[13:14], off offset:2160
	global_load_dwordx4 v[22:25], v[13:14], off offset:2144
	;; [unrolled: 1-line block ×4, first 2 shown]
	v_fma_f64 v[47:48], v[41:42], 0, v[49:50]
	v_fma_f64 v[49:50], v[41:42], 0, v[53:54]
	s_waitcnt vmcnt(0)
	v_fma_f64 v[38:39], v[30:31], v[41:42], v[38:39]
	v_fma_f64 v[30:31], v[30:31], v[43:44], v[47:48]
	;; [unrolled: 1-line block ×26, first 2 shown]
	global_load_dword v22, v[15:16], off
	v_fma_f64 v[17:18], v[19:20], v[34:35], v[51:52]
	v_fma_f64 v[67:68], v[36:37], s[12:13], v[17:18]
	;; [unrolled: 1-line block ×4, first 2 shown]
	v_add_co_u32_e32 v17, vcc, s11, v13
	v_addc_co_u32_e32 v18, vcc, 0, v14, vcc
	s_waitcnt vmcnt(0)
	v_subrev_u32_e32 v22, s16, v22
	v_lshlrev_b32_e32 v41, 2, v22
	v_ashrrev_i32_e32 v42, 31, v41
	v_lshlrev_b64 v[41:42], 4, v[41:42]
	global_load_dwordx4 v[22:25], v[17:18], off
	global_load_dwordx4 v[26:29], v[17:18], off offset:48
	global_load_dwordx4 v[30:33], v[17:18], off offset:32
	;; [unrolled: 1-line block ×3, first 2 shown]
	v_add_co_u32_e32 v69, vcc, s10, v41
	v_addc_co_u32_e32 v70, vcc, v40, v42, vcc
	global_load_dwordx4 v[41:44], v[69:70], off offset:48
	global_load_dwordx4 v[45:48], v[69:70], off offset:32
	;; [unrolled: 1-line block ×3, first 2 shown]
	global_load_dwordx4 v[53:56], v[69:70], off
	s_waitcnt vmcnt(0)
	v_fma_f64 v[57:58], v[53:54], 0, v[57:58]
	v_fma_f64 v[38:39], v[22:23], v[53:54], v[38:39]
	;; [unrolled: 1-line block ×34, first 2 shown]
	global_load_dwordx4 v[32:35], v[17:18], off offset:112
	global_load_dwordx4 v[24:27], v[17:18], off offset:96
	;; [unrolled: 1-line block ×4, first 2 shown]
	v_fma_f64 v[51:52], v[45:46], 0, v[57:58]
	s_waitcnt vmcnt(0)
	v_fma_f64 v[49:50], v[36:37], v[45:46], v[53:54]
	v_fma_f64 v[22:23], v[36:37], v[47:48], v[22:23]
	;; [unrolled: 1-line block ×27, first 2 shown]
	global_load_dword v36, v[15:16], off offset:64
	v_fma_f64 v[28:29], v[43:44], s[12:13], v[28:29]
	v_fma_f64 v[32:33], v[43:44], s[12:13], v[32:33]
	s_waitcnt vmcnt(0)
	v_subrev_u32_e32 v36, s16, v36
	v_lshlrev_b32_e32 v53, 2, v36
	v_ashrrev_i32_e32 v54, 31, v53
	v_lshlrev_b64 v[53:54], 4, v[53:54]
	global_load_dwordx4 v[36:39], v[17:18], off offset:2096
	global_load_dwordx4 v[41:44], v[17:18], off offset:2080
	;; [unrolled: 1-line block ×4, first 2 shown]
	v_add_co_u32_e32 v69, vcc, s10, v53
	v_addc_co_u32_e32 v70, vcc, v40, v54, vcc
	global_load_dwordx4 v[53:56], v[69:70], off offset:48
	global_load_dwordx4 v[57:60], v[69:70], off offset:32
	;; [unrolled: 1-line block ×3, first 2 shown]
	global_load_dwordx4 v[65:68], v[69:70], off
	v_add_co_u32_e32 v9, vcc, 64, v9
	v_addc_co_u32_e32 v10, vcc, 0, v10, vcc
	v_add_co_u32_e32 v15, vcc, 0x100, v15
	v_addc_co_u32_e32 v16, vcc, 0, v16, vcc
	v_cmp_ge_i64_e64 s[0:1], v[9:10], v[11:12]
	v_add_co_u32_e32 v13, vcc, 0x2000, v13
	v_addc_co_u32_e32 v14, vcc, 0, v14, vcc
	s_or_b64 s[8:9], s[0:1], s[8:9]
	s_waitcnt vmcnt(0)
	v_fma_f64 v[22:23], v[65:66], 0, v[22:23]
	v_fma_f64 v[19:20], v[49:50], v[65:66], v[19:20]
	;; [unrolled: 1-line block ×32, first 2 shown]
	global_load_dwordx4 v[22:25], v[17:18], off offset:2160
	global_load_dwordx4 v[26:29], v[17:18], off offset:2144
	;; [unrolled: 1-line block ×4, first 2 shown]
	s_waitcnt vmcnt(0)
	v_fma_f64 v[17:18], v[34:35], v[57:58], v[19:20]
	v_fma_f64 v[19:20], v[57:58], 0, v[41:42]
	;; [unrolled: 1-line block ×32, first 2 shown]
	s_andn2_b64 exec, exec, s[8:9]
	s_cbranch_execnz .LBB142_31
; %bb.32:
	s_or_b64 exec, exec, s[8:9]
.LBB142_33:
	s_or_b64 exec, exec, s[6:7]
.LBB142_34:
	s_or_b64 exec, exec, s[2:3]
.LBB142_35:
	v_mov_b32_dpp v9, v36 row_shr:1 row_mask:0xf bank_mask:0xf
	v_mov_b32_dpp v10, v37 row_shr:1 row_mask:0xf bank_mask:0xf
	v_add_f64 v[9:10], v[36:37], v[9:10]
	v_mov_b32_dpp v11, v32 row_shr:1 row_mask:0xf bank_mask:0xf
	v_mov_b32_dpp v12, v33 row_shr:1 row_mask:0xf bank_mask:0xf
	v_add_f64 v[11:12], v[32:33], v[11:12]
	;; [unrolled: 3-line block ×3, first 2 shown]
	v_mov_b32_dpp v36, v34 row_shr:1 row_mask:0xf bank_mask:0xf
	v_mov_b32_dpp v15, v9 row_shr:2 row_mask:0xf bank_mask:0xf
	;; [unrolled: 1-line block ×3, first 2 shown]
	v_add_f64 v[9:10], v[9:10], v[15:16]
	v_mov_b32_dpp v15, v11 row_shr:2 row_mask:0xf bank_mask:0xf
	v_mov_b32_dpp v16, v12 row_shr:2 row_mask:0xf bank_mask:0xf
	v_add_f64 v[11:12], v[11:12], v[15:16]
	v_mov_b32_dpp v15, v28 row_shr:1 row_mask:0xf bank_mask:0xf
	v_mov_b32_dpp v16, v29 row_shr:1 row_mask:0xf bank_mask:0xf
	;; [unrolled: 3-line block ×3, first 2 shown]
	v_add_f64 v[13:14], v[13:14], v[19:20]
	v_mov_b32_dpp v37, v35 row_shr:1 row_mask:0xf bank_mask:0xf
	v_add_f64 v[34:35], v[34:35], v[36:37]
	v_mov_b32_dpp v36, v26 row_shr:1 row_mask:0xf bank_mask:0xf
	v_mov_b32_dpp v37, v27 row_shr:1 row_mask:0xf bank_mask:0xf
	;; [unrolled: 1-line block ×4, first 2 shown]
	v_add_f64 v[15:16], v[15:16], v[19:20]
	v_mov_b32_dpp v19, v38 row_shr:1 row_mask:0xf bank_mask:0xf
	v_mov_b32_dpp v20, v39 row_shr:1 row_mask:0xf bank_mask:0xf
	v_add_f64 v[19:20], v[38:39], v[19:20]
	v_add_f64 v[26:27], v[26:27], v[36:37]
	v_mov_b32_dpp v36, v24 row_shr:1 row_mask:0xf bank_mask:0xf
	v_mov_b32_dpp v37, v25 row_shr:1 row_mask:0xf bank_mask:0xf
	v_add_f64 v[24:25], v[24:25], v[36:37]
	v_mov_b32_dpp v17, v9 row_shr:4 row_mask:0xf bank_mask:0xe
	v_mov_b32_dpp v18, v10 row_shr:4 row_mask:0xf bank_mask:0xe
	;; [unrolled: 3-line block ×5, first 2 shown]
	v_mov_b32_dpp v36, v34 row_shr:2 row_mask:0xf bank_mask:0xf
	v_mov_b32_dpp v37, v35 row_shr:2 row_mask:0xf bank_mask:0xf
	v_add_f64 v[15:16], v[15:16], v[17:18]
	v_mov_b32_dpp v17, v19 row_shr:2 row_mask:0xf bank_mask:0xf
	v_mov_b32_dpp v18, v20 row_shr:2 row_mask:0xf bank_mask:0xf
	v_add_f64 v[34:35], v[34:35], v[36:37]
	;; [unrolled: 3-line block ×3, first 2 shown]
	v_add_f64 v[36:37], v[26:27], v[36:37]
	v_mov_b32_dpp v26, v24 row_shr:2 row_mask:0xf bank_mask:0xf
	v_mov_b32_dpp v27, v25 row_shr:2 row_mask:0xf bank_mask:0xf
	v_add_f64 v[38:39], v[24:25], v[26:27]
	v_mov_b32_dpp v26, v34 row_shr:4 row_mask:0xf bank_mask:0xe
	v_mov_b32_dpp v27, v35 row_shr:4 row_mask:0xf bank_mask:0xe
	;; [unrolled: 3-line block ×4, first 2 shown]
	v_mov_b32_dpp v32, v38 row_shr:4 row_mask:0xf bank_mask:0xe
	v_mov_b32_dpp v33, v39 row_shr:4 row_mask:0xf bank_mask:0xe
	v_add_f64 v[30:31], v[36:37], v[30:31]
	v_add_f64 v[32:33], v[38:39], v[32:33]
	v_mov_b32_dpp v28, v9 row_shr:8 row_mask:0xf bank_mask:0xc
	v_mov_b32_dpp v29, v10 row_shr:8 row_mask:0xf bank_mask:0xc
	;; [unrolled: 1-line block ×16, first 2 shown]
	v_cmp_eq_u32_e32 vcc, 15, v0
	s_and_b64 exec, exec, vcc
	s_cbranch_execz .LBB142_8
; %bb.36:
	v_add_f64 v[11:12], v[11:12], v[22:23]
	v_add_f64 v[22:23], v[13:14], v[19:20]
	;; [unrolled: 1-line block ×8, first 2 shown]
	v_mul_f64 v[19:20], v[11:12], -v[7:8]
	v_mul_f64 v[11:12], v[5:6], v[11:12]
	v_mul_f64 v[28:29], v[13:14], -v[7:8]
	v_mul_f64 v[30:31], v[5:6], v[13:14]
	v_mul_f64 v[32:33], v[15:16], -v[7:8]
	v_mul_f64 v[34:35], v[5:6], v[15:16]
	v_mul_f64 v[36:37], v[17:18], -v[7:8]
	v_mul_f64 v[38:39], v[5:6], v[17:18]
	v_cmp_eq_f64_e32 vcc, 0, v[1:2]
	v_cmp_eq_f64_e64 s[0:1], 0, v[3:4]
	v_fma_f64 v[17:18], v[5:6], v[9:10], v[19:20]
	v_fma_f64 v[19:20], v[7:8], v[9:10], v[11:12]
	;; [unrolled: 1-line block ×8, first 2 shown]
	s_load_dwordx2 s[2:3], s[4:5], 0x60
	s_and_b64 s[0:1], vcc, s[0:1]
	v_lshlrev_b32_e32 v21, 2, v21
	s_and_saveexec_b64 s[4:5], s[0:1]
	s_xor_b64 s[0:1], exec, s[4:5]
	s_cbranch_execz .LBB142_38
; %bb.37:
	v_ashrrev_i32_e32 v22, 31, v21
	v_lshlrev_b64 v[0:1], 4, v[21:22]
	s_waitcnt lgkmcnt(0)
	v_mov_b32_e32 v2, s3
	v_add_co_u32_e32 v0, vcc, s2, v0
	v_addc_co_u32_e32 v1, vcc, v2, v1, vcc
	global_store_dwordx4 v[0:1], v[17:20], off
	global_store_dwordx4 v[0:1], v[13:16], off offset:16
	global_store_dwordx4 v[0:1], v[9:12], off offset:32
	global_store_dwordx4 v[0:1], v[5:8], off offset:48
                                        ; implicit-def: $vgpr3_vgpr4
                                        ; implicit-def: $vgpr17_vgpr18
                                        ; implicit-def: $vgpr21
                                        ; implicit-def: $vgpr13_vgpr14
                                        ; implicit-def: $vgpr9_vgpr10
                                        ; implicit-def: $vgpr5_vgpr6
.LBB142_38:
	s_andn2_saveexec_b64 s[0:1], s[0:1]
	s_cbranch_execz .LBB142_8
; %bb.39:
	v_ashrrev_i32_e32 v22, 31, v21
	v_lshlrev_b64 v[21:22], 4, v[21:22]
	s_waitcnt lgkmcnt(0)
	v_mov_b32_e32 v0, s3
	v_add_co_u32_e32 v37, vcc, s2, v21
	v_addc_co_u32_e32 v38, vcc, v0, v22, vcc
	global_load_dwordx4 v[21:24], v[37:38], off
	global_load_dwordx4 v[25:28], v[37:38], off offset:16
	global_load_dwordx4 v[29:32], v[37:38], off offset:32
	;; [unrolled: 1-line block ×3, first 2 shown]
	s_waitcnt vmcnt(3)
	v_fma_f64 v[17:18], v[1:2], v[21:22], v[17:18]
	v_fma_f64 v[19:20], v[3:4], v[21:22], v[19:20]
	s_waitcnt vmcnt(2)
	v_fma_f64 v[13:14], v[1:2], v[25:26], v[13:14]
	v_fma_f64 v[15:16], v[3:4], v[25:26], v[15:16]
	;; [unrolled: 3-line block ×4, first 2 shown]
	v_fma_f64 v[5:6], -v[3:4], v[23:24], v[17:18]
	v_fma_f64 v[7:8], v[1:2], v[23:24], v[19:20]
	v_fma_f64 v[9:10], -v[3:4], v[27:28], v[13:14]
	v_fma_f64 v[11:12], v[1:2], v[27:28], v[15:16]
	;; [unrolled: 2-line block ×4, first 2 shown]
	global_store_dwordx4 v[37:38], v[5:8], off
	global_store_dwordx4 v[37:38], v[9:12], off offset:16
	global_store_dwordx4 v[37:38], v[13:16], off offset:32
	;; [unrolled: 1-line block ×3, first 2 shown]
	s_endpgm
	.section	.rodata,"a",@progbits
	.p2align	6, 0x0
	.amdhsa_kernel _ZN9rocsparseL18bsrxmvn_4x4_kernelILj128ELj16E21rocsparse_complex_numIdElidS2_S2_EEvT3_20rocsparse_direction_NS_24const_host_device_scalarIT1_EES3_PKS3_PKT2_SC_S9_PKT4_PKT5_S7_PT6_21rocsparse_index_base_b
		.amdhsa_group_segment_fixed_size 0
		.amdhsa_private_segment_fixed_size 0
		.amdhsa_kernarg_size 112
		.amdhsa_user_sgpr_count 6
		.amdhsa_user_sgpr_private_segment_buffer 1
		.amdhsa_user_sgpr_dispatch_ptr 0
		.amdhsa_user_sgpr_queue_ptr 0
		.amdhsa_user_sgpr_kernarg_segment_ptr 1
		.amdhsa_user_sgpr_dispatch_id 0
		.amdhsa_user_sgpr_flat_scratch_init 0
		.amdhsa_user_sgpr_private_segment_size 0
		.amdhsa_uses_dynamic_stack 0
		.amdhsa_system_sgpr_private_segment_wavefront_offset 0
		.amdhsa_system_sgpr_workgroup_id_x 1
		.amdhsa_system_sgpr_workgroup_id_y 0
		.amdhsa_system_sgpr_workgroup_id_z 0
		.amdhsa_system_sgpr_workgroup_info 0
		.amdhsa_system_vgpr_workitem_id 0
		.amdhsa_next_free_vgpr 85
		.amdhsa_next_free_sgpr 24
		.amdhsa_reserve_vcc 1
		.amdhsa_reserve_flat_scratch 0
		.amdhsa_float_round_mode_32 0
		.amdhsa_float_round_mode_16_64 0
		.amdhsa_float_denorm_mode_32 3
		.amdhsa_float_denorm_mode_16_64 3
		.amdhsa_dx10_clamp 1
		.amdhsa_ieee_mode 1
		.amdhsa_fp16_overflow 0
		.amdhsa_exception_fp_ieee_invalid_op 0
		.amdhsa_exception_fp_denorm_src 0
		.amdhsa_exception_fp_ieee_div_zero 0
		.amdhsa_exception_fp_ieee_overflow 0
		.amdhsa_exception_fp_ieee_underflow 0
		.amdhsa_exception_fp_ieee_inexact 0
		.amdhsa_exception_int_div_zero 0
	.end_amdhsa_kernel
	.section	.text._ZN9rocsparseL18bsrxmvn_4x4_kernelILj128ELj16E21rocsparse_complex_numIdElidS2_S2_EEvT3_20rocsparse_direction_NS_24const_host_device_scalarIT1_EES3_PKS3_PKT2_SC_S9_PKT4_PKT5_S7_PT6_21rocsparse_index_base_b,"axG",@progbits,_ZN9rocsparseL18bsrxmvn_4x4_kernelILj128ELj16E21rocsparse_complex_numIdElidS2_S2_EEvT3_20rocsparse_direction_NS_24const_host_device_scalarIT1_EES3_PKS3_PKT2_SC_S9_PKT4_PKT5_S7_PT6_21rocsparse_index_base_b,comdat
.Lfunc_end142:
	.size	_ZN9rocsparseL18bsrxmvn_4x4_kernelILj128ELj16E21rocsparse_complex_numIdElidS2_S2_EEvT3_20rocsparse_direction_NS_24const_host_device_scalarIT1_EES3_PKS3_PKT2_SC_S9_PKT4_PKT5_S7_PT6_21rocsparse_index_base_b, .Lfunc_end142-_ZN9rocsparseL18bsrxmvn_4x4_kernelILj128ELj16E21rocsparse_complex_numIdElidS2_S2_EEvT3_20rocsparse_direction_NS_24const_host_device_scalarIT1_EES3_PKS3_PKT2_SC_S9_PKT4_PKT5_S7_PT6_21rocsparse_index_base_b
                                        ; -- End function
	.set _ZN9rocsparseL18bsrxmvn_4x4_kernelILj128ELj16E21rocsparse_complex_numIdElidS2_S2_EEvT3_20rocsparse_direction_NS_24const_host_device_scalarIT1_EES3_PKS3_PKT2_SC_S9_PKT4_PKT5_S7_PT6_21rocsparse_index_base_b.num_vgpr, 85
	.set _ZN9rocsparseL18bsrxmvn_4x4_kernelILj128ELj16E21rocsparse_complex_numIdElidS2_S2_EEvT3_20rocsparse_direction_NS_24const_host_device_scalarIT1_EES3_PKS3_PKT2_SC_S9_PKT4_PKT5_S7_PT6_21rocsparse_index_base_b.num_agpr, 0
	.set _ZN9rocsparseL18bsrxmvn_4x4_kernelILj128ELj16E21rocsparse_complex_numIdElidS2_S2_EEvT3_20rocsparse_direction_NS_24const_host_device_scalarIT1_EES3_PKS3_PKT2_SC_S9_PKT4_PKT5_S7_PT6_21rocsparse_index_base_b.numbered_sgpr, 24
	.set _ZN9rocsparseL18bsrxmvn_4x4_kernelILj128ELj16E21rocsparse_complex_numIdElidS2_S2_EEvT3_20rocsparse_direction_NS_24const_host_device_scalarIT1_EES3_PKS3_PKT2_SC_S9_PKT4_PKT5_S7_PT6_21rocsparse_index_base_b.num_named_barrier, 0
	.set _ZN9rocsparseL18bsrxmvn_4x4_kernelILj128ELj16E21rocsparse_complex_numIdElidS2_S2_EEvT3_20rocsparse_direction_NS_24const_host_device_scalarIT1_EES3_PKS3_PKT2_SC_S9_PKT4_PKT5_S7_PT6_21rocsparse_index_base_b.private_seg_size, 0
	.set _ZN9rocsparseL18bsrxmvn_4x4_kernelILj128ELj16E21rocsparse_complex_numIdElidS2_S2_EEvT3_20rocsparse_direction_NS_24const_host_device_scalarIT1_EES3_PKS3_PKT2_SC_S9_PKT4_PKT5_S7_PT6_21rocsparse_index_base_b.uses_vcc, 1
	.set _ZN9rocsparseL18bsrxmvn_4x4_kernelILj128ELj16E21rocsparse_complex_numIdElidS2_S2_EEvT3_20rocsparse_direction_NS_24const_host_device_scalarIT1_EES3_PKS3_PKT2_SC_S9_PKT4_PKT5_S7_PT6_21rocsparse_index_base_b.uses_flat_scratch, 0
	.set _ZN9rocsparseL18bsrxmvn_4x4_kernelILj128ELj16E21rocsparse_complex_numIdElidS2_S2_EEvT3_20rocsparse_direction_NS_24const_host_device_scalarIT1_EES3_PKS3_PKT2_SC_S9_PKT4_PKT5_S7_PT6_21rocsparse_index_base_b.has_dyn_sized_stack, 0
	.set _ZN9rocsparseL18bsrxmvn_4x4_kernelILj128ELj16E21rocsparse_complex_numIdElidS2_S2_EEvT3_20rocsparse_direction_NS_24const_host_device_scalarIT1_EES3_PKS3_PKT2_SC_S9_PKT4_PKT5_S7_PT6_21rocsparse_index_base_b.has_recursion, 0
	.set _ZN9rocsparseL18bsrxmvn_4x4_kernelILj128ELj16E21rocsparse_complex_numIdElidS2_S2_EEvT3_20rocsparse_direction_NS_24const_host_device_scalarIT1_EES3_PKS3_PKT2_SC_S9_PKT4_PKT5_S7_PT6_21rocsparse_index_base_b.has_indirect_call, 0
	.section	.AMDGPU.csdata,"",@progbits
; Kernel info:
; codeLenInByte = 9520
; TotalNumSgprs: 28
; NumVgprs: 85
; ScratchSize: 0
; MemoryBound: 0
; FloatMode: 240
; IeeeMode: 1
; LDSByteSize: 0 bytes/workgroup (compile time only)
; SGPRBlocks: 3
; VGPRBlocks: 21
; NumSGPRsForWavesPerEU: 28
; NumVGPRsForWavesPerEU: 85
; Occupancy: 2
; WaveLimiterHint : 1
; COMPUTE_PGM_RSRC2:SCRATCH_EN: 0
; COMPUTE_PGM_RSRC2:USER_SGPR: 6
; COMPUTE_PGM_RSRC2:TRAP_HANDLER: 0
; COMPUTE_PGM_RSRC2:TGID_X_EN: 1
; COMPUTE_PGM_RSRC2:TGID_Y_EN: 0
; COMPUTE_PGM_RSRC2:TGID_Z_EN: 0
; COMPUTE_PGM_RSRC2:TIDIG_COMP_CNT: 0
	.section	.text._ZN9rocsparseL18bsrxmvn_4x4_kernelILj128ELj32E21rocsparse_complex_numIdElidS2_S2_EEvT3_20rocsparse_direction_NS_24const_host_device_scalarIT1_EES3_PKS3_PKT2_SC_S9_PKT4_PKT5_S7_PT6_21rocsparse_index_base_b,"axG",@progbits,_ZN9rocsparseL18bsrxmvn_4x4_kernelILj128ELj32E21rocsparse_complex_numIdElidS2_S2_EEvT3_20rocsparse_direction_NS_24const_host_device_scalarIT1_EES3_PKS3_PKT2_SC_S9_PKT4_PKT5_S7_PT6_21rocsparse_index_base_b,comdat
	.globl	_ZN9rocsparseL18bsrxmvn_4x4_kernelILj128ELj32E21rocsparse_complex_numIdElidS2_S2_EEvT3_20rocsparse_direction_NS_24const_host_device_scalarIT1_EES3_PKS3_PKT2_SC_S9_PKT4_PKT5_S7_PT6_21rocsparse_index_base_b ; -- Begin function _ZN9rocsparseL18bsrxmvn_4x4_kernelILj128ELj32E21rocsparse_complex_numIdElidS2_S2_EEvT3_20rocsparse_direction_NS_24const_host_device_scalarIT1_EES3_PKS3_PKT2_SC_S9_PKT4_PKT5_S7_PT6_21rocsparse_index_base_b
	.p2align	8
	.type	_ZN9rocsparseL18bsrxmvn_4x4_kernelILj128ELj32E21rocsparse_complex_numIdElidS2_S2_EEvT3_20rocsparse_direction_NS_24const_host_device_scalarIT1_EES3_PKS3_PKT2_SC_S9_PKT4_PKT5_S7_PT6_21rocsparse_index_base_b,@function
_ZN9rocsparseL18bsrxmvn_4x4_kernelILj128ELj32E21rocsparse_complex_numIdElidS2_S2_EEvT3_20rocsparse_direction_NS_24const_host_device_scalarIT1_EES3_PKS3_PKT2_SC_S9_PKT4_PKT5_S7_PT6_21rocsparse_index_base_b: ; @_ZN9rocsparseL18bsrxmvn_4x4_kernelILj128ELj32E21rocsparse_complex_numIdElidS2_S2_EEvT3_20rocsparse_direction_NS_24const_host_device_scalarIT1_EES3_PKS3_PKT2_SC_S9_PKT4_PKT5_S7_PT6_21rocsparse_index_base_b
; %bb.0:
	s_load_dwordx2 s[0:1], s[4:5], 0x8
	s_load_dwordx2 s[16:17], s[4:5], 0x68
	s_add_u32 s7, s4, 8
	s_addc_u32 s8, s5, 0
	s_add_u32 s9, s4, 0x50
	s_addc_u32 s10, s5, 0
	s_waitcnt lgkmcnt(0)
	s_bitcmp1_b32 s17, 0
	s_cselect_b32 s1, s8, s1
	s_cselect_b32 s0, s7, s0
	v_mov_b32_e32 v1, s0
	v_mov_b32_e32 v2, s1
	flat_load_dwordx4 v[5:8], v[1:2]
	s_load_dwordx2 s[2:3], s[4:5], 0x50
	s_waitcnt lgkmcnt(0)
	s_cselect_b32 s0, s10, s3
	s_cselect_b32 s1, s9, s2
	v_mov_b32_e32 v1, s1
	v_mov_b32_e32 v2, s0
	flat_load_dwordx4 v[1:4], v[1:2]
	s_waitcnt vmcnt(0)
	v_cmp_eq_f64_e32 vcc, 0, v[5:6]
	v_cmp_eq_f64_e64 s[0:1], 0, v[7:8]
	s_and_b64 s[8:9], vcc, s[0:1]
	s_mov_b64 s[0:1], -1
	s_and_saveexec_b64 s[2:3], s[8:9]
	s_cbranch_execz .LBB143_2
; %bb.1:
	s_waitcnt lgkmcnt(0)
	v_cmp_neq_f64_e32 vcc, 1.0, v[1:2]
	v_cmp_neq_f64_e64 s[0:1], 0, v[3:4]
	s_or_b64 s[0:1], vcc, s[0:1]
	s_orn2_b64 s[0:1], s[0:1], exec
.LBB143_2:
	s_or_b64 exec, exec, s[2:3]
	s_and_saveexec_b64 s[2:3], s[0:1]
	s_cbranch_execz .LBB143_8
; %bb.3:
	s_load_dwordx2 s[8:9], s[4:5], 0x20
	s_load_dwordx2 s[0:1], s[4:5], 0x0
	v_lshrrev_b32_e32 v9, 5, v0
	v_lshl_or_b32 v21, s6, 2, v9
	s_mov_b64 s[2:3], 0
	s_waitcnt lgkmcnt(0)
	s_cmp_lg_u64 s[8:9], 0
	s_cbranch_scc0 .LBB143_9
; %bb.4:
	s_load_dword s6, s[4:5], 0x18
                                        ; implicit-def: $vgpr9
	s_waitcnt lgkmcnt(0)
	v_cmp_gt_i32_e32 vcc, s6, v21
	s_and_saveexec_b64 s[6:7], vcc
	s_xor_b64 s[6:7], exec, s[6:7]
	s_cbranch_execz .LBB143_6
; %bb.5:
	v_ashrrev_i32_e32 v22, 31, v21
	v_lshlrev_b64 v[9:10], 2, v[21:22]
	v_mov_b32_e32 v11, s9
	v_add_co_u32_e32 v9, vcc, s8, v9
	v_addc_co_u32_e32 v10, vcc, v11, v10, vcc
	global_load_dword v9, v[9:10], off
	s_mov_b64 s[2:3], exec
	s_waitcnt vmcnt(0)
	v_subrev_u32_e32 v9, s16, v9
.LBB143_6:
	s_or_b64 exec, exec, s[6:7]
	s_branch .LBB143_10
.LBB143_7:
	v_cmp_gt_i32_e32 vcc, s0, v21
	s_andn2_b64 s[2:3], s[2:3], exec
	s_and_b64 s[6:7], vcc, exec
	s_or_b64 s[2:3], s[2:3], s[6:7]
	s_and_b64 exec, exec, s[2:3]
	s_cbranch_execnz .LBB143_11
.LBB143_8:
	s_endpgm
.LBB143_9:
                                        ; implicit-def: $vgpr9
	s_cbranch_execnz .LBB143_7
.LBB143_10:
	v_mov_b32_e32 v21, v9
	s_and_b64 exec, exec, s[2:3]
	s_cbranch_execz .LBB143_8
.LBB143_11:
	s_load_dwordx8 s[8:15], s[4:5], 0x28
	v_ashrrev_i32_e32 v22, 31, v21
	v_lshlrev_b64 v[9:10], 3, v[21:22]
	v_and_b32_e32 v0, 31, v0
	s_waitcnt lgkmcnt(0)
	v_mov_b32_e32 v12, s9
	v_add_co_u32_e32 v11, vcc, s8, v9
	v_addc_co_u32_e32 v12, vcc, v12, v10, vcc
	global_load_dwordx2 v[15:16], v[11:12], off
	v_add_co_u32_e32 v11, vcc, 8, v11
	v_addc_co_u32_e32 v12, vcc, 0, v12, vcc
	v_mov_b32_e32 v13, s11
	v_add_co_u32_e32 v9, vcc, s10, v9
	s_cmp_eq_u64 s[10:11], 0
	v_addc_co_u32_e32 v10, vcc, v13, v10, vcc
	s_cselect_b64 vcc, -1, 0
	v_cndmask_b32_e32 v10, v10, v12, vcc
	v_cndmask_b32_e32 v9, v9, v11, vcc
	global_load_dwordx2 v[11:12], v[9:10], off
	s_load_dwordx2 s[8:9], s[4:5], 0x48
	v_mov_b32_e32 v17, s15
	s_cmp_eq_u32 s1, 1
	s_waitcnt vmcnt(1)
	v_subrev_co_u32_e32 v9, vcc, s16, v15
	v_subbrev_co_u32_e32 v10, vcc, 0, v16, vcc
	v_add_co_u32_e32 v9, vcc, v9, v0
	v_addc_co_u32_e32 v10, vcc, 0, v10, vcc
	v_lshlrev_b64 v[13:14], 7, v[9:10]
	s_waitcnt vmcnt(0)
	v_subrev_co_u32_e32 v11, vcc, s16, v11
	v_subbrev_co_u32_e32 v12, vcc, 0, v12, vcc
	v_cmp_lt_i64_e64 s[0:1], v[9:10], v[11:12]
	v_add_co_u32_e32 v13, vcc, s14, v13
	v_addc_co_u32_e32 v14, vcc, v17, v14, vcc
	s_cbranch_scc1 .LBB143_23
; %bb.12:
	v_mov_b32_e32 v34, 0
	v_mov_b32_e32 v38, 0
	;; [unrolled: 1-line block ×16, first 2 shown]
	s_and_saveexec_b64 s[10:11], s[0:1]
	s_cbranch_execz .LBB143_22
; %bb.13:
	v_or_b32_e32 v17, 32, v0
	v_subrev_co_u32_e32 v17, vcc, s16, v17
	v_subb_co_u32_e64 v18, s[2:3], 0, 0, vcc
	v_add_co_u32_e32 v17, vcc, v17, v15
	v_addc_co_u32_e32 v18, vcc, v18, v16, vcc
	v_cmp_gt_i64_e32 vcc, v[17:18], v[11:12]
	v_not_b32_e32 v20, v15
	v_cndmask_b32_e32 v18, v12, v18, vcc
	v_cndmask_b32_e32 v17, v11, v17, vcc
	v_sub_co_u32_e32 v22, vcc, s16, v0
	v_not_b32_e32 v19, v16
	v_subb_co_u32_e64 v23, s[2:3], 0, 0, vcc
	v_add_co_u32_e32 v20, vcc, v22, v20
	v_addc_co_u32_e32 v19, vcc, v23, v19, vcc
	v_add_co_u32_e32 v24, vcc, v20, v17
	v_addc_co_u32_e32 v25, vcc, v19, v18, vcc
	v_and_b32_e32 v17, 0x60, v24
	v_mov_b32_e32 v18, 0
	s_mov_b64 s[2:3], 0x60
	v_cmp_ne_u64_e32 vcc, s[2:3], v[17:18]
	v_mov_b32_e32 v26, 0
	v_mov_b32_e32 v22, 0
	v_mov_b32_e32 v36, 0
	v_mov_b32_e32 v32, 0
	v_mov_b32_e32 v30, 0
	v_mov_b32_e32 v28, 0
	v_mov_b32_e32 v38, 0
	v_mov_b32_e32 v34, 0
	v_mov_b32_e32 v20, v14
	v_mov_b32_e32 v18, v10
	v_mov_b32_e32 v27, 0
	v_mov_b32_e32 v23, 0
	v_mov_b32_e32 v37, 0
	v_mov_b32_e32 v33, 0
	v_mov_b32_e32 v31, 0
	v_mov_b32_e32 v29, 0
	v_mov_b32_e32 v39, 0
	v_mov_b32_e32 v35, 0
	v_mov_b32_e32 v19, v13
	v_mov_b32_e32 v17, v9
	s_and_saveexec_b64 s[14:15], vcc
	s_cbranch_execz .LBB143_17
; %bb.14:
	v_lshrrev_b32_e32 v17, 5, v24
	v_add_u32_e32 v17, 1, v17
	v_and_b32_e32 v19, 3, v17
	v_lshlrev_b64 v[17:18], 2, v[9:10]
	v_mov_b32_e32 v20, s13
	v_add_co_u32_e32 v40, vcc, s12, v17
	v_addc_co_u32_e32 v41, vcc, v20, v18, vcc
	v_sub_co_u32_e32 v42, vcc, 0, v19
	v_mov_b32_e32 v34, 0
	s_mov_b32 s20, 0
	v_mov_b32_e32 v18, v10
	v_mov_b32_e32 v38, 0
	;; [unrolled: 1-line block ×9, first 2 shown]
	s_mov_b64 s[18:19], 0
	v_subb_co_u32_e64 v43, s[2:3], 0, 0, vcc
	v_mov_b32_e32 v35, 0
	s_brev_b32 s21, 1
	s_movk_i32 s17, 0x1000
	s_waitcnt lgkmcnt(0)
	v_mov_b32_e32 v44, s9
	v_mov_b32_e32 v17, v9
	;; [unrolled: 1-line block ×10, first 2 shown]
.LBB143_15:                             ; =>This Inner Loop Header: Depth=1
	global_load_dword v65, v[40:41], off
	global_load_dwordx4 v[45:48], v[19:20], off offset:32
	global_load_dwordx4 v[49:52], v[19:20], off
	global_load_dwordx4 v[53:56], v[19:20], off offset:64
	global_load_dwordx4 v[57:60], v[19:20], off offset:96
	;; [unrolled: 1-line block ×3, first 2 shown]
	v_add_co_u32_e64 v42, s[6:7], 1, v42
	s_waitcnt vmcnt(5)
	v_subrev_u32_e32 v65, s16, v65
	v_lshlrev_b32_e32 v65, 2, v65
	v_ashrrev_i32_e32 v66, 31, v65
	v_lshlrev_b64 v[65:66], 4, v[65:66]
	v_add_co_u32_e32 v69, vcc, s8, v65
	v_addc_co_u32_e32 v70, vcc, v44, v66, vcc
	global_load_dwordx4 v[65:68], v[69:70], off
	s_waitcnt vmcnt(0)
	v_fma_f64 v[28:29], v[65:66], 0, v[28:29]
	v_fma_f64 v[26:27], v[57:58], v[65:66], v[26:27]
	;; [unrolled: 1-line block ×10, first 2 shown]
	global_load_dwordx4 v[26:29], v[69:70], off offset:16
	v_fma_f64 v[34:35], v[49:50], v[67:68], v[34:35]
	v_fma_f64 v[49:50], v[67:68], s[20:21], v[30:31]
	v_fma_f64 v[38:39], v[67:68], s[20:21], v[38:39]
	v_fma_f64 v[53:54], v[53:54], v[67:68], v[32:33]
	v_fma_f64 v[36:37], v[67:68], s[20:21], v[36:37]
	v_fma_f64 v[22:23], v[57:58], v[67:68], v[22:23]
	s_waitcnt vmcnt(0)
	v_fma_f64 v[30:31], v[26:27], 0, v[34:35]
	v_fma_f64 v[34:35], v[26:27], 0, v[45:46]
	;; [unrolled: 1-line block ×9, first 2 shown]
	global_load_dwordx4 v[30:33], v[19:20], off offset:16
	global_load_dwordx4 v[45:48], v[19:20], off offset:80
	;; [unrolled: 1-line block ×3, first 2 shown]
	v_fma_f64 v[26:27], v[59:60], v[26:27], v[65:66]
	v_fma_f64 v[22:23], v[59:60], v[28:29], v[22:23]
	;; [unrolled: 1-line block ×5, first 2 shown]
	global_load_dwordx4 v[34:37], v[69:70], off offset:32
	global_load_dwordx4 v[53:56], v[69:70], off offset:48
	v_fma_f64 v[65:66], v[28:29], s[20:21], v[73:74]
	v_add_co_u32_e32 v19, vcc, s17, v19
	v_fma_f64 v[26:27], v[28:29], s[20:21], v[26:27]
	s_mov_b64 s[2:3], vcc
	v_add_co_u32_e32 v17, vcc, 32, v17
	v_addc_co_u32_e32 v18, vcc, 0, v18, vcc
	v_addc_co_u32_e64 v43, vcc, 0, v43, s[6:7]
	v_cmp_eq_u64_e64 s[6:7], 0, v[42:43]
	v_add_co_u32_e32 v40, vcc, 0x80, v40
	v_addc_co_u32_e64 v20, s[2:3], 0, v20, s[2:3]
	s_or_b64 s[18:19], s[6:7], s[18:19]
	v_addc_co_u32_e32 v41, vcc, 0, v41, vcc
	s_waitcnt vmcnt(1)
	v_fma_f64 v[28:29], v[34:35], 0, v[57:58]
	v_fma_f64 v[38:39], v[30:31], v[34:35], v[38:39]
	;; [unrolled: 1-line block ×16, first 2 shown]
	s_waitcnt vmcnt(0)
	v_fma_f64 v[28:29], v[53:54], 0, v[28:29]
	v_fma_f64 v[30:31], v[32:33], v[53:54], v[30:31]
	;; [unrolled: 1-line block ×16, first 2 shown]
	s_andn2_b64 exec, exec, s[18:19]
	s_cbranch_execnz .LBB143_15
; %bb.16:
	s_or_b64 exec, exec, s[18:19]
.LBB143_17:
	s_or_b64 exec, exec, s[14:15]
	s_mov_b64 s[2:3], 0x5f
	v_cmp_lt_u64_e32 vcc, s[2:3], v[24:25]
	s_and_saveexec_b64 s[6:7], vcc
	s_cbranch_execz .LBB143_21
; %bb.18:
	v_lshlrev_b64 v[24:25], 2, v[17:18]
	v_mov_b32_e32 v40, s13
	v_add_co_u32_e32 v24, vcc, s12, v24
	v_addc_co_u32_e32 v25, vcc, v40, v25, vcc
	v_add_co_u32_e32 v24, vcc, 0x100, v24
	s_mov_b32 s18, 0
	v_addc_co_u32_e32 v25, vcc, 0, v25, vcc
	s_mov_b64 s[14:15], 0
	s_waitcnt lgkmcnt(0)
	v_mov_b32_e32 v46, s9
	s_brev_b32 s19, 1
	s_movk_i32 s17, 0x1000
	s_movk_i32 s20, 0x2000
	;; [unrolled: 1-line block ×3, first 2 shown]
.LBB143_19:                             ; =>This Inner Loop Header: Depth=1
	global_load_dword v40, v[24:25], off offset:-256
	s_waitcnt vmcnt(0)
	v_subrev_u32_e32 v40, s16, v40
	v_lshlrev_b32_e32 v44, 2, v40
	v_ashrrev_i32_e32 v45, 31, v44
	v_lshlrev_b64 v[44:45], 4, v[44:45]
	global_load_dwordx4 v[40:43], v[19:20], off offset:48
	global_load_dwordx4 v[47:50], v[19:20], off offset:32
	;; [unrolled: 1-line block ×3, first 2 shown]
	global_load_dwordx4 v[55:58], v[19:20], off
	v_add_co_u32_e32 v44, vcc, s8, v44
	v_addc_co_u32_e32 v45, vcc, v46, v45, vcc
	global_load_dwordx4 v[59:62], v[44:45], off offset:48
	global_load_dwordx4 v[63:66], v[44:45], off offset:32
	;; [unrolled: 1-line block ×3, first 2 shown]
	global_load_dwordx4 v[71:74], v[44:45], off
	s_waitcnt vmcnt(0)
	v_fma_f64 v[38:39], v[55:56], v[71:72], v[38:39]
	v_fma_f64 v[30:31], v[47:48], v[71:72], v[30:31]
	;; [unrolled: 1-line block ×33, first 2 shown]
	global_load_dwordx4 v[28:31], v[19:20], off offset:112
	global_load_dwordx4 v[38:41], v[19:20], off offset:96
	;; [unrolled: 1-line block ×4, first 2 shown]
	v_fma_f64 v[77:78], v[53:54], v[61:62], v[34:35]
	s_waitcnt vmcnt(2)
	v_fma_f64 v[26:27], v[38:39], v[71:72], v[26:27]
	v_fma_f64 v[22:23], v[38:39], v[73:74], v[22:23]
	s_waitcnt vmcnt(0)
	v_fma_f64 v[34:35], v[47:48], v[71:72], v[36:37]
	v_fma_f64 v[32:33], v[47:48], v[73:74], v[32:33]
	;; [unrolled: 1-line block ×25, first 2 shown]
	v_add_co_u32_e32 v59, vcc, s17, v19
	v_addc_co_u32_e32 v60, vcc, 0, v20, vcc
	v_add_co_u32_e32 v87, vcc, s20, v19
	v_fma_f64 v[63:64], v[61:62], s[18:19], v[26:27]
	global_load_dword v26, v[24:25], off offset:-128
	v_addc_co_u32_e32 v88, vcc, 0, v20, vcc
	v_fma_f64 v[83:84], v[61:62], s[18:19], v[34:35]
	v_fma_f64 v[85:86], v[44:45], v[61:62], v[32:33]
	s_waitcnt vmcnt(0)
	v_subrev_u32_e32 v26, s16, v26
	v_lshlrev_b32_e32 v42, 2, v26
	v_ashrrev_i32_e32 v43, 31, v42
	v_lshlrev_b64 v[42:43], 4, v[42:43]
	global_load_dwordx4 v[26:29], v[87:88], off offset:-4096
	global_load_dwordx4 v[30:33], v[59:60], off offset:48
	global_load_dwordx4 v[34:37], v[59:60], off offset:32
	;; [unrolled: 1-line block ×3, first 2 shown]
	v_add_co_u32_e32 v61, vcc, s8, v42
	v_addc_co_u32_e32 v62, vcc, v46, v43, vcc
	global_load_dwordx4 v[42:45], v[61:62], off offset:48
	global_load_dwordx4 v[47:50], v[61:62], off offset:32
	;; [unrolled: 1-line block ×3, first 2 shown]
	global_load_dwordx4 v[55:58], v[61:62], off
	s_waitcnt vmcnt(0)
	v_fma_f64 v[65:66], v[55:56], 0, v[77:78]
	v_fma_f64 v[61:62], v[26:27], v[55:56], v[75:76]
	;; [unrolled: 1-line block ×34, first 2 shown]
	global_load_dwordx4 v[26:29], v[59:60], off offset:112
	global_load_dwordx4 v[30:33], v[59:60], off offset:96
	;; [unrolled: 1-line block ×4, first 2 shown]
	s_waitcnt vmcnt(2)
	v_fma_f64 v[22:23], v[30:31], v[57:58], v[22:23]
	s_waitcnt vmcnt(0)
	v_fma_f64 v[59:60], v[38:39], v[55:56], v[83:84]
	v_fma_f64 v[38:39], v[38:39], v[57:58], v[61:62]
	;; [unrolled: 1-line block ×29, first 2 shown]
	global_load_dword v22, v[24:25], off
	global_load_dwordx4 v[26:29], v[87:88], off
	global_load_dwordx4 v[32:35], v[87:88], off offset:48
	global_load_dwordx4 v[36:39], v[87:88], off offset:32
	global_load_dwordx4 v[40:43], v[87:88], off offset:16
	s_waitcnt vmcnt(4)
	v_subrev_u32_e32 v22, s16, v22
	v_lshlrev_b32_e32 v22, 2, v22
	v_ashrrev_i32_e32 v23, 31, v22
	v_lshlrev_b64 v[22:23], 4, v[22:23]
	v_add_co_u32_e32 v22, vcc, s8, v22
	v_addc_co_u32_e32 v23, vcc, v46, v23, vcc
	global_load_dwordx4 v[47:50], v[22:23], off offset:48
	global_load_dwordx4 v[51:54], v[22:23], off offset:32
	;; [unrolled: 1-line block ×3, first 2 shown]
	global_load_dwordx4 v[59:62], v[22:23], off
	s_waitcnt vmcnt(0)
	v_fma_f64 v[22:23], v[26:27], v[59:60], v[65:66]
	v_fma_f64 v[30:31], v[59:60], 0, v[67:68]
	;; [unrolled: 1-line block ×18, first 2 shown]
	global_load_dwordx4 v[40:43], v[87:88], off offset:112
	global_load_dwordx4 v[63:66], v[87:88], off offset:96
	;; [unrolled: 1-line block ×4, first 2 shown]
	v_fma_f64 v[26:27], v[36:37], v[61:62], v[26:27]
	v_fma_f64 v[22:23], v[61:62], s[18:19], v[22:23]
	;; [unrolled: 1-line block ×6, first 2 shown]
	v_add_co_u32_e32 v44, vcc, s21, v19
	v_addc_co_u32_e32 v45, vcc, 0, v20, vcc
	v_fma_f64 v[22:23], v[57:58], s[18:19], v[22:23]
	v_fma_f64 v[26:27], v[51:52], 0, v[26:27]
	;; [unrolled: 1-line block ×10, first 2 shown]
	s_waitcnt vmcnt(2)
	v_fma_f64 v[34:35], v[63:64], v[59:60], v[79:80]
	v_fma_f64 v[38:39], v[63:64], v[61:62], v[38:39]
	s_waitcnt vmcnt(0)
	v_fma_f64 v[22:23], v[71:72], v[59:60], v[75:76]
	v_fma_f64 v[26:27], v[71:72], v[61:62], v[26:27]
	;; [unrolled: 1-line block ×28, first 2 shown]
	global_load_dword v34, v[24:25], off offset:128
	global_load_dwordx4 v[47:50], v[44:45], off
	global_load_dwordx4 v[51:54], v[44:45], off offset:48
	global_load_dwordx4 v[55:58], v[44:45], off offset:32
	;; [unrolled: 1-line block ×3, first 2 shown]
	s_waitcnt vmcnt(4)
	v_subrev_u32_e32 v34, s16, v34
	v_lshlrev_b32_e32 v34, 2, v34
	v_ashrrev_i32_e32 v35, 31, v34
	v_lshlrev_b64 v[34:35], 4, v[34:35]
	v_add_co_u32_e32 v34, vcc, s8, v34
	v_addc_co_u32_e32 v35, vcc, v46, v35, vcc
	global_load_dwordx4 v[63:66], v[34:35], off offset:48
	global_load_dwordx4 v[67:70], v[34:35], off offset:32
	;; [unrolled: 1-line block ×3, first 2 shown]
	global_load_dwordx4 v[75:78], v[34:35], off
	v_add_co_u32_e32 v17, vcc, 0x80, v17
	v_addc_co_u32_e32 v18, vcc, 0, v18, vcc
	v_add_co_u32_e32 v24, vcc, 0x200, v24
	v_addc_co_u32_e32 v25, vcc, 0, v25, vcc
	v_cmp_ge_i64_e64 s[2:3], v[17:18], v[11:12]
	v_add_co_u32_e32 v19, vcc, 0x4000, v19
	v_addc_co_u32_e32 v20, vcc, 0, v20, vcc
	s_or_b64 s[14:15], s[2:3], s[14:15]
	s_waitcnt vmcnt(0)
	v_fma_f64 v[28:29], v[47:48], v[75:76], v[28:29]
	v_fma_f64 v[30:31], v[75:76], 0, v[30:31]
	;; [unrolled: 1-line block ×33, first 2 shown]
	global_load_dwordx4 v[47:50], v[44:45], off offset:112
	global_load_dwordx4 v[51:54], v[44:45], off offset:96
	global_load_dwordx4 v[55:58], v[44:45], off offset:80
	global_load_dwordx4 v[59:62], v[44:45], off offset:64
	s_waitcnt vmcnt(0)
	v_fma_f64 v[22:23], v[59:60], v[75:76], v[22:23]
	v_fma_f64 v[26:27], v[59:60], v[77:78], v[26:27]
	;; [unrolled: 1-line block ×31, first 2 shown]
	s_andn2_b64 exec, exec, s[14:15]
	s_cbranch_execnz .LBB143_19
; %bb.20:
	s_or_b64 exec, exec, s[14:15]
.LBB143_21:
	s_or_b64 exec, exec, s[6:7]
.LBB143_22:
	s_or_b64 exec, exec, s[10:11]
	s_cbranch_execz .LBB143_24
	s_branch .LBB143_35
.LBB143_23:
                                        ; implicit-def: $vgpr34_vgpr35
                                        ; implicit-def: $vgpr38_vgpr39
                                        ; implicit-def: $vgpr28_vgpr29
                                        ; implicit-def: $vgpr30_vgpr31
                                        ; implicit-def: $vgpr32_vgpr33
                                        ; implicit-def: $vgpr36_vgpr37
                                        ; implicit-def: $vgpr22_vgpr23
                                        ; implicit-def: $vgpr26_vgpr27
.LBB143_24:
	v_mov_b32_e32 v34, 0
	v_mov_b32_e32 v38, 0
	;; [unrolled: 1-line block ×16, first 2 shown]
	s_and_saveexec_b64 s[2:3], s[0:1]
	s_cbranch_execz .LBB143_34
; %bb.25:
	v_or_b32_e32 v17, 32, v0
	v_subrev_co_u32_e32 v17, vcc, s16, v17
	v_subb_co_u32_e64 v18, s[0:1], 0, 0, vcc
	v_add_co_u32_e32 v17, vcc, v17, v15
	v_addc_co_u32_e32 v18, vcc, v18, v16, vcc
	v_cmp_gt_i64_e32 vcc, v[17:18], v[11:12]
	v_not_b32_e32 v15, v15
	v_cndmask_b32_e32 v18, v12, v18, vcc
	v_cndmask_b32_e32 v17, v11, v17, vcc
	v_sub_co_u32_e32 v19, vcc, s16, v0
	v_not_b32_e32 v16, v16
	v_subb_co_u32_e64 v20, s[0:1], 0, 0, vcc
	v_add_co_u32_e32 v15, vcc, v19, v15
	v_addc_co_u32_e32 v16, vcc, v20, v16, vcc
	v_add_co_u32_e32 v15, vcc, v15, v17
	v_addc_co_u32_e32 v16, vcc, v16, v18, vcc
	v_and_b32_e32 v17, 0x60, v15
	v_mov_b32_e32 v18, 0
	s_mov_b64 s[0:1], 0x60
	v_cmp_ne_u64_e32 vcc, s[0:1], v[17:18]
	v_mov_b32_e32 v26, 0
	v_mov_b32_e32 v22, 0
	;; [unrolled: 1-line block ×16, first 2 shown]
	s_and_saveexec_b64 s[0:1], vcc
	s_cbranch_execz .LBB143_29
; %bb.26:
	v_lshrrev_b32_e32 v17, 5, v15
	v_add_u32_e32 v17, 1, v17
	v_and_b32_e32 v19, 3, v17
	v_lshlrev_b64 v[17:18], 2, v[9:10]
	v_mov_b32_e32 v20, s13
	v_add_co_u32_e32 v17, vcc, s12, v17
	v_addc_co_u32_e32 v18, vcc, v20, v18, vcc
	v_sub_co_u32_e32 v19, vcc, 0, v19
	v_subb_co_u32_e64 v20, s[10:11], 0, 0, vcc
	v_mov_b32_e32 v34, 0
	s_mov_b32 s10, 0
	v_mov_b32_e32 v38, 0
	v_mov_b32_e32 v28, 0
	;; [unrolled: 1-line block ×7, first 2 shown]
	s_mov_b64 s[6:7], 0
	v_mov_b32_e32 v35, 0
	s_brev_b32 s11, 1
	s_movk_i32 s14, 0x1000
	v_mov_b32_e32 v39, 0
	v_mov_b32_e32 v29, 0
	;; [unrolled: 1-line block ×7, first 2 shown]
	s_waitcnt lgkmcnt(0)
	v_mov_b32_e32 v24, s9
.LBB143_27:                             ; =>This Inner Loop Header: Depth=1
	global_load_dword v25, v[17:18], off
	global_load_dwordx4 v[40:43], v[13:14], off offset:48
	global_load_dwordx4 v[44:47], v[13:14], off offset:32
	;; [unrolled: 1-line block ×3, first 2 shown]
	global_load_dwordx4 v[52:55], v[13:14], off
	s_waitcnt vmcnt(4)
	v_subrev_u32_e32 v25, s16, v25
	v_lshlrev_b32_e32 v56, 2, v25
	v_ashrrev_i32_e32 v57, 31, v56
	v_lshlrev_b64 v[56:57], 4, v[56:57]
	v_add_co_u32_e32 v72, vcc, s8, v56
	v_addc_co_u32_e32 v73, vcc, v24, v57, vcc
	global_load_dwordx4 v[56:59], v[72:73], off offset:48
	global_load_dwordx4 v[60:63], v[72:73], off offset:32
	;; [unrolled: 1-line block ×3, first 2 shown]
	global_load_dwordx4 v[68:71], v[72:73], off
	s_waitcnt vmcnt(0)
	v_fma_f64 v[28:29], v[68:69], 0, v[28:29]
	v_fma_f64 v[30:31], v[54:55], v[68:69], v[30:31]
	;; [unrolled: 1-line block ×35, first 2 shown]
	global_load_dwordx4 v[40:43], v[13:14], off offset:112
	global_load_dwordx4 v[25:28], v[13:14], off offset:96
	;; [unrolled: 1-line block ×4, first 2 shown]
	v_add_co_u32_e32 v13, vcc, s14, v13
	v_addc_co_u32_e32 v14, vcc, 0, v14, vcc
	v_add_co_u32_e32 v9, vcc, 32, v9
	v_addc_co_u32_e32 v10, vcc, 0, v10, vcc
	;; [unrolled: 2-line block ×4, first 2 shown]
	v_cmp_eq_u64_e32 vcc, 0, v[19:20]
	s_or_b64 s[6:7], vcc, s[6:7]
	s_waitcnt vmcnt(1)
	v_fma_f64 v[22:23], v[31:32], v[62:63], v[22:23]
	s_waitcnt vmcnt(0)
	v_fma_f64 v[37:38], v[33:34], v[60:61], v[38:39]
	v_fma_f64 v[33:34], v[33:34], v[62:63], v[44:45]
	;; [unrolled: 1-line block ×28, first 2 shown]
	s_andn2_b64 exec, exec, s[6:7]
	s_cbranch_execnz .LBB143_27
; %bb.28:
	s_or_b64 exec, exec, s[6:7]
.LBB143_29:
	s_or_b64 exec, exec, s[0:1]
	s_mov_b64 s[0:1], 0x5f
	v_cmp_lt_u64_e32 vcc, s[0:1], v[15:16]
	s_and_saveexec_b64 s[6:7], vcc
	s_cbranch_execz .LBB143_33
; %bb.30:
	v_lshlrev_b64 v[15:16], 2, v[9:10]
	v_mov_b32_e32 v17, s13
	v_add_co_u32_e32 v15, vcc, s12, v15
	v_addc_co_u32_e32 v16, vcc, v17, v16, vcc
	v_add_co_u32_e32 v15, vcc, 0x100, v15
	s_mov_b32 s12, 0
	v_addc_co_u32_e32 v16, vcc, 0, v16, vcc
	s_mov_b64 s[10:11], 0
	s_waitcnt lgkmcnt(0)
	v_mov_b32_e32 v40, s9
	s_brev_b32 s13, 1
	s_movk_i32 s9, 0x1000
	s_movk_i32 s14, 0x2000
	;; [unrolled: 1-line block ×3, first 2 shown]
.LBB143_31:                             ; =>This Inner Loop Header: Depth=1
	global_load_dword v17, v[15:16], off offset:-256
	s_waitcnt vmcnt(0)
	v_subrev_u32_e32 v17, s16, v17
	v_lshlrev_b32_e32 v24, 2, v17
	v_ashrrev_i32_e32 v25, 31, v24
	v_lshlrev_b64 v[24:25], 4, v[24:25]
	global_load_dwordx4 v[17:20], v[13:14], off offset:48
	global_load_dwordx4 v[41:44], v[13:14], off offset:32
	;; [unrolled: 1-line block ×3, first 2 shown]
	global_load_dwordx4 v[49:52], v[13:14], off
	v_add_co_u32_e32 v24, vcc, s8, v24
	v_addc_co_u32_e32 v25, vcc, v40, v25, vcc
	global_load_dwordx4 v[53:56], v[24:25], off offset:48
	global_load_dwordx4 v[57:60], v[24:25], off offset:32
	;; [unrolled: 1-line block ×3, first 2 shown]
	global_load_dwordx4 v[65:68], v[24:25], off
	s_waitcnt vmcnt(0)
	v_fma_f64 v[24:25], v[49:50], v[65:66], v[38:39]
	v_fma_f64 v[34:35], v[65:66], 0, v[34:35]
	;; [unrolled: 1-line block ×33, first 2 shown]
	global_load_dwordx4 v[17:20], v[13:14], off offset:112
	global_load_dwordx4 v[22:25], v[13:14], off offset:96
	;; [unrolled: 1-line block ×4, first 2 shown]
	s_waitcnt vmcnt(1)
	v_fma_f64 v[36:37], v[26:27], v[57:58], v[36:37]
	s_waitcnt vmcnt(0)
	v_fma_f64 v[38:39], v[30:31], v[57:58], v[38:39]
	v_fma_f64 v[30:31], v[30:31], v[59:60], v[34:35]
	;; [unrolled: 1-line block ×30, first 2 shown]
	global_load_dword v17, v[15:16], off offset:-128
	v_add_co_u32_e32 v55, vcc, s9, v13
	v_addc_co_u32_e32 v56, vcc, 0, v14, vcc
	v_add_co_u32_e32 v69, vcc, s14, v13
	v_addc_co_u32_e32 v70, vcc, 0, v14, vcc
	s_waitcnt vmcnt(0)
	v_subrev_u32_e32 v17, s16, v17
	v_lshlrev_b32_e32 v34, 2, v17
	v_ashrrev_i32_e32 v35, 31, v34
	v_lshlrev_b64 v[34:35], 4, v[34:35]
	global_load_dwordx4 v[17:20], v[69:70], off offset:-4096
	global_load_dwordx4 v[22:25], v[55:56], off offset:48
	global_load_dwordx4 v[26:29], v[55:56], off offset:32
	;; [unrolled: 1-line block ×3, first 2 shown]
	v_add_co_u32_e32 v71, vcc, s8, v34
	v_addc_co_u32_e32 v72, vcc, v40, v35, vcc
	global_load_dwordx4 v[34:37], v[71:72], off offset:48
	global_load_dwordx4 v[41:44], v[71:72], off offset:32
	;; [unrolled: 1-line block ×3, first 2 shown]
	global_load_dwordx4 v[49:52], v[71:72], off
	s_waitcnt vmcnt(0)
	v_fma_f64 v[57:58], v[49:50], 0, v[57:58]
	v_fma_f64 v[38:39], v[17:18], v[49:50], v[38:39]
	;; [unrolled: 1-line block ×32, first 2 shown]
	global_load_dwordx4 v[17:20], v[55:56], off offset:112
	global_load_dwordx4 v[22:25], v[55:56], off offset:96
	;; [unrolled: 1-line block ×4, first 2 shown]
	v_fma_f64 v[47:48], v[41:42], 0, v[49:50]
	v_fma_f64 v[49:50], v[41:42], 0, v[53:54]
	s_waitcnt vmcnt(0)
	v_fma_f64 v[38:39], v[30:31], v[41:42], v[38:39]
	v_fma_f64 v[30:31], v[30:31], v[43:44], v[47:48]
	;; [unrolled: 1-line block ×30, first 2 shown]
	global_load_dword v17, v[15:16], off
	s_waitcnt vmcnt(0)
	v_subrev_u32_e32 v17, s16, v17
	v_lshlrev_b32_e32 v34, 2, v17
	v_ashrrev_i32_e32 v35, 31, v34
	v_lshlrev_b64 v[34:35], 4, v[34:35]
	global_load_dwordx4 v[17:20], v[69:70], off
	global_load_dwordx4 v[22:25], v[69:70], off offset:48
	global_load_dwordx4 v[26:29], v[69:70], off offset:32
	;; [unrolled: 1-line block ×3, first 2 shown]
	v_add_co_u32_e32 v67, vcc, s8, v34
	v_addc_co_u32_e32 v68, vcc, v40, v35, vcc
	global_load_dwordx4 v[34:37], v[67:68], off offset:48
	global_load_dwordx4 v[41:44], v[67:68], off offset:32
	;; [unrolled: 1-line block ×3, first 2 shown]
	global_load_dwordx4 v[49:52], v[67:68], off
	s_waitcnt vmcnt(0)
	v_fma_f64 v[53:54], v[49:50], 0, v[53:54]
	v_fma_f64 v[38:39], v[17:18], v[49:50], v[38:39]
	;; [unrolled: 1-line block ×32, first 2 shown]
	global_load_dwordx4 v[30:33], v[69:70], off offset:112
	global_load_dwordx4 v[22:25], v[69:70], off offset:96
	;; [unrolled: 1-line block ×4, first 2 shown]
	v_fma_f64 v[47:48], v[41:42], 0, v[49:50]
	v_fma_f64 v[49:50], v[41:42], 0, v[53:54]
	s_waitcnt vmcnt(0)
	v_fma_f64 v[38:39], v[26:27], v[41:42], v[38:39]
	v_fma_f64 v[26:27], v[26:27], v[43:44], v[47:48]
	;; [unrolled: 1-line block ×30, first 2 shown]
	global_load_dword v34, v[15:16], off offset:128
	s_waitcnt vmcnt(0)
	v_subrev_u32_e32 v34, s16, v34
	v_lshlrev_b32_e32 v53, 2, v34
	v_ashrrev_i32_e32 v54, 31, v53
	v_add_co_u32_e32 v34, vcc, s15, v13
	v_lshlrev_b64 v[53:54], 4, v[53:54]
	v_addc_co_u32_e32 v35, vcc, 0, v14, vcc
	v_add_co_u32_e32 v69, vcc, s8, v53
	v_addc_co_u32_e32 v70, vcc, v40, v54, vcc
	global_load_dwordx4 v[36:39], v[34:35], off
	global_load_dwordx4 v[41:44], v[34:35], off offset:48
	global_load_dwordx4 v[45:48], v[34:35], off offset:32
	;; [unrolled: 1-line block ×6, first 2 shown]
	global_load_dwordx4 v[65:68], v[69:70], off
	v_add_co_u32_e32 v9, vcc, 0x80, v9
	v_addc_co_u32_e32 v10, vcc, 0, v10, vcc
	v_add_co_u32_e32 v15, vcc, 0x200, v15
	v_addc_co_u32_e32 v16, vcc, 0, v16, vcc
	v_cmp_ge_i64_e64 s[0:1], v[9:10], v[11:12]
	v_add_co_u32_e32 v13, vcc, 0x4000, v13
	v_addc_co_u32_e32 v14, vcc, 0, v14, vcc
	s_or_b64 s[10:11], s[0:1], s[10:11]
	s_waitcnt vmcnt(0)
	v_fma_f64 v[17:18], v[36:37], v[65:66], v[17:18]
	v_fma_f64 v[19:20], v[65:66], 0, v[19:20]
	v_fma_f64 v[22:23], v[38:39], v[65:66], v[22:23]
	v_fma_f64 v[24:25], v[65:66], 0, v[24:25]
	v_fma_f64 v[26:27], v[49:50], v[65:66], v[26:27]
	v_fma_f64 v[28:29], v[65:66], 0, v[28:29]
	v_fma_f64 v[30:31], v[51:52], v[65:66], v[30:31]
	v_fma_f64 v[32:33], v[65:66], 0, v[32:33]
	v_fma_f64 v[17:18], v[67:68], s[12:13], v[17:18]
	v_fma_f64 v[19:20], v[36:37], v[67:68], v[19:20]
	v_fma_f64 v[22:23], v[67:68], s[12:13], v[22:23]
	v_fma_f64 v[24:25], v[38:39], v[67:68], v[24:25]
	v_fma_f64 v[26:27], v[67:68], s[12:13], v[26:27]
	v_fma_f64 v[28:29], v[49:50], v[67:68], v[28:29]
	v_fma_f64 v[30:31], v[67:68], s[12:13], v[30:31]
	v_fma_f64 v[32:33], v[51:52], v[67:68], v[32:33]
	v_fma_f64 v[17:18], v[45:46], v[61:62], v[17:18]
	v_fma_f64 v[36:37], v[63:64], s[12:13], v[17:18]
	v_fma_f64 v[17:18], v[61:62], 0, v[19:20]
	v_fma_f64 v[38:39], v[45:46], v[63:64], v[17:18]
	v_fma_f64 v[17:18], v[47:48], v[61:62], v[22:23]
	v_fma_f64 v[45:46], v[63:64], s[12:13], v[17:18]
	v_fma_f64 v[17:18], v[61:62], 0, v[24:25]
	v_fma_f64 v[47:48], v[47:48], v[63:64], v[17:18]
	v_fma_f64 v[17:18], v[41:42], v[61:62], v[26:27]
	v_fma_f64 v[49:50], v[63:64], s[12:13], v[17:18]
	v_fma_f64 v[17:18], v[61:62], 0, v[28:29]
	v_fma_f64 v[41:42], v[41:42], v[63:64], v[17:18]
	v_fma_f64 v[17:18], v[43:44], v[61:62], v[30:31]
	v_fma_f64 v[51:52], v[63:64], s[12:13], v[17:18]
	v_fma_f64 v[17:18], v[61:62], 0, v[32:33]
	v_fma_f64 v[43:44], v[43:44], v[63:64], v[17:18]
	global_load_dwordx4 v[17:20], v[34:35], off offset:112
	global_load_dwordx4 v[22:25], v[34:35], off offset:96
	;; [unrolled: 1-line block ×4, first 2 shown]
	s_waitcnt vmcnt(0)
	v_fma_f64 v[34:35], v[30:31], v[57:58], v[36:37]
	v_fma_f64 v[36:37], v[57:58], 0, v[38:39]
	;; [unrolled: 1-line block ×32, first 2 shown]
	s_andn2_b64 exec, exec, s[10:11]
	s_cbranch_execnz .LBB143_31
; %bb.32:
	s_or_b64 exec, exec, s[10:11]
.LBB143_33:
	s_or_b64 exec, exec, s[6:7]
.LBB143_34:
	s_or_b64 exec, exec, s[2:3]
.LBB143_35:
	v_mov_b32_dpp v9, v38 row_shr:1 row_mask:0xf bank_mask:0xf
	v_mov_b32_dpp v10, v39 row_shr:1 row_mask:0xf bank_mask:0xf
	v_add_f64 v[9:10], v[38:39], v[9:10]
	v_mov_b32_dpp v11, v34 row_shr:1 row_mask:0xf bank_mask:0xf
	v_mov_b32_dpp v12, v35 row_shr:1 row_mask:0xf bank_mask:0xf
	v_add_f64 v[11:12], v[34:35], v[11:12]
	v_mov_b32_dpp v13, v30 row_shr:1 row_mask:0xf bank_mask:0xf
	v_cmp_eq_u32_e32 vcc, 31, v0
	v_mov_b32_dpp v14, v9 row_shr:2 row_mask:0xf bank_mask:0xf
	v_mov_b32_dpp v15, v10 row_shr:2 row_mask:0xf bank_mask:0xf
	v_add_f64 v[9:10], v[9:10], v[14:15]
	v_mov_b32_dpp v14, v31 row_shr:1 row_mask:0xf bank_mask:0xf
	v_mov_b32_dpp v16, v11 row_shr:2 row_mask:0xf bank_mask:0xf
	;; [unrolled: 1-line block ×4, first 2 shown]
	v_add_f64 v[13:14], v[30:31], v[13:14]
	v_add_f64 v[11:12], v[11:12], v[16:17]
	v_mov_b32_dpp v16, v29 row_shr:1 row_mask:0xf bank_mask:0xf
	v_add_f64 v[15:16], v[28:29], v[15:16]
	v_mov_b32_dpp v17, v9 row_shr:4 row_mask:0xf bank_mask:0xe
	v_mov_b32_dpp v18, v10 row_shr:4 row_mask:0xf bank_mask:0xe
	v_add_f64 v[9:10], v[9:10], v[17:18]
	v_mov_b32_dpp v17, v13 row_shr:2 row_mask:0xf bank_mask:0xf
	v_mov_b32_dpp v18, v14 row_shr:2 row_mask:0xf bank_mask:0xf
	;; [unrolled: 1-line block ×4, first 2 shown]
	v_add_f64 v[11:12], v[11:12], v[19:20]
	v_add_f64 v[13:14], v[13:14], v[17:18]
	v_mov_b32_dpp v18, v15 row_shr:2 row_mask:0xf bank_mask:0xf
	v_mov_b32_dpp v19, v16 row_shr:2 row_mask:0xf bank_mask:0xf
	v_add_f64 v[15:16], v[15:16], v[18:19]
	v_mov_b32_dpp v17, v9 row_shr:8 row_mask:0xf bank_mask:0xc
	v_mov_b32_dpp v18, v10 row_shr:8 row_mask:0xf bank_mask:0xc
	;; [unrolled: 3-line block ×3, first 2 shown]
	v_mov_b32_dpp v20, v14 row_shr:4 row_mask:0xf bank_mask:0xe
	v_add_f64 v[13:14], v[13:14], v[19:20]
	v_mov_b32_dpp v19, v15 row_shr:4 row_mask:0xf bank_mask:0xe
	v_mov_b32_dpp v20, v16 row_shr:4 row_mask:0xf bank_mask:0xe
	v_add_f64 v[15:16], v[15:16], v[19:20]
	v_mov_b32_dpp v19, v36 row_shr:1 row_mask:0xf bank_mask:0xf
	;; [unrolled: 3-line block ×3, first 2 shown]
	v_add_f64 v[11:12], v[11:12], v[17:18]
	v_mov_b32_dpp v17, v13 row_shr:8 row_mask:0xf bank_mask:0xc
	v_mov_b32_dpp v18, v14 row_shr:8 row_mask:0xf bank_mask:0xc
	v_add_f64 v[13:14], v[13:14], v[17:18]
	v_mov_b32_dpp v17, v15 row_shr:8 row_mask:0xf bank_mask:0xc
	v_mov_b32_dpp v18, v16 row_shr:8 row_mask:0xf bank_mask:0xc
	;; [unrolled: 3-line block ×3, first 2 shown]
	v_add_f64 v[30:31], v[19:20], v[17:18]
	v_mov_b32_dpp v28, v9 row_bcast:15 row_mask:0xa bank_mask:0xf
	v_mov_b32_dpp v29, v10 row_bcast:15 row_mask:0xa bank_mask:0xf
	;; [unrolled: 1-line block ×7, first 2 shown]
	v_mov_b32_dpp v34, v30 row_shr:4 row_mask:0xf bank_mask:0xe
	v_mov_b32_dpp v35, v31 row_shr:4 row_mask:0xf bank_mask:0xe
	v_add_f64 v[30:31], v[30:31], v[34:35]
	v_mov_b32_dpp v34, v32 row_shr:1 row_mask:0xf bank_mask:0xf
	v_mov_b32_dpp v35, v33 row_shr:1 row_mask:0xf bank_mask:0xf
	v_add_f64 v[32:33], v[32:33], v[34:35]
	;; [unrolled: 3-line block ×4, first 2 shown]
	v_mov_b32_dpp v34, v30 row_shr:8 row_mask:0xf bank_mask:0xc
	v_mov_b32_dpp v35, v32 row_shr:2 row_mask:0xf bank_mask:0xf
	v_mov_b32_dpp v36, v33 row_shr:2 row_mask:0xf bank_mask:0xf
	v_add_f64 v[32:33], v[32:33], v[35:36]
	v_mov_b32_dpp v35, v26 row_shr:2 row_mask:0xf bank_mask:0xf
	v_mov_b32_dpp v36, v27 row_shr:2 row_mask:0xf bank_mask:0xf
	v_add_f64 v[26:27], v[26:27], v[35:36]
	v_mov_b32_dpp v35, v22 row_shr:2 row_mask:0xf bank_mask:0xf
	v_mov_b32_dpp v36, v23 row_shr:2 row_mask:0xf bank_mask:0xf
	;; [unrolled: 3-line block ×3, first 2 shown]
	v_mov_b32_dpp v37, v33 row_shr:4 row_mask:0xf bank_mask:0xe
	v_add_f64 v[32:33], v[32:33], v[36:37]
	v_mov_b32_dpp v36, v26 row_shr:4 row_mask:0xf bank_mask:0xe
	v_mov_b32_dpp v37, v27 row_shr:4 row_mask:0xf bank_mask:0xe
	v_add_f64 v[36:37], v[26:27], v[36:37]
	v_mov_b32_dpp v26, v22 row_shr:4 row_mask:0xf bank_mask:0xe
	v_mov_b32_dpp v27, v23 row_shr:4 row_mask:0xf bank_mask:0xe
	v_add_f64 v[38:39], v[22:23], v[26:27]
	v_add_f64 v[22:23], v[30:31], v[34:35]
	v_mov_b32_dpp v26, v32 row_shr:8 row_mask:0xf bank_mask:0xc
	v_mov_b32_dpp v27, v33 row_shr:8 row_mask:0xf bank_mask:0xc
	v_add_f64 v[26:27], v[32:33], v[26:27]
	v_mov_b32_dpp v30, v36 row_shr:8 row_mask:0xf bank_mask:0xc
	v_mov_b32_dpp v31, v37 row_shr:8 row_mask:0xf bank_mask:0xc
	;; [unrolled: 3-line block ×3, first 2 shown]
	v_add_f64 v[32:33], v[38:39], v[32:33]
	v_mov_b32_dpp v18, v16 row_bcast:15 row_mask:0xa bank_mask:0xf
	v_mov_b32_dpp v40, v22 row_bcast:15 row_mask:0xa bank_mask:0xf
	;; [unrolled: 1-line block ×9, first 2 shown]
	s_and_b64 exec, exec, vcc
	s_cbranch_execz .LBB143_8
; %bb.36:
	v_add_f64 v[11:12], v[11:12], v[24:25]
	v_add_f64 v[24:25], v[13:14], v[19:20]
	;; [unrolled: 1-line block ×8, first 2 shown]
	v_mul_f64 v[19:20], v[11:12], -v[7:8]
	v_mul_f64 v[11:12], v[5:6], v[11:12]
	v_mul_f64 v[28:29], v[13:14], -v[7:8]
	v_mul_f64 v[30:31], v[5:6], v[13:14]
	;; [unrolled: 2-line block ×4, first 2 shown]
	v_cmp_eq_f64_e32 vcc, 0, v[1:2]
	v_cmp_eq_f64_e64 s[0:1], 0, v[3:4]
	v_fma_f64 v[17:18], v[5:6], v[9:10], v[19:20]
	v_fma_f64 v[19:20], v[7:8], v[9:10], v[11:12]
	;; [unrolled: 1-line block ×8, first 2 shown]
	s_load_dwordx2 s[2:3], s[4:5], 0x60
	s_and_b64 s[0:1], vcc, s[0:1]
	v_lshlrev_b32_e32 v21, 2, v21
	s_and_saveexec_b64 s[4:5], s[0:1]
	s_xor_b64 s[0:1], exec, s[4:5]
	s_cbranch_execz .LBB143_38
; %bb.37:
	v_ashrrev_i32_e32 v22, 31, v21
	v_lshlrev_b64 v[0:1], 4, v[21:22]
	s_waitcnt lgkmcnt(0)
	v_mov_b32_e32 v2, s3
	v_add_co_u32_e32 v0, vcc, s2, v0
	v_addc_co_u32_e32 v1, vcc, v2, v1, vcc
	global_store_dwordx4 v[0:1], v[17:20], off
	global_store_dwordx4 v[0:1], v[13:16], off offset:16
	global_store_dwordx4 v[0:1], v[9:12], off offset:32
	;; [unrolled: 1-line block ×3, first 2 shown]
                                        ; implicit-def: $vgpr3_vgpr4
                                        ; implicit-def: $vgpr17_vgpr18
                                        ; implicit-def: $vgpr21
                                        ; implicit-def: $vgpr13_vgpr14
                                        ; implicit-def: $vgpr9_vgpr10
                                        ; implicit-def: $vgpr5_vgpr6
.LBB143_38:
	s_andn2_saveexec_b64 s[0:1], s[0:1]
	s_cbranch_execz .LBB143_8
; %bb.39:
	v_ashrrev_i32_e32 v22, 31, v21
	v_lshlrev_b64 v[21:22], 4, v[21:22]
	s_waitcnt lgkmcnt(0)
	v_mov_b32_e32 v0, s3
	v_add_co_u32_e32 v37, vcc, s2, v21
	v_addc_co_u32_e32 v38, vcc, v0, v22, vcc
	global_load_dwordx4 v[21:24], v[37:38], off
	global_load_dwordx4 v[25:28], v[37:38], off offset:16
	global_load_dwordx4 v[29:32], v[37:38], off offset:32
	;; [unrolled: 1-line block ×3, first 2 shown]
	s_waitcnt vmcnt(3)
	v_fma_f64 v[17:18], v[1:2], v[21:22], v[17:18]
	v_fma_f64 v[19:20], v[3:4], v[21:22], v[19:20]
	s_waitcnt vmcnt(2)
	v_fma_f64 v[13:14], v[1:2], v[25:26], v[13:14]
	v_fma_f64 v[15:16], v[3:4], v[25:26], v[15:16]
	;; [unrolled: 3-line block ×4, first 2 shown]
	v_fma_f64 v[5:6], -v[3:4], v[23:24], v[17:18]
	v_fma_f64 v[7:8], v[1:2], v[23:24], v[19:20]
	v_fma_f64 v[9:10], -v[3:4], v[27:28], v[13:14]
	v_fma_f64 v[11:12], v[1:2], v[27:28], v[15:16]
	;; [unrolled: 2-line block ×4, first 2 shown]
	global_store_dwordx4 v[37:38], v[5:8], off
	global_store_dwordx4 v[37:38], v[9:12], off offset:16
	global_store_dwordx4 v[37:38], v[13:16], off offset:32
	;; [unrolled: 1-line block ×3, first 2 shown]
	s_endpgm
	.section	.rodata,"a",@progbits
	.p2align	6, 0x0
	.amdhsa_kernel _ZN9rocsparseL18bsrxmvn_4x4_kernelILj128ELj32E21rocsparse_complex_numIdElidS2_S2_EEvT3_20rocsparse_direction_NS_24const_host_device_scalarIT1_EES3_PKS3_PKT2_SC_S9_PKT4_PKT5_S7_PT6_21rocsparse_index_base_b
		.amdhsa_group_segment_fixed_size 0
		.amdhsa_private_segment_fixed_size 0
		.amdhsa_kernarg_size 112
		.amdhsa_user_sgpr_count 6
		.amdhsa_user_sgpr_private_segment_buffer 1
		.amdhsa_user_sgpr_dispatch_ptr 0
		.amdhsa_user_sgpr_queue_ptr 0
		.amdhsa_user_sgpr_kernarg_segment_ptr 1
		.amdhsa_user_sgpr_dispatch_id 0
		.amdhsa_user_sgpr_flat_scratch_init 0
		.amdhsa_user_sgpr_private_segment_size 0
		.amdhsa_uses_dynamic_stack 0
		.amdhsa_system_sgpr_private_segment_wavefront_offset 0
		.amdhsa_system_sgpr_workgroup_id_x 1
		.amdhsa_system_sgpr_workgroup_id_y 0
		.amdhsa_system_sgpr_workgroup_id_z 0
		.amdhsa_system_sgpr_workgroup_info 0
		.amdhsa_system_vgpr_workitem_id 0
		.amdhsa_next_free_vgpr 89
		.amdhsa_next_free_sgpr 22
		.amdhsa_reserve_vcc 1
		.amdhsa_reserve_flat_scratch 0
		.amdhsa_float_round_mode_32 0
		.amdhsa_float_round_mode_16_64 0
		.amdhsa_float_denorm_mode_32 3
		.amdhsa_float_denorm_mode_16_64 3
		.amdhsa_dx10_clamp 1
		.amdhsa_ieee_mode 1
		.amdhsa_fp16_overflow 0
		.amdhsa_exception_fp_ieee_invalid_op 0
		.amdhsa_exception_fp_denorm_src 0
		.amdhsa_exception_fp_ieee_div_zero 0
		.amdhsa_exception_fp_ieee_overflow 0
		.amdhsa_exception_fp_ieee_underflow 0
		.amdhsa_exception_fp_ieee_inexact 0
		.amdhsa_exception_int_div_zero 0
	.end_amdhsa_kernel
	.section	.text._ZN9rocsparseL18bsrxmvn_4x4_kernelILj128ELj32E21rocsparse_complex_numIdElidS2_S2_EEvT3_20rocsparse_direction_NS_24const_host_device_scalarIT1_EES3_PKS3_PKT2_SC_S9_PKT4_PKT5_S7_PT6_21rocsparse_index_base_b,"axG",@progbits,_ZN9rocsparseL18bsrxmvn_4x4_kernelILj128ELj32E21rocsparse_complex_numIdElidS2_S2_EEvT3_20rocsparse_direction_NS_24const_host_device_scalarIT1_EES3_PKS3_PKT2_SC_S9_PKT4_PKT5_S7_PT6_21rocsparse_index_base_b,comdat
.Lfunc_end143:
	.size	_ZN9rocsparseL18bsrxmvn_4x4_kernelILj128ELj32E21rocsparse_complex_numIdElidS2_S2_EEvT3_20rocsparse_direction_NS_24const_host_device_scalarIT1_EES3_PKS3_PKT2_SC_S9_PKT4_PKT5_S7_PT6_21rocsparse_index_base_b, .Lfunc_end143-_ZN9rocsparseL18bsrxmvn_4x4_kernelILj128ELj32E21rocsparse_complex_numIdElidS2_S2_EEvT3_20rocsparse_direction_NS_24const_host_device_scalarIT1_EES3_PKS3_PKT2_SC_S9_PKT4_PKT5_S7_PT6_21rocsparse_index_base_b
                                        ; -- End function
	.set _ZN9rocsparseL18bsrxmvn_4x4_kernelILj128ELj32E21rocsparse_complex_numIdElidS2_S2_EEvT3_20rocsparse_direction_NS_24const_host_device_scalarIT1_EES3_PKS3_PKT2_SC_S9_PKT4_PKT5_S7_PT6_21rocsparse_index_base_b.num_vgpr, 89
	.set _ZN9rocsparseL18bsrxmvn_4x4_kernelILj128ELj32E21rocsparse_complex_numIdElidS2_S2_EEvT3_20rocsparse_direction_NS_24const_host_device_scalarIT1_EES3_PKS3_PKT2_SC_S9_PKT4_PKT5_S7_PT6_21rocsparse_index_base_b.num_agpr, 0
	.set _ZN9rocsparseL18bsrxmvn_4x4_kernelILj128ELj32E21rocsparse_complex_numIdElidS2_S2_EEvT3_20rocsparse_direction_NS_24const_host_device_scalarIT1_EES3_PKS3_PKT2_SC_S9_PKT4_PKT5_S7_PT6_21rocsparse_index_base_b.numbered_sgpr, 22
	.set _ZN9rocsparseL18bsrxmvn_4x4_kernelILj128ELj32E21rocsparse_complex_numIdElidS2_S2_EEvT3_20rocsparse_direction_NS_24const_host_device_scalarIT1_EES3_PKS3_PKT2_SC_S9_PKT4_PKT5_S7_PT6_21rocsparse_index_base_b.num_named_barrier, 0
	.set _ZN9rocsparseL18bsrxmvn_4x4_kernelILj128ELj32E21rocsparse_complex_numIdElidS2_S2_EEvT3_20rocsparse_direction_NS_24const_host_device_scalarIT1_EES3_PKS3_PKT2_SC_S9_PKT4_PKT5_S7_PT6_21rocsparse_index_base_b.private_seg_size, 0
	.set _ZN9rocsparseL18bsrxmvn_4x4_kernelILj128ELj32E21rocsparse_complex_numIdElidS2_S2_EEvT3_20rocsparse_direction_NS_24const_host_device_scalarIT1_EES3_PKS3_PKT2_SC_S9_PKT4_PKT5_S7_PT6_21rocsparse_index_base_b.uses_vcc, 1
	.set _ZN9rocsparseL18bsrxmvn_4x4_kernelILj128ELj32E21rocsparse_complex_numIdElidS2_S2_EEvT3_20rocsparse_direction_NS_24const_host_device_scalarIT1_EES3_PKS3_PKT2_SC_S9_PKT4_PKT5_S7_PT6_21rocsparse_index_base_b.uses_flat_scratch, 0
	.set _ZN9rocsparseL18bsrxmvn_4x4_kernelILj128ELj32E21rocsparse_complex_numIdElidS2_S2_EEvT3_20rocsparse_direction_NS_24const_host_device_scalarIT1_EES3_PKS3_PKT2_SC_S9_PKT4_PKT5_S7_PT6_21rocsparse_index_base_b.has_dyn_sized_stack, 0
	.set _ZN9rocsparseL18bsrxmvn_4x4_kernelILj128ELj32E21rocsparse_complex_numIdElidS2_S2_EEvT3_20rocsparse_direction_NS_24const_host_device_scalarIT1_EES3_PKS3_PKT2_SC_S9_PKT4_PKT5_S7_PT6_21rocsparse_index_base_b.has_recursion, 0
	.set _ZN9rocsparseL18bsrxmvn_4x4_kernelILj128ELj32E21rocsparse_complex_numIdElidS2_S2_EEvT3_20rocsparse_direction_NS_24const_host_device_scalarIT1_EES3_PKS3_PKT2_SC_S9_PKT4_PKT5_S7_PT6_21rocsparse_index_base_b.has_indirect_call, 0
	.section	.AMDGPU.csdata,"",@progbits
; Kernel info:
; codeLenInByte = 9820
; TotalNumSgprs: 26
; NumVgprs: 89
; ScratchSize: 0
; MemoryBound: 0
; FloatMode: 240
; IeeeMode: 1
; LDSByteSize: 0 bytes/workgroup (compile time only)
; SGPRBlocks: 3
; VGPRBlocks: 22
; NumSGPRsForWavesPerEU: 26
; NumVGPRsForWavesPerEU: 89
; Occupancy: 2
; WaveLimiterHint : 1
; COMPUTE_PGM_RSRC2:SCRATCH_EN: 0
; COMPUTE_PGM_RSRC2:USER_SGPR: 6
; COMPUTE_PGM_RSRC2:TRAP_HANDLER: 0
; COMPUTE_PGM_RSRC2:TGID_X_EN: 1
; COMPUTE_PGM_RSRC2:TGID_Y_EN: 0
; COMPUTE_PGM_RSRC2:TGID_Z_EN: 0
; COMPUTE_PGM_RSRC2:TIDIG_COMP_CNT: 0
	.section	.text._ZN9rocsparseL18bsrxmvn_4x4_kernelILj128ELj64E21rocsparse_complex_numIdElidS2_S2_EEvT3_20rocsparse_direction_NS_24const_host_device_scalarIT1_EES3_PKS3_PKT2_SC_S9_PKT4_PKT5_S7_PT6_21rocsparse_index_base_b,"axG",@progbits,_ZN9rocsparseL18bsrxmvn_4x4_kernelILj128ELj64E21rocsparse_complex_numIdElidS2_S2_EEvT3_20rocsparse_direction_NS_24const_host_device_scalarIT1_EES3_PKS3_PKT2_SC_S9_PKT4_PKT5_S7_PT6_21rocsparse_index_base_b,comdat
	.globl	_ZN9rocsparseL18bsrxmvn_4x4_kernelILj128ELj64E21rocsparse_complex_numIdElidS2_S2_EEvT3_20rocsparse_direction_NS_24const_host_device_scalarIT1_EES3_PKS3_PKT2_SC_S9_PKT4_PKT5_S7_PT6_21rocsparse_index_base_b ; -- Begin function _ZN9rocsparseL18bsrxmvn_4x4_kernelILj128ELj64E21rocsparse_complex_numIdElidS2_S2_EEvT3_20rocsparse_direction_NS_24const_host_device_scalarIT1_EES3_PKS3_PKT2_SC_S9_PKT4_PKT5_S7_PT6_21rocsparse_index_base_b
	.p2align	8
	.type	_ZN9rocsparseL18bsrxmvn_4x4_kernelILj128ELj64E21rocsparse_complex_numIdElidS2_S2_EEvT3_20rocsparse_direction_NS_24const_host_device_scalarIT1_EES3_PKS3_PKT2_SC_S9_PKT4_PKT5_S7_PT6_21rocsparse_index_base_b,@function
_ZN9rocsparseL18bsrxmvn_4x4_kernelILj128ELj64E21rocsparse_complex_numIdElidS2_S2_EEvT3_20rocsparse_direction_NS_24const_host_device_scalarIT1_EES3_PKS3_PKT2_SC_S9_PKT4_PKT5_S7_PT6_21rocsparse_index_base_b: ; @_ZN9rocsparseL18bsrxmvn_4x4_kernelILj128ELj64E21rocsparse_complex_numIdElidS2_S2_EEvT3_20rocsparse_direction_NS_24const_host_device_scalarIT1_EES3_PKS3_PKT2_SC_S9_PKT4_PKT5_S7_PT6_21rocsparse_index_base_b
; %bb.0:
	s_load_dwordx2 s[0:1], s[4:5], 0x8
	s_load_dwordx2 s[16:17], s[4:5], 0x68
	s_add_u32 s7, s4, 8
	s_addc_u32 s8, s5, 0
	s_add_u32 s9, s4, 0x50
	s_addc_u32 s10, s5, 0
	s_waitcnt lgkmcnt(0)
	s_bitcmp1_b32 s17, 0
	s_cselect_b32 s1, s8, s1
	s_cselect_b32 s0, s7, s0
	v_mov_b32_e32 v1, s0
	v_mov_b32_e32 v2, s1
	flat_load_dwordx4 v[5:8], v[1:2]
	s_load_dwordx2 s[2:3], s[4:5], 0x50
	s_waitcnt lgkmcnt(0)
	s_cselect_b32 s0, s10, s3
	s_cselect_b32 s1, s9, s2
	v_mov_b32_e32 v1, s1
	v_mov_b32_e32 v2, s0
	flat_load_dwordx4 v[1:4], v[1:2]
	s_waitcnt vmcnt(0)
	v_cmp_eq_f64_e32 vcc, 0, v[5:6]
	v_cmp_eq_f64_e64 s[0:1], 0, v[7:8]
	s_and_b64 s[8:9], vcc, s[0:1]
	s_mov_b64 s[0:1], -1
	s_and_saveexec_b64 s[2:3], s[8:9]
	s_cbranch_execz .LBB144_2
; %bb.1:
	s_waitcnt lgkmcnt(0)
	v_cmp_neq_f64_e32 vcc, 1.0, v[1:2]
	v_cmp_neq_f64_e64 s[0:1], 0, v[3:4]
	s_or_b64 s[0:1], vcc, s[0:1]
	s_orn2_b64 s[0:1], s[0:1], exec
.LBB144_2:
	s_or_b64 exec, exec, s[2:3]
	s_and_saveexec_b64 s[2:3], s[0:1]
	s_cbranch_execz .LBB144_8
; %bb.3:
	s_load_dwordx2 s[8:9], s[4:5], 0x20
	s_load_dwordx2 s[0:1], s[4:5], 0x0
	v_lshrrev_b32_e32 v9, 6, v0
	v_lshl_or_b32 v21, s6, 1, v9
	s_mov_b64 s[2:3], 0
	s_waitcnt lgkmcnt(0)
	s_cmp_lg_u64 s[8:9], 0
	s_cbranch_scc0 .LBB144_9
; %bb.4:
	s_load_dword s6, s[4:5], 0x18
                                        ; implicit-def: $vgpr9
	s_waitcnt lgkmcnt(0)
	v_cmp_gt_i32_e32 vcc, s6, v21
	s_and_saveexec_b64 s[6:7], vcc
	s_xor_b64 s[6:7], exec, s[6:7]
	s_cbranch_execz .LBB144_6
; %bb.5:
	v_ashrrev_i32_e32 v22, 31, v21
	v_lshlrev_b64 v[9:10], 2, v[21:22]
	v_mov_b32_e32 v11, s9
	v_add_co_u32_e32 v9, vcc, s8, v9
	v_addc_co_u32_e32 v10, vcc, v11, v10, vcc
	global_load_dword v9, v[9:10], off
	s_mov_b64 s[2:3], exec
	s_waitcnt vmcnt(0)
	v_subrev_u32_e32 v9, s16, v9
.LBB144_6:
	s_or_b64 exec, exec, s[6:7]
	s_branch .LBB144_10
.LBB144_7:
	v_cmp_gt_i32_e32 vcc, s0, v21
	s_andn2_b64 s[2:3], s[2:3], exec
	s_and_b64 s[6:7], vcc, exec
	s_or_b64 s[2:3], s[2:3], s[6:7]
	s_and_b64 exec, exec, s[2:3]
	s_cbranch_execnz .LBB144_11
.LBB144_8:
	s_endpgm
.LBB144_9:
                                        ; implicit-def: $vgpr9
	s_cbranch_execnz .LBB144_7
.LBB144_10:
	v_mov_b32_e32 v21, v9
	s_and_b64 exec, exec, s[2:3]
	s_cbranch_execz .LBB144_8
.LBB144_11:
	s_load_dwordx8 s[8:15], s[4:5], 0x28
	v_ashrrev_i32_e32 v22, 31, v21
	v_lshlrev_b64 v[9:10], 3, v[21:22]
	v_and_b32_e32 v0, 63, v0
	s_waitcnt lgkmcnt(0)
	v_mov_b32_e32 v12, s9
	v_add_co_u32_e32 v11, vcc, s8, v9
	v_addc_co_u32_e32 v12, vcc, v12, v10, vcc
	global_load_dwordx2 v[15:16], v[11:12], off
	v_add_co_u32_e32 v11, vcc, 8, v11
	v_addc_co_u32_e32 v12, vcc, 0, v12, vcc
	v_mov_b32_e32 v13, s11
	v_add_co_u32_e32 v9, vcc, s10, v9
	s_cmp_eq_u64 s[10:11], 0
	v_addc_co_u32_e32 v10, vcc, v13, v10, vcc
	s_cselect_b64 vcc, -1, 0
	v_cndmask_b32_e32 v10, v10, v12, vcc
	v_cndmask_b32_e32 v9, v9, v11, vcc
	global_load_dwordx2 v[11:12], v[9:10], off
	s_load_dwordx2 s[8:9], s[4:5], 0x48
	v_mov_b32_e32 v17, s15
	s_cmp_eq_u32 s1, 1
	s_waitcnt vmcnt(1)
	v_subrev_co_u32_e32 v9, vcc, s16, v15
	v_subbrev_co_u32_e32 v10, vcc, 0, v16, vcc
	v_add_co_u32_e32 v9, vcc, v9, v0
	v_addc_co_u32_e32 v10, vcc, 0, v10, vcc
	v_lshlrev_b64 v[13:14], 7, v[9:10]
	s_waitcnt vmcnt(0)
	v_subrev_co_u32_e32 v11, vcc, s16, v11
	v_subbrev_co_u32_e32 v12, vcc, 0, v12, vcc
	v_cmp_lt_i64_e64 s[0:1], v[9:10], v[11:12]
	v_add_co_u32_e32 v13, vcc, s14, v13
	v_addc_co_u32_e32 v14, vcc, v17, v14, vcc
	s_cbranch_scc1 .LBB144_23
; %bb.12:
	v_mov_b32_e32 v34, 0
	v_mov_b32_e32 v38, 0
	;; [unrolled: 1-line block ×16, first 2 shown]
	s_and_saveexec_b64 s[10:11], s[0:1]
	s_cbranch_execz .LBB144_22
; %bb.13:
	v_or_b32_e32 v17, 64, v0
	v_subrev_co_u32_e32 v17, vcc, s16, v17
	v_subb_co_u32_e64 v18, s[2:3], 0, 0, vcc
	v_add_co_u32_e32 v17, vcc, v17, v15
	v_addc_co_u32_e32 v18, vcc, v18, v16, vcc
	v_cmp_gt_i64_e32 vcc, v[17:18], v[11:12]
	v_not_b32_e32 v20, v15
	v_cndmask_b32_e32 v18, v12, v18, vcc
	v_cndmask_b32_e32 v17, v11, v17, vcc
	v_sub_co_u32_e32 v22, vcc, s16, v0
	v_not_b32_e32 v19, v16
	v_subb_co_u32_e64 v23, s[2:3], 0, 0, vcc
	v_add_co_u32_e32 v20, vcc, v22, v20
	v_addc_co_u32_e32 v19, vcc, v23, v19, vcc
	v_add_co_u32_e32 v26, vcc, v20, v17
	v_addc_co_u32_e32 v27, vcc, v19, v18, vcc
	v_and_b32_e32 v17, 0xc0, v26
	v_mov_b32_e32 v18, 0
	s_mov_b64 s[2:3], 0xc0
	v_cmp_ne_u64_e32 vcc, s[2:3], v[17:18]
	v_mov_b32_e32 v24, 0
	v_mov_b32_e32 v22, 0
	;; [unrolled: 1-line block ×20, first 2 shown]
	s_and_saveexec_b64 s[14:15], vcc
	s_cbranch_execz .LBB144_17
; %bb.14:
	v_lshrrev_b32_e32 v17, 6, v26
	v_add_u32_e32 v17, 1, v17
	v_and_b32_e32 v19, 3, v17
	v_lshlrev_b64 v[17:18], 2, v[9:10]
	v_mov_b32_e32 v20, s13
	v_add_co_u32_e32 v40, vcc, s12, v17
	v_addc_co_u32_e32 v41, vcc, v20, v18, vcc
	v_sub_co_u32_e32 v42, vcc, 0, v19
	v_mov_b32_e32 v34, 0
	s_mov_b32 s20, 0
	v_mov_b32_e32 v18, v10
	v_mov_b32_e32 v38, 0
	;; [unrolled: 1-line block ×9, first 2 shown]
	s_mov_b64 s[18:19], 0
	v_subb_co_u32_e64 v43, s[2:3], 0, 0, vcc
	v_mov_b32_e32 v35, 0
	s_brev_b32 s21, 1
	s_movk_i32 s17, 0x2000
	s_waitcnt lgkmcnt(0)
	v_mov_b32_e32 v44, s9
	v_mov_b32_e32 v17, v9
	v_mov_b32_e32 v39, 0
	v_mov_b32_e32 v31, 0
	v_mov_b32_e32 v33, 0
	v_mov_b32_e32 v29, 0
	v_mov_b32_e32 v37, 0
	v_mov_b32_e32 v23, 0
	v_mov_b32_e32 v25, 0
	v_mov_b32_e32 v19, v13
.LBB144_15:                             ; =>This Inner Loop Header: Depth=1
	global_load_dword v65, v[40:41], off
	global_load_dwordx4 v[45:48], v[19:20], off offset:32
	global_load_dwordx4 v[49:52], v[19:20], off
	global_load_dwordx4 v[53:56], v[19:20], off offset:64
	global_load_dwordx4 v[57:60], v[19:20], off offset:96
	;; [unrolled: 1-line block ×3, first 2 shown]
	v_add_co_u32_e64 v42, s[6:7], 1, v42
	s_waitcnt vmcnt(5)
	v_subrev_u32_e32 v65, s16, v65
	v_lshlrev_b32_e32 v65, 2, v65
	v_ashrrev_i32_e32 v66, 31, v65
	v_lshlrev_b64 v[65:66], 4, v[65:66]
	v_add_co_u32_e32 v69, vcc, s8, v65
	v_addc_co_u32_e32 v70, vcc, v44, v66, vcc
	global_load_dwordx4 v[65:68], v[69:70], off
	s_waitcnt vmcnt(0)
	v_fma_f64 v[34:35], v[65:66], 0, v[34:35]
	v_fma_f64 v[28:29], v[65:66], 0, v[28:29]
	;; [unrolled: 1-line block ×12, first 2 shown]
	global_load_dwordx4 v[22:25], v[69:70], off offset:16
	v_fma_f64 v[38:39], v[67:68], s[20:21], v[38:39]
	v_fma_f64 v[32:33], v[67:68], s[20:21], v[32:33]
	;; [unrolled: 1-line block ×4, first 2 shown]
	s_waitcnt vmcnt(0)
	v_fma_f64 v[67:68], v[47:48], v[22:23], v[32:33]
	v_fma_f64 v[32:33], v[22:23], 0, v[49:50]
	;; [unrolled: 1-line block ×9, first 2 shown]
	global_load_dwordx4 v[28:31], v[19:20], off offset:16
	v_fma_f64 v[71:72], v[47:48], v[24:25], v[34:35]
	global_load_dwordx4 v[45:48], v[19:20], off offset:80
	global_load_dwordx4 v[49:52], v[19:20], off offset:112
	v_fma_f64 v[22:23], v[59:60], v[22:23], v[53:54]
	v_fma_f64 v[38:39], v[24:25], s[20:21], v[38:39]
	;; [unrolled: 1-line block ×3, first 2 shown]
	global_load_dwordx4 v[32:35], v[69:70], off offset:32
	global_load_dwordx4 v[53:56], v[69:70], off offset:48
	v_fma_f64 v[59:60], v[24:25], s[20:21], v[67:68]
	v_fma_f64 v[36:37], v[24:25], s[20:21], v[36:37]
	v_add_co_u32_e32 v19, vcc, s17, v19
	v_fma_f64 v[22:23], v[24:25], s[20:21], v[22:23]
	s_mov_b64 s[2:3], vcc
	v_add_co_u32_e32 v17, vcc, 64, v17
	v_addc_co_u32_e32 v18, vcc, 0, v18, vcc
	v_addc_co_u32_e64 v43, vcc, 0, v43, s[6:7]
	v_cmp_eq_u64_e64 s[6:7], 0, v[42:43]
	v_add_co_u32_e32 v40, vcc, 0x100, v40
	v_addc_co_u32_e64 v20, s[2:3], 0, v20, s[2:3]
	s_or_b64 s[18:19], s[6:7], s[18:19]
	v_addc_co_u32_e32 v41, vcc, 0, v41, vcc
	s_waitcnt vmcnt(1)
	v_fma_f64 v[24:25], v[32:33], 0, v[65:66]
	v_fma_f64 v[38:39], v[28:29], v[32:33], v[38:39]
	v_fma_f64 v[59:60], v[61:62], v[32:33], v[59:60]
	v_fma_f64 v[65:66], v[32:33], 0, v[71:72]
	v_fma_f64 v[36:37], v[45:46], v[32:33], v[36:37]
	v_fma_f64 v[67:68], v[32:33], 0, v[73:74]
	v_fma_f64 v[22:23], v[49:50], v[32:33], v[22:23]
	v_fma_f64 v[32:33], v[32:33], 0, v[57:58]
	v_fma_f64 v[24:25], v[28:29], v[34:35], v[24:25]
	v_fma_f64 v[28:29], v[34:35], s[20:21], v[38:39]
	v_fma_f64 v[38:39], v[34:35], s[20:21], v[59:60]
	v_fma_f64 v[57:58], v[61:62], v[34:35], v[65:66]
	v_fma_f64 v[36:37], v[34:35], s[20:21], v[36:37]
	v_fma_f64 v[45:46], v[45:46], v[34:35], v[67:68]
	v_fma_f64 v[22:23], v[34:35], s[20:21], v[22:23]
	v_fma_f64 v[32:33], v[49:50], v[34:35], v[32:33]
	s_waitcnt vmcnt(0)
	v_fma_f64 v[24:25], v[53:54], 0, v[24:25]
	v_fma_f64 v[28:29], v[30:31], v[53:54], v[28:29]
	;; [unrolled: 1-line block ×16, first 2 shown]
	s_andn2_b64 exec, exec, s[18:19]
	s_cbranch_execnz .LBB144_15
; %bb.16:
	s_or_b64 exec, exec, s[18:19]
.LBB144_17:
	s_or_b64 exec, exec, s[14:15]
	s_mov_b64 s[2:3], 0xbf
	v_cmp_lt_u64_e32 vcc, s[2:3], v[26:27]
	s_and_saveexec_b64 s[6:7], vcc
	s_cbranch_execz .LBB144_21
; %bb.18:
	v_lshlrev_b64 v[26:27], 2, v[17:18]
	v_mov_b32_e32 v40, s13
	v_add_co_u32_e32 v26, vcc, s12, v26
	v_addc_co_u32_e32 v27, vcc, v40, v27, vcc
	v_add_co_u32_e32 v26, vcc, 0x200, v26
	s_mov_b32 s18, 0
	v_addc_co_u32_e32 v27, vcc, 0, v27, vcc
	s_mov_b64 s[14:15], 0
	s_waitcnt lgkmcnt(0)
	v_mov_b32_e32 v46, s9
	s_brev_b32 s19, 1
	s_movk_i32 s17, 0x2000
	s_movk_i32 s20, 0x4000
	;; [unrolled: 1-line block ×3, first 2 shown]
.LBB144_19:                             ; =>This Inner Loop Header: Depth=1
	global_load_dword v40, v[26:27], off offset:-512
	s_waitcnt vmcnt(0)
	v_subrev_u32_e32 v40, s16, v40
	v_lshlrev_b32_e32 v44, 2, v40
	v_ashrrev_i32_e32 v45, 31, v44
	v_lshlrev_b64 v[44:45], 4, v[44:45]
	global_load_dwordx4 v[40:43], v[19:20], off offset:48
	global_load_dwordx4 v[47:50], v[19:20], off offset:32
	;; [unrolled: 1-line block ×3, first 2 shown]
	global_load_dwordx4 v[55:58], v[19:20], off
	v_add_co_u32_e32 v44, vcc, s8, v44
	v_addc_co_u32_e32 v45, vcc, v46, v45, vcc
	global_load_dwordx4 v[59:62], v[44:45], off offset:48
	global_load_dwordx4 v[63:66], v[44:45], off offset:32
	global_load_dwordx4 v[67:70], v[44:45], off offset:16
	global_load_dwordx4 v[71:74], v[44:45], off
	s_waitcnt vmcnt(0)
	v_fma_f64 v[38:39], v[55:56], v[71:72], v[38:39]
	v_fma_f64 v[32:33], v[47:48], v[71:72], v[32:33]
	;; [unrolled: 1-line block ×33, first 2 shown]
	global_load_dwordx4 v[30:33], v[19:20], off offset:112
	global_load_dwordx4 v[38:41], v[19:20], off offset:96
	;; [unrolled: 1-line block ×4, first 2 shown]
	v_fma_f64 v[77:78], v[53:54], v[61:62], v[34:35]
	s_waitcnt vmcnt(2)
	v_fma_f64 v[24:25], v[38:39], v[71:72], v[24:25]
	v_fma_f64 v[22:23], v[38:39], v[73:74], v[22:23]
	s_waitcnt vmcnt(0)
	v_fma_f64 v[34:35], v[47:48], v[71:72], v[36:37]
	v_fma_f64 v[28:29], v[47:48], v[73:74], v[28:29]
	;; [unrolled: 1-line block ×25, first 2 shown]
	global_load_dword v22, v[26:27], off offset:-256
	v_fma_f64 v[44:45], v[44:45], v[61:62], v[28:29]
	v_fma_f64 v[63:64], v[61:62], s[18:19], v[24:25]
	;; [unrolled: 1-line block ×3, first 2 shown]
	v_add_co_u32_e32 v61, vcc, s17, v19
	v_addc_co_u32_e32 v62, vcc, 0, v20, vcc
	s_waitcnt vmcnt(0)
	v_subrev_u32_e32 v22, s16, v22
	v_lshlrev_b32_e32 v40, 2, v22
	v_ashrrev_i32_e32 v41, 31, v40
	v_lshlrev_b64 v[40:41], 4, v[40:41]
	global_load_dwordx4 v[22:25], v[61:62], off
	global_load_dwordx4 v[28:31], v[61:62], off offset:48
	global_load_dwordx4 v[32:35], v[61:62], off offset:32
	;; [unrolled: 1-line block ×3, first 2 shown]
	v_add_co_u32_e32 v65, vcc, s8, v40
	v_addc_co_u32_e32 v66, vcc, v46, v41, vcc
	global_load_dwordx4 v[40:43], v[65:66], off offset:48
	global_load_dwordx4 v[47:50], v[65:66], off offset:32
	;; [unrolled: 1-line block ×3, first 2 shown]
	global_load_dwordx4 v[55:58], v[65:66], off
	s_waitcnt vmcnt(0)
	v_fma_f64 v[67:68], v[55:56], 0, v[77:78]
	v_fma_f64 v[65:66], v[22:23], v[55:56], v[75:76]
	;; [unrolled: 1-line block ×19, first 2 shown]
	v_add_co_u32_e32 v81, vcc, s20, v19
	v_addc_co_u32_e32 v82, vcc, 0, v20, vcc
	v_fma_f64 v[22:23], v[57:58], s[18:19], v[22:23]
	v_fma_f64 v[24:25], v[32:33], v[57:58], v[24:25]
	;; [unrolled: 1-line block ×14, first 2 shown]
	global_load_dwordx4 v[22:25], v[61:62], off offset:112
	global_load_dwordx4 v[28:31], v[61:62], off offset:96
	;; [unrolled: 1-line block ×4, first 2 shown]
	s_waitcnt vmcnt(0)
	v_fma_f64 v[61:62], v[36:37], v[55:56], v[83:84]
	v_fma_f64 v[36:37], v[36:37], v[57:58], v[44:45]
	;; [unrolled: 1-line block ×30, first 2 shown]
	global_load_dword v22, v[26:27], off
	v_fma_f64 v[77:78], v[42:43], s[18:19], v[28:29]
	s_waitcnt vmcnt(0)
	v_subrev_u32_e32 v22, s16, v22
	v_lshlrev_b32_e32 v40, 2, v22
	v_ashrrev_i32_e32 v41, 31, v40
	v_lshlrev_b64 v[40:41], 4, v[40:41]
	global_load_dwordx4 v[22:25], v[81:82], off
	global_load_dwordx4 v[32:35], v[81:82], off offset:48
	global_load_dwordx4 v[36:39], v[81:82], off offset:32
	;; [unrolled: 1-line block ×3, first 2 shown]
	v_add_co_u32_e32 v40, vcc, s8, v40
	v_addc_co_u32_e32 v41, vcc, v46, v41, vcc
	global_load_dwordx4 v[42:45], v[40:41], off offset:48
	global_load_dwordx4 v[47:50], v[40:41], off offset:32
	;; [unrolled: 1-line block ×3, first 2 shown]
	global_load_dwordx4 v[55:58], v[40:41], off
	s_waitcnt vmcnt(0)
	v_fma_f64 v[59:60], v[55:56], 0, v[67:68]
	v_fma_f64 v[40:41], v[22:23], v[55:56], v[65:66]
	;; [unrolled: 1-line block ×33, first 2 shown]
	global_load_dwordx4 v[59:62], v[81:82], off offset:112
	global_load_dwordx4 v[38:41], v[81:82], off offset:96
	global_load_dwordx4 v[22:25], v[81:82], off offset:80
	global_load_dwordx4 v[63:66], v[81:82], off offset:64
	s_waitcnt vmcnt(0)
	v_fma_f64 v[34:35], v[63:64], v[55:56], v[73:74]
	v_fma_f64 v[63:64], v[63:64], v[57:58], v[67:68]
	;; [unrolled: 1-line block ×31, first 2 shown]
	global_load_dword v34, v[26:27], off offset:256
	v_add_co_u32_e32 v44, vcc, s21, v19
	v_addc_co_u32_e32 v45, vcc, 0, v20, vcc
	global_load_dwordx4 v[47:50], v[44:45], off
	global_load_dwordx4 v[51:54], v[44:45], off offset:48
	global_load_dwordx4 v[55:58], v[44:45], off offset:32
	;; [unrolled: 1-line block ×3, first 2 shown]
	s_waitcnt vmcnt(4)
	v_subrev_u32_e32 v34, s16, v34
	v_lshlrev_b32_e32 v34, 2, v34
	v_ashrrev_i32_e32 v35, 31, v34
	v_lshlrev_b64 v[34:35], 4, v[34:35]
	v_add_co_u32_e32 v34, vcc, s8, v34
	v_addc_co_u32_e32 v35, vcc, v46, v35, vcc
	global_load_dwordx4 v[63:66], v[34:35], off offset:48
	global_load_dwordx4 v[67:70], v[34:35], off offset:32
	;; [unrolled: 1-line block ×3, first 2 shown]
	global_load_dwordx4 v[75:78], v[34:35], off
	v_add_co_u32_e32 v17, vcc, 0x100, v17
	v_addc_co_u32_e32 v18, vcc, 0, v18, vcc
	v_add_co_u32_e32 v26, vcc, 0x400, v26
	v_addc_co_u32_e32 v27, vcc, 0, v27, vcc
	v_cmp_ge_i64_e64 s[2:3], v[17:18], v[11:12]
	v_add_co_u32_e32 v19, vcc, 0x8000, v19
	v_addc_co_u32_e32 v20, vcc, 0, v20, vcc
	s_or_b64 s[14:15], s[2:3], s[14:15]
	s_waitcnt vmcnt(0)
	v_fma_f64 v[28:29], v[47:48], v[75:76], v[28:29]
	v_fma_f64 v[30:31], v[75:76], 0, v[30:31]
	;; [unrolled: 1-line block ×33, first 2 shown]
	global_load_dwordx4 v[47:50], v[44:45], off offset:112
	global_load_dwordx4 v[51:54], v[44:45], off offset:96
	global_load_dwordx4 v[55:58], v[44:45], off offset:80
	global_load_dwordx4 v[59:62], v[44:45], off offset:64
	s_waitcnt vmcnt(0)
	v_fma_f64 v[22:23], v[59:60], v[75:76], v[22:23]
	v_fma_f64 v[24:25], v[59:60], v[77:78], v[24:25]
	;; [unrolled: 1-line block ×31, first 2 shown]
	s_andn2_b64 exec, exec, s[14:15]
	s_cbranch_execnz .LBB144_19
; %bb.20:
	s_or_b64 exec, exec, s[14:15]
.LBB144_21:
	s_or_b64 exec, exec, s[6:7]
.LBB144_22:
	s_or_b64 exec, exec, s[10:11]
	s_cbranch_execz .LBB144_24
	s_branch .LBB144_35
.LBB144_23:
                                        ; implicit-def: $vgpr34_vgpr35
                                        ; implicit-def: $vgpr38_vgpr39
                                        ; implicit-def: $vgpr30_vgpr31
                                        ; implicit-def: $vgpr32_vgpr33
                                        ; implicit-def: $vgpr28_vgpr29
                                        ; implicit-def: $vgpr36_vgpr37
                                        ; implicit-def: $vgpr22_vgpr23
                                        ; implicit-def: $vgpr24_vgpr25
.LBB144_24:
	v_mov_b32_e32 v34, 0
	v_mov_b32_e32 v38, 0
	v_mov_b32_e32 v30, 0
	v_mov_b32_e32 v32, 0
	v_mov_b32_e32 v28, 0
	v_mov_b32_e32 v36, 0
	v_mov_b32_e32 v22, 0
	v_mov_b32_e32 v24, 0
	v_mov_b32_e32 v35, 0
	v_mov_b32_e32 v39, 0
	v_mov_b32_e32 v31, 0
	v_mov_b32_e32 v33, 0
	v_mov_b32_e32 v29, 0
	v_mov_b32_e32 v37, 0
	v_mov_b32_e32 v23, 0
	v_mov_b32_e32 v25, 0
	s_and_saveexec_b64 s[2:3], s[0:1]
	s_cbranch_execz .LBB144_34
; %bb.25:
	v_or_b32_e32 v17, 64, v0
	v_subrev_co_u32_e32 v17, vcc, s16, v17
	v_subb_co_u32_e64 v18, s[0:1], 0, 0, vcc
	v_add_co_u32_e32 v17, vcc, v17, v15
	v_addc_co_u32_e32 v18, vcc, v18, v16, vcc
	v_cmp_gt_i64_e32 vcc, v[17:18], v[11:12]
	v_not_b32_e32 v15, v15
	v_cndmask_b32_e32 v18, v12, v18, vcc
	v_cndmask_b32_e32 v17, v11, v17, vcc
	v_sub_co_u32_e32 v19, vcc, s16, v0
	v_not_b32_e32 v16, v16
	v_subb_co_u32_e64 v20, s[0:1], 0, 0, vcc
	v_add_co_u32_e32 v15, vcc, v19, v15
	v_addc_co_u32_e32 v16, vcc, v20, v16, vcc
	v_add_co_u32_e32 v15, vcc, v15, v17
	v_addc_co_u32_e32 v16, vcc, v16, v18, vcc
	v_and_b32_e32 v17, 0xc0, v15
	v_mov_b32_e32 v18, 0
	s_mov_b64 s[0:1], 0xc0
	v_cmp_ne_u64_e32 vcc, s[0:1], v[17:18]
	v_mov_b32_e32 v24, 0
	v_mov_b32_e32 v22, 0
	;; [unrolled: 1-line block ×16, first 2 shown]
	s_and_saveexec_b64 s[0:1], vcc
	s_cbranch_execz .LBB144_29
; %bb.26:
	v_lshrrev_b32_e32 v17, 6, v15
	v_add_u32_e32 v17, 1, v17
	v_and_b32_e32 v19, 3, v17
	v_lshlrev_b64 v[17:18], 2, v[9:10]
	v_mov_b32_e32 v20, s13
	v_add_co_u32_e32 v17, vcc, s12, v17
	v_addc_co_u32_e32 v18, vcc, v20, v18, vcc
	v_sub_co_u32_e32 v19, vcc, 0, v19
	v_subb_co_u32_e64 v20, s[10:11], 0, 0, vcc
	v_mov_b32_e32 v34, 0
	s_mov_b32 s10, 0
	v_mov_b32_e32 v38, 0
	v_mov_b32_e32 v30, 0
	;; [unrolled: 1-line block ×7, first 2 shown]
	s_mov_b64 s[6:7], 0
	v_mov_b32_e32 v35, 0
	s_brev_b32 s11, 1
	s_movk_i32 s14, 0x2000
	v_mov_b32_e32 v39, 0
	v_mov_b32_e32 v31, 0
	;; [unrolled: 1-line block ×7, first 2 shown]
	s_waitcnt lgkmcnt(0)
	v_mov_b32_e32 v26, s9
.LBB144_27:                             ; =>This Inner Loop Header: Depth=1
	global_load_dword v27, v[17:18], off
	global_load_dwordx4 v[40:43], v[13:14], off offset:48
	global_load_dwordx4 v[44:47], v[13:14], off offset:32
	;; [unrolled: 1-line block ×3, first 2 shown]
	global_load_dwordx4 v[52:55], v[13:14], off
	s_waitcnt vmcnt(4)
	v_subrev_u32_e32 v27, s16, v27
	v_lshlrev_b32_e32 v56, 2, v27
	v_ashrrev_i32_e32 v57, 31, v56
	v_lshlrev_b64 v[56:57], 4, v[56:57]
	v_add_co_u32_e32 v72, vcc, s8, v56
	v_addc_co_u32_e32 v73, vcc, v26, v57, vcc
	global_load_dwordx4 v[56:59], v[72:73], off offset:48
	global_load_dwordx4 v[60:63], v[72:73], off offset:32
	;; [unrolled: 1-line block ×3, first 2 shown]
	global_load_dwordx4 v[68:71], v[72:73], off
	s_waitcnt vmcnt(0)
	v_fma_f64 v[30:31], v[68:69], 0, v[30:31]
	v_fma_f64 v[34:35], v[68:69], 0, v[34:35]
	;; [unrolled: 1-line block ×33, first 2 shown]
	global_load_dwordx4 v[40:43], v[13:14], off offset:112
	global_load_dwordx4 v[22:25], v[13:14], off offset:96
	;; [unrolled: 1-line block ×4, first 2 shown]
	v_fma_f64 v[44:45], v[60:61], 0, v[44:45]
	v_add_co_u32_e32 v13, vcc, s14, v13
	v_addc_co_u32_e32 v14, vcc, 0, v14, vcc
	v_add_co_u32_e32 v9, vcc, 64, v9
	v_addc_co_u32_e32 v10, vcc, 0, v10, vcc
	;; [unrolled: 2-line block ×4, first 2 shown]
	v_cmp_eq_u64_e32 vcc, 0, v[19:20]
	s_or_b64 s[6:7], vcc, s[6:7]
	s_waitcnt vmcnt(0)
	v_fma_f64 v[37:38], v[31:32], v[60:61], v[38:39]
	v_fma_f64 v[31:32], v[31:32], v[62:63], v[44:45]
	;; [unrolled: 1-line block ×30, first 2 shown]
	s_andn2_b64 exec, exec, s[6:7]
	s_cbranch_execnz .LBB144_27
; %bb.28:
	s_or_b64 exec, exec, s[6:7]
.LBB144_29:
	s_or_b64 exec, exec, s[0:1]
	s_mov_b64 s[0:1], 0xbf
	v_cmp_lt_u64_e32 vcc, s[0:1], v[15:16]
	s_and_saveexec_b64 s[6:7], vcc
	s_cbranch_execz .LBB144_33
; %bb.30:
	v_lshlrev_b64 v[15:16], 2, v[9:10]
	v_mov_b32_e32 v17, s13
	v_add_co_u32_e32 v15, vcc, s12, v15
	v_addc_co_u32_e32 v16, vcc, v17, v16, vcc
	v_add_co_u32_e32 v15, vcc, 0x200, v15
	s_mov_b32 s12, 0
	v_addc_co_u32_e32 v16, vcc, 0, v16, vcc
	s_mov_b64 s[10:11], 0
	s_waitcnt lgkmcnt(0)
	v_mov_b32_e32 v40, s9
	s_brev_b32 s13, 1
	s_movk_i32 s9, 0x2000
	s_movk_i32 s14, 0x4000
	;; [unrolled: 1-line block ×3, first 2 shown]
.LBB144_31:                             ; =>This Inner Loop Header: Depth=1
	global_load_dword v17, v[15:16], off offset:-512
	s_waitcnt vmcnt(0)
	v_subrev_u32_e32 v17, s16, v17
	v_lshlrev_b32_e32 v26, 2, v17
	v_ashrrev_i32_e32 v27, 31, v26
	v_lshlrev_b64 v[26:27], 4, v[26:27]
	global_load_dwordx4 v[17:20], v[13:14], off offset:48
	global_load_dwordx4 v[41:44], v[13:14], off offset:32
	;; [unrolled: 1-line block ×3, first 2 shown]
	global_load_dwordx4 v[49:52], v[13:14], off
	v_add_co_u32_e32 v26, vcc, s8, v26
	v_addc_co_u32_e32 v27, vcc, v40, v27, vcc
	global_load_dwordx4 v[53:56], v[26:27], off offset:48
	global_load_dwordx4 v[57:60], v[26:27], off offset:32
	;; [unrolled: 1-line block ×3, first 2 shown]
	global_load_dwordx4 v[65:68], v[26:27], off
	s_waitcnt vmcnt(0)
	v_fma_f64 v[26:27], v[49:50], v[65:66], v[38:39]
	v_fma_f64 v[34:35], v[65:66], 0, v[34:35]
	;; [unrolled: 1-line block ×33, first 2 shown]
	global_load_dwordx4 v[17:20], v[13:14], off offset:112
	global_load_dwordx4 v[22:25], v[13:14], off offset:96
	;; [unrolled: 1-line block ×4, first 2 shown]
	s_waitcnt vmcnt(1)
	v_fma_f64 v[36:37], v[26:27], v[57:58], v[36:37]
	s_waitcnt vmcnt(0)
	v_fma_f64 v[38:39], v[30:31], v[57:58], v[38:39]
	v_fma_f64 v[30:31], v[30:31], v[59:60], v[34:35]
	;; [unrolled: 1-line block ×30, first 2 shown]
	global_load_dword v17, v[15:16], off offset:-256
	v_add_co_u32_e32 v55, vcc, s9, v13
	v_addc_co_u32_e32 v56, vcc, 0, v14, vcc
	s_waitcnt vmcnt(0)
	v_subrev_u32_e32 v17, s16, v17
	v_lshlrev_b32_e32 v34, 2, v17
	v_ashrrev_i32_e32 v35, 31, v34
	v_lshlrev_b64 v[34:35], 4, v[34:35]
	global_load_dwordx4 v[17:20], v[55:56], off
	global_load_dwordx4 v[22:25], v[55:56], off offset:48
	global_load_dwordx4 v[26:29], v[55:56], off offset:32
	;; [unrolled: 1-line block ×3, first 2 shown]
	v_add_co_u32_e32 v69, vcc, s8, v34
	v_addc_co_u32_e32 v70, vcc, v40, v35, vcc
	global_load_dwordx4 v[34:37], v[69:70], off offset:48
	global_load_dwordx4 v[41:44], v[69:70], off offset:32
	;; [unrolled: 1-line block ×3, first 2 shown]
	global_load_dwordx4 v[49:52], v[69:70], off
	s_waitcnt vmcnt(0)
	v_fma_f64 v[57:58], v[49:50], 0, v[57:58]
	v_fma_f64 v[38:39], v[17:18], v[49:50], v[38:39]
	;; [unrolled: 1-line block ×15, first 2 shown]
	v_add_co_u32_e32 v67, vcc, s14, v13
	v_addc_co_u32_e32 v68, vcc, 0, v14, vcc
	v_fma_f64 v[59:60], v[51:52], s[12:13], v[59:60]
	v_fma_f64 v[61:62], v[51:52], s[12:13], v[61:62]
	;; [unrolled: 1-line block ×17, first 2 shown]
	global_load_dwordx4 v[17:20], v[55:56], off offset:112
	global_load_dwordx4 v[22:25], v[55:56], off offset:96
	;; [unrolled: 1-line block ×4, first 2 shown]
	v_fma_f64 v[47:48], v[41:42], 0, v[49:50]
	v_fma_f64 v[49:50], v[41:42], 0, v[53:54]
	s_waitcnt vmcnt(0)
	v_fma_f64 v[38:39], v[30:31], v[41:42], v[38:39]
	v_fma_f64 v[30:31], v[30:31], v[43:44], v[47:48]
	;; [unrolled: 1-line block ×30, first 2 shown]
	global_load_dword v17, v[15:16], off
	s_waitcnt vmcnt(0)
	v_subrev_u32_e32 v17, s16, v17
	v_lshlrev_b32_e32 v34, 2, v17
	v_ashrrev_i32_e32 v35, 31, v34
	v_lshlrev_b64 v[34:35], 4, v[34:35]
	global_load_dwordx4 v[17:20], v[67:68], off
	global_load_dwordx4 v[22:25], v[67:68], off offset:48
	global_load_dwordx4 v[26:29], v[67:68], off offset:32
	;; [unrolled: 1-line block ×3, first 2 shown]
	v_add_co_u32_e32 v69, vcc, s8, v34
	v_addc_co_u32_e32 v70, vcc, v40, v35, vcc
	global_load_dwordx4 v[34:37], v[69:70], off offset:48
	global_load_dwordx4 v[41:44], v[69:70], off offset:32
	;; [unrolled: 1-line block ×3, first 2 shown]
	global_load_dwordx4 v[49:52], v[69:70], off
	s_waitcnt vmcnt(0)
	v_fma_f64 v[53:54], v[49:50], 0, v[53:54]
	v_fma_f64 v[38:39], v[17:18], v[49:50], v[38:39]
	;; [unrolled: 1-line block ×32, first 2 shown]
	global_load_dwordx4 v[30:33], v[67:68], off offset:112
	global_load_dwordx4 v[22:25], v[67:68], off offset:96
	;; [unrolled: 1-line block ×4, first 2 shown]
	v_fma_f64 v[47:48], v[41:42], 0, v[49:50]
	v_fma_f64 v[49:50], v[41:42], 0, v[53:54]
	s_waitcnt vmcnt(0)
	v_fma_f64 v[38:39], v[26:27], v[41:42], v[38:39]
	v_fma_f64 v[26:27], v[26:27], v[43:44], v[47:48]
	;; [unrolled: 1-line block ×30, first 2 shown]
	global_load_dword v34, v[15:16], off offset:256
	s_waitcnt vmcnt(0)
	v_subrev_u32_e32 v34, s16, v34
	v_lshlrev_b32_e32 v53, 2, v34
	v_ashrrev_i32_e32 v54, 31, v53
	v_add_co_u32_e32 v34, vcc, s15, v13
	v_lshlrev_b64 v[53:54], 4, v[53:54]
	v_addc_co_u32_e32 v35, vcc, 0, v14, vcc
	v_add_co_u32_e32 v69, vcc, s8, v53
	v_addc_co_u32_e32 v70, vcc, v40, v54, vcc
	global_load_dwordx4 v[36:39], v[34:35], off
	global_load_dwordx4 v[41:44], v[34:35], off offset:48
	global_load_dwordx4 v[45:48], v[34:35], off offset:32
	global_load_dwordx4 v[49:52], v[34:35], off offset:16
	global_load_dwordx4 v[53:56], v[69:70], off offset:48
	global_load_dwordx4 v[57:60], v[69:70], off offset:32
	global_load_dwordx4 v[61:64], v[69:70], off offset:16
	global_load_dwordx4 v[65:68], v[69:70], off
	v_add_co_u32_e32 v9, vcc, 0x100, v9
	v_addc_co_u32_e32 v10, vcc, 0, v10, vcc
	v_add_co_u32_e32 v15, vcc, 0x400, v15
	v_addc_co_u32_e32 v16, vcc, 0, v16, vcc
	v_cmp_ge_i64_e64 s[0:1], v[9:10], v[11:12]
	v_add_co_u32_e32 v13, vcc, 0x8000, v13
	v_addc_co_u32_e32 v14, vcc, 0, v14, vcc
	s_or_b64 s[10:11], s[0:1], s[10:11]
	s_waitcnt vmcnt(0)
	v_fma_f64 v[17:18], v[36:37], v[65:66], v[17:18]
	v_fma_f64 v[19:20], v[65:66], 0, v[19:20]
	;; [unrolled: 1-line block ×32, first 2 shown]
	global_load_dwordx4 v[17:20], v[34:35], off offset:112
	global_load_dwordx4 v[22:25], v[34:35], off offset:96
	;; [unrolled: 1-line block ×4, first 2 shown]
	s_waitcnt vmcnt(0)
	v_fma_f64 v[34:35], v[30:31], v[57:58], v[36:37]
	v_fma_f64 v[36:37], v[57:58], 0, v[38:39]
	;; [unrolled: 1-line block ×32, first 2 shown]
	s_andn2_b64 exec, exec, s[10:11]
	s_cbranch_execnz .LBB144_31
; %bb.32:
	s_or_b64 exec, exec, s[10:11]
.LBB144_33:
	s_or_b64 exec, exec, s[6:7]
.LBB144_34:
	s_or_b64 exec, exec, s[2:3]
.LBB144_35:
	v_mov_b32_dpp v9, v38 row_shr:1 row_mask:0xf bank_mask:0xf
	v_mov_b32_dpp v10, v39 row_shr:1 row_mask:0xf bank_mask:0xf
	v_add_f64 v[9:10], v[38:39], v[9:10]
	v_mov_b32_dpp v11, v34 row_shr:1 row_mask:0xf bank_mask:0xf
	v_mov_b32_dpp v12, v35 row_shr:1 row_mask:0xf bank_mask:0xf
	v_add_f64 v[11:12], v[34:35], v[11:12]
	v_mov_b32_dpp v15, v30 row_shr:1 row_mask:0xf bank_mask:0xf
	v_cmp_eq_u32_e32 vcc, 63, v0
	v_mov_b32_dpp v13, v9 row_shr:2 row_mask:0xf bank_mask:0xf
	v_mov_b32_dpp v14, v10 row_shr:2 row_mask:0xf bank_mask:0xf
	v_add_f64 v[9:10], v[9:10], v[13:14]
	v_mov_b32_dpp v13, v11 row_shr:2 row_mask:0xf bank_mask:0xf
	v_mov_b32_dpp v14, v12 row_shr:2 row_mask:0xf bank_mask:0xf
	v_add_f64 v[11:12], v[11:12], v[13:14]
	;; [unrolled: 3-line block ×5, first 2 shown]
	v_mov_b32_dpp v16, v31 row_shr:1 row_mask:0xf bank_mask:0xf
	v_add_f64 v[15:16], v[30:31], v[15:16]
	v_mov_b32_dpp v17, v13 row_shr:2 row_mask:0xf bank_mask:0xf
	v_mov_b32_dpp v18, v14 row_shr:2 row_mask:0xf bank_mask:0xf
	;; [unrolled: 1-line block ×4, first 2 shown]
	v_add_f64 v[9:10], v[9:10], v[19:20]
	v_add_f64 v[13:14], v[13:14], v[17:18]
	v_mov_b32_dpp v19, v11 row_shr:8 row_mask:0xf bank_mask:0xc
	v_mov_b32_dpp v17, v15 row_shr:2 row_mask:0xf bank_mask:0xf
	;; [unrolled: 1-line block ×3, first 2 shown]
	v_add_f64 v[15:16], v[15:16], v[17:18]
	v_mov_b32_dpp v20, v12 row_shr:8 row_mask:0xf bank_mask:0xc
	v_add_f64 v[11:12], v[11:12], v[19:20]
	v_mov_b32_dpp v17, v9 row_bcast:15 row_mask:0xa bank_mask:0xf
	v_mov_b32_dpp v18, v10 row_bcast:15 row_mask:0xa bank_mask:0xf
	v_add_f64 v[9:10], v[9:10], v[17:18]
	v_mov_b32_dpp v19, v14 row_shr:4 row_mask:0xf bank_mask:0xe
	v_mov_b32_dpp v18, v13 row_shr:4 row_mask:0xf bank_mask:0xe
	v_add_f64 v[13:14], v[13:14], v[18:19]
	v_mov_b32_dpp v19, v16 row_shr:4 row_mask:0xf bank_mask:0xe
	v_mov_b32_dpp v18, v15 row_shr:4 row_mask:0xf bank_mask:0xe
	;; [unrolled: 3-line block ×3, first 2 shown]
	v_add_f64 v[19:20], v[36:37], v[18:19]
	v_mov_b32_dpp v17, v11 row_bcast:15 row_mask:0xa bank_mask:0xf
	v_mov_b32_dpp v26, v13 row_shr:8 row_mask:0xf bank_mask:0xc
	v_mov_b32_dpp v27, v14 row_shr:8 row_mask:0xf bank_mask:0xc
	v_add_f64 v[13:14], v[13:14], v[26:27]
	v_mov_b32_dpp v26, v15 row_shr:8 row_mask:0xf bank_mask:0xc
	v_mov_b32_dpp v27, v16 row_shr:8 row_mask:0xf bank_mask:0xc
	v_add_f64 v[15:16], v[15:16], v[26:27]
	;; [unrolled: 3-line block ×3, first 2 shown]
	v_mov_b32_dpp v18, v12 row_bcast:15 row_mask:0xa bank_mask:0xf
	v_add_f64 v[11:12], v[11:12], v[17:18]
	v_mov_b32_dpp v17, v13 row_bcast:15 row_mask:0xa bank_mask:0xf
	v_mov_b32_dpp v18, v14 row_bcast:15 row_mask:0xa bank_mask:0xf
	v_add_f64 v[13:14], v[13:14], v[17:18]
	v_mov_b32_dpp v17, v15 row_bcast:15 row_mask:0xa bank_mask:0xf
	v_mov_b32_dpp v18, v16 row_bcast:15 row_mask:0xa bank_mask:0xf
	v_add_f64 v[15:16], v[15:16], v[17:18]
	v_mov_b32_dpp v17, v19 row_shr:4 row_mask:0xf bank_mask:0xe
	v_mov_b32_dpp v18, v20 row_shr:4 row_mask:0xf bank_mask:0xe
	v_add_f64 v[32:33], v[19:20], v[17:18]
	v_mov_b32_dpp v36, v28 row_shr:1 row_mask:0xf bank_mask:0xf
	v_mov_b32_dpp v37, v29 row_shr:1 row_mask:0xf bank_mask:0xf
	v_add_f64 v[28:29], v[28:29], v[36:37]
	v_mov_b32_dpp v36, v24 row_shr:1 row_mask:0xf bank_mask:0xf
	v_mov_b32_dpp v37, v25 row_shr:1 row_mask:0xf bank_mask:0xf
	v_add_f64 v[24:25], v[24:25], v[36:37]
	v_mov_b32_dpp v36, v22 row_shr:1 row_mask:0xf bank_mask:0xf
	v_mov_b32_dpp v37, v23 row_shr:1 row_mask:0xf bank_mask:0xf
	v_add_f64 v[22:23], v[22:23], v[36:37]
	v_mov_b32_dpp v34, v32 row_shr:8 row_mask:0xf bank_mask:0xc
	v_mov_b32_dpp v35, v33 row_shr:8 row_mask:0xf bank_mask:0xc
	v_add_f64 v[32:33], v[32:33], v[34:35]
	v_mov_b32_dpp v34, v28 row_shr:2 row_mask:0xf bank_mask:0xf
	v_mov_b32_dpp v35, v29 row_shr:2 row_mask:0xf bank_mask:0xf
	v_add_f64 v[28:29], v[28:29], v[34:35]
	v_mov_b32_dpp v34, v24 row_shr:2 row_mask:0xf bank_mask:0xf
	v_mov_b32_dpp v35, v25 row_shr:2 row_mask:0xf bank_mask:0xf
	v_add_f64 v[24:25], v[24:25], v[34:35]
	v_mov_b32_dpp v34, v22 row_shr:2 row_mask:0xf bank_mask:0xf
	v_mov_b32_dpp v35, v23 row_shr:2 row_mask:0xf bank_mask:0xf
	v_add_f64 v[22:23], v[22:23], v[34:35]
	v_mov_b32_dpp v34, v32 row_bcast:15 row_mask:0xa bank_mask:0xf
	v_mov_b32_dpp v35, v28 row_shr:4 row_mask:0xf bank_mask:0xe
	v_mov_b32_dpp v36, v29 row_shr:4 row_mask:0xf bank_mask:0xe
	v_add_f64 v[28:29], v[28:29], v[35:36]
	v_mov_b32_dpp v35, v24 row_shr:4 row_mask:0xf bank_mask:0xe
	v_mov_b32_dpp v36, v25 row_shr:4 row_mask:0xf bank_mask:0xe
	v_add_f64 v[24:25], v[24:25], v[35:36]
	;; [unrolled: 3-line block ×3, first 2 shown]
	v_mov_b32_dpp v35, v33 row_bcast:15 row_mask:0xa bank_mask:0xf
	v_mov_b32_dpp v36, v28 row_shr:8 row_mask:0xf bank_mask:0xc
	v_mov_b32_dpp v37, v29 row_shr:8 row_mask:0xf bank_mask:0xc
	v_add_f64 v[28:29], v[28:29], v[36:37]
	v_mov_b32_dpp v36, v24 row_shr:8 row_mask:0xf bank_mask:0xc
	v_mov_b32_dpp v37, v25 row_shr:8 row_mask:0xf bank_mask:0xc
	v_add_f64 v[36:37], v[24:25], v[36:37]
	;; [unrolled: 3-line block ×3, first 2 shown]
	v_add_f64 v[22:23], v[32:33], v[34:35]
	v_mov_b32_dpp v24, v28 row_bcast:15 row_mask:0xa bank_mask:0xf
	v_mov_b32_dpp v25, v29 row_bcast:15 row_mask:0xa bank_mask:0xf
	v_add_f64 v[24:25], v[28:29], v[24:25]
	v_mov_b32_dpp v28, v36 row_bcast:15 row_mask:0xa bank_mask:0xf
	v_mov_b32_dpp v29, v37 row_bcast:15 row_mask:0xa bank_mask:0xf
	;; [unrolled: 3-line block ×4, first 2 shown]
	v_mov_b32_dpp v26, v11 row_bcast:31 row_mask:0xc bank_mask:0xf
	v_mov_b32_dpp v27, v12 row_bcast:31 row_mask:0xc bank_mask:0xf
	;; [unrolled: 1-line block ×14, first 2 shown]
	s_and_b64 exec, exec, vcc
	s_cbranch_execz .LBB144_8
; %bb.36:
	v_add_f64 v[11:12], v[11:12], v[26:27]
	v_add_f64 v[26:27], v[13:14], v[19:20]
	;; [unrolled: 1-line block ×8, first 2 shown]
	v_mul_f64 v[19:20], v[11:12], -v[7:8]
	v_mul_f64 v[11:12], v[5:6], v[11:12]
	v_mul_f64 v[28:29], v[13:14], -v[7:8]
	v_mul_f64 v[30:31], v[5:6], v[13:14]
	;; [unrolled: 2-line block ×4, first 2 shown]
	v_cmp_eq_f64_e32 vcc, 0, v[1:2]
	v_cmp_eq_f64_e64 s[0:1], 0, v[3:4]
	v_fma_f64 v[17:18], v[5:6], v[9:10], v[19:20]
	v_fma_f64 v[19:20], v[7:8], v[9:10], v[11:12]
	;; [unrolled: 1-line block ×8, first 2 shown]
	s_load_dwordx2 s[2:3], s[4:5], 0x60
	s_and_b64 s[0:1], vcc, s[0:1]
	v_lshlrev_b32_e32 v21, 2, v21
	s_and_saveexec_b64 s[4:5], s[0:1]
	s_xor_b64 s[0:1], exec, s[4:5]
	s_cbranch_execz .LBB144_38
; %bb.37:
	v_ashrrev_i32_e32 v22, 31, v21
	v_lshlrev_b64 v[0:1], 4, v[21:22]
	s_waitcnt lgkmcnt(0)
	v_mov_b32_e32 v2, s3
	v_add_co_u32_e32 v0, vcc, s2, v0
	v_addc_co_u32_e32 v1, vcc, v2, v1, vcc
	global_store_dwordx4 v[0:1], v[17:20], off
	global_store_dwordx4 v[0:1], v[13:16], off offset:16
	global_store_dwordx4 v[0:1], v[9:12], off offset:32
	;; [unrolled: 1-line block ×3, first 2 shown]
                                        ; implicit-def: $vgpr3_vgpr4
                                        ; implicit-def: $vgpr17_vgpr18
                                        ; implicit-def: $vgpr21
                                        ; implicit-def: $vgpr13_vgpr14
                                        ; implicit-def: $vgpr9_vgpr10
                                        ; implicit-def: $vgpr5_vgpr6
.LBB144_38:
	s_andn2_saveexec_b64 s[0:1], s[0:1]
	s_cbranch_execz .LBB144_8
; %bb.39:
	v_ashrrev_i32_e32 v22, 31, v21
	v_lshlrev_b64 v[21:22], 4, v[21:22]
	s_waitcnt lgkmcnt(0)
	v_mov_b32_e32 v0, s3
	v_add_co_u32_e32 v37, vcc, s2, v21
	v_addc_co_u32_e32 v38, vcc, v0, v22, vcc
	global_load_dwordx4 v[21:24], v[37:38], off
	global_load_dwordx4 v[25:28], v[37:38], off offset:16
	global_load_dwordx4 v[29:32], v[37:38], off offset:32
	;; [unrolled: 1-line block ×3, first 2 shown]
	s_waitcnt vmcnt(3)
	v_fma_f64 v[17:18], v[1:2], v[21:22], v[17:18]
	v_fma_f64 v[19:20], v[3:4], v[21:22], v[19:20]
	s_waitcnt vmcnt(2)
	v_fma_f64 v[13:14], v[1:2], v[25:26], v[13:14]
	v_fma_f64 v[15:16], v[3:4], v[25:26], v[15:16]
	;; [unrolled: 3-line block ×4, first 2 shown]
	v_fma_f64 v[5:6], -v[3:4], v[23:24], v[17:18]
	v_fma_f64 v[7:8], v[1:2], v[23:24], v[19:20]
	v_fma_f64 v[9:10], -v[3:4], v[27:28], v[13:14]
	v_fma_f64 v[11:12], v[1:2], v[27:28], v[15:16]
	;; [unrolled: 2-line block ×4, first 2 shown]
	global_store_dwordx4 v[37:38], v[5:8], off
	global_store_dwordx4 v[37:38], v[9:12], off offset:16
	global_store_dwordx4 v[37:38], v[13:16], off offset:32
	;; [unrolled: 1-line block ×3, first 2 shown]
	s_endpgm
	.section	.rodata,"a",@progbits
	.p2align	6, 0x0
	.amdhsa_kernel _ZN9rocsparseL18bsrxmvn_4x4_kernelILj128ELj64E21rocsparse_complex_numIdElidS2_S2_EEvT3_20rocsparse_direction_NS_24const_host_device_scalarIT1_EES3_PKS3_PKT2_SC_S9_PKT4_PKT5_S7_PT6_21rocsparse_index_base_b
		.amdhsa_group_segment_fixed_size 0
		.amdhsa_private_segment_fixed_size 0
		.amdhsa_kernarg_size 112
		.amdhsa_user_sgpr_count 6
		.amdhsa_user_sgpr_private_segment_buffer 1
		.amdhsa_user_sgpr_dispatch_ptr 0
		.amdhsa_user_sgpr_queue_ptr 0
		.amdhsa_user_sgpr_kernarg_segment_ptr 1
		.amdhsa_user_sgpr_dispatch_id 0
		.amdhsa_user_sgpr_flat_scratch_init 0
		.amdhsa_user_sgpr_private_segment_size 0
		.amdhsa_uses_dynamic_stack 0
		.amdhsa_system_sgpr_private_segment_wavefront_offset 0
		.amdhsa_system_sgpr_workgroup_id_x 1
		.amdhsa_system_sgpr_workgroup_id_y 0
		.amdhsa_system_sgpr_workgroup_id_z 0
		.amdhsa_system_sgpr_workgroup_info 0
		.amdhsa_system_vgpr_workitem_id 0
		.amdhsa_next_free_vgpr 85
		.amdhsa_next_free_sgpr 22
		.amdhsa_reserve_vcc 1
		.amdhsa_reserve_flat_scratch 0
		.amdhsa_float_round_mode_32 0
		.amdhsa_float_round_mode_16_64 0
		.amdhsa_float_denorm_mode_32 3
		.amdhsa_float_denorm_mode_16_64 3
		.amdhsa_dx10_clamp 1
		.amdhsa_ieee_mode 1
		.amdhsa_fp16_overflow 0
		.amdhsa_exception_fp_ieee_invalid_op 0
		.amdhsa_exception_fp_denorm_src 0
		.amdhsa_exception_fp_ieee_div_zero 0
		.amdhsa_exception_fp_ieee_overflow 0
		.amdhsa_exception_fp_ieee_underflow 0
		.amdhsa_exception_fp_ieee_inexact 0
		.amdhsa_exception_int_div_zero 0
	.end_amdhsa_kernel
	.section	.text._ZN9rocsparseL18bsrxmvn_4x4_kernelILj128ELj64E21rocsparse_complex_numIdElidS2_S2_EEvT3_20rocsparse_direction_NS_24const_host_device_scalarIT1_EES3_PKS3_PKT2_SC_S9_PKT4_PKT5_S7_PT6_21rocsparse_index_base_b,"axG",@progbits,_ZN9rocsparseL18bsrxmvn_4x4_kernelILj128ELj64E21rocsparse_complex_numIdElidS2_S2_EEvT3_20rocsparse_direction_NS_24const_host_device_scalarIT1_EES3_PKS3_PKT2_SC_S9_PKT4_PKT5_S7_PT6_21rocsparse_index_base_b,comdat
.Lfunc_end144:
	.size	_ZN9rocsparseL18bsrxmvn_4x4_kernelILj128ELj64E21rocsparse_complex_numIdElidS2_S2_EEvT3_20rocsparse_direction_NS_24const_host_device_scalarIT1_EES3_PKS3_PKT2_SC_S9_PKT4_PKT5_S7_PT6_21rocsparse_index_base_b, .Lfunc_end144-_ZN9rocsparseL18bsrxmvn_4x4_kernelILj128ELj64E21rocsparse_complex_numIdElidS2_S2_EEvT3_20rocsparse_direction_NS_24const_host_device_scalarIT1_EES3_PKS3_PKT2_SC_S9_PKT4_PKT5_S7_PT6_21rocsparse_index_base_b
                                        ; -- End function
	.set _ZN9rocsparseL18bsrxmvn_4x4_kernelILj128ELj64E21rocsparse_complex_numIdElidS2_S2_EEvT3_20rocsparse_direction_NS_24const_host_device_scalarIT1_EES3_PKS3_PKT2_SC_S9_PKT4_PKT5_S7_PT6_21rocsparse_index_base_b.num_vgpr, 85
	.set _ZN9rocsparseL18bsrxmvn_4x4_kernelILj128ELj64E21rocsparse_complex_numIdElidS2_S2_EEvT3_20rocsparse_direction_NS_24const_host_device_scalarIT1_EES3_PKS3_PKT2_SC_S9_PKT4_PKT5_S7_PT6_21rocsparse_index_base_b.num_agpr, 0
	.set _ZN9rocsparseL18bsrxmvn_4x4_kernelILj128ELj64E21rocsparse_complex_numIdElidS2_S2_EEvT3_20rocsparse_direction_NS_24const_host_device_scalarIT1_EES3_PKS3_PKT2_SC_S9_PKT4_PKT5_S7_PT6_21rocsparse_index_base_b.numbered_sgpr, 22
	.set _ZN9rocsparseL18bsrxmvn_4x4_kernelILj128ELj64E21rocsparse_complex_numIdElidS2_S2_EEvT3_20rocsparse_direction_NS_24const_host_device_scalarIT1_EES3_PKS3_PKT2_SC_S9_PKT4_PKT5_S7_PT6_21rocsparse_index_base_b.num_named_barrier, 0
	.set _ZN9rocsparseL18bsrxmvn_4x4_kernelILj128ELj64E21rocsparse_complex_numIdElidS2_S2_EEvT3_20rocsparse_direction_NS_24const_host_device_scalarIT1_EES3_PKS3_PKT2_SC_S9_PKT4_PKT5_S7_PT6_21rocsparse_index_base_b.private_seg_size, 0
	.set _ZN9rocsparseL18bsrxmvn_4x4_kernelILj128ELj64E21rocsparse_complex_numIdElidS2_S2_EEvT3_20rocsparse_direction_NS_24const_host_device_scalarIT1_EES3_PKS3_PKT2_SC_S9_PKT4_PKT5_S7_PT6_21rocsparse_index_base_b.uses_vcc, 1
	.set _ZN9rocsparseL18bsrxmvn_4x4_kernelILj128ELj64E21rocsparse_complex_numIdElidS2_S2_EEvT3_20rocsparse_direction_NS_24const_host_device_scalarIT1_EES3_PKS3_PKT2_SC_S9_PKT4_PKT5_S7_PT6_21rocsparse_index_base_b.uses_flat_scratch, 0
	.set _ZN9rocsparseL18bsrxmvn_4x4_kernelILj128ELj64E21rocsparse_complex_numIdElidS2_S2_EEvT3_20rocsparse_direction_NS_24const_host_device_scalarIT1_EES3_PKS3_PKT2_SC_S9_PKT4_PKT5_S7_PT6_21rocsparse_index_base_b.has_dyn_sized_stack, 0
	.set _ZN9rocsparseL18bsrxmvn_4x4_kernelILj128ELj64E21rocsparse_complex_numIdElidS2_S2_EEvT3_20rocsparse_direction_NS_24const_host_device_scalarIT1_EES3_PKS3_PKT2_SC_S9_PKT4_PKT5_S7_PT6_21rocsparse_index_base_b.has_recursion, 0
	.set _ZN9rocsparseL18bsrxmvn_4x4_kernelILj128ELj64E21rocsparse_complex_numIdElidS2_S2_EEvT3_20rocsparse_direction_NS_24const_host_device_scalarIT1_EES3_PKS3_PKT2_SC_S9_PKT4_PKT5_S7_PT6_21rocsparse_index_base_b.has_indirect_call, 0
	.section	.AMDGPU.csdata,"",@progbits
; Kernel info:
; codeLenInByte = 10000
; TotalNumSgprs: 26
; NumVgprs: 85
; ScratchSize: 0
; MemoryBound: 0
; FloatMode: 240
; IeeeMode: 1
; LDSByteSize: 0 bytes/workgroup (compile time only)
; SGPRBlocks: 3
; VGPRBlocks: 21
; NumSGPRsForWavesPerEU: 26
; NumVGPRsForWavesPerEU: 85
; Occupancy: 2
; WaveLimiterHint : 1
; COMPUTE_PGM_RSRC2:SCRATCH_EN: 0
; COMPUTE_PGM_RSRC2:USER_SGPR: 6
; COMPUTE_PGM_RSRC2:TRAP_HANDLER: 0
; COMPUTE_PGM_RSRC2:TGID_X_EN: 1
; COMPUTE_PGM_RSRC2:TGID_Y_EN: 0
; COMPUTE_PGM_RSRC2:TGID_Z_EN: 0
; COMPUTE_PGM_RSRC2:TIDIG_COMP_CNT: 0
	.section	.text._ZN9rocsparseL18bsrxmvn_4x4_kernelILj128ELj4E21rocsparse_complex_numIdElldS2_S2_EEvT3_20rocsparse_direction_NS_24const_host_device_scalarIT1_EES3_PKS3_PKT2_SC_S9_PKT4_PKT5_S7_PT6_21rocsparse_index_base_b,"axG",@progbits,_ZN9rocsparseL18bsrxmvn_4x4_kernelILj128ELj4E21rocsparse_complex_numIdElldS2_S2_EEvT3_20rocsparse_direction_NS_24const_host_device_scalarIT1_EES3_PKS3_PKT2_SC_S9_PKT4_PKT5_S7_PT6_21rocsparse_index_base_b,comdat
	.globl	_ZN9rocsparseL18bsrxmvn_4x4_kernelILj128ELj4E21rocsparse_complex_numIdElldS2_S2_EEvT3_20rocsparse_direction_NS_24const_host_device_scalarIT1_EES3_PKS3_PKT2_SC_S9_PKT4_PKT5_S7_PT6_21rocsparse_index_base_b ; -- Begin function _ZN9rocsparseL18bsrxmvn_4x4_kernelILj128ELj4E21rocsparse_complex_numIdElldS2_S2_EEvT3_20rocsparse_direction_NS_24const_host_device_scalarIT1_EES3_PKS3_PKT2_SC_S9_PKT4_PKT5_S7_PT6_21rocsparse_index_base_b
	.p2align	8
	.type	_ZN9rocsparseL18bsrxmvn_4x4_kernelILj128ELj4E21rocsparse_complex_numIdElldS2_S2_EEvT3_20rocsparse_direction_NS_24const_host_device_scalarIT1_EES3_PKS3_PKT2_SC_S9_PKT4_PKT5_S7_PT6_21rocsparse_index_base_b,@function
_ZN9rocsparseL18bsrxmvn_4x4_kernelILj128ELj4E21rocsparse_complex_numIdElldS2_S2_EEvT3_20rocsparse_direction_NS_24const_host_device_scalarIT1_EES3_PKS3_PKT2_SC_S9_PKT4_PKT5_S7_PT6_21rocsparse_index_base_b: ; @_ZN9rocsparseL18bsrxmvn_4x4_kernelILj128ELj4E21rocsparse_complex_numIdElldS2_S2_EEvT3_20rocsparse_direction_NS_24const_host_device_scalarIT1_EES3_PKS3_PKT2_SC_S9_PKT4_PKT5_S7_PT6_21rocsparse_index_base_b
; %bb.0:
	s_load_dwordx2 s[0:1], s[4:5], 0x10
	s_load_dwordx2 s[2:3], s[4:5], 0x70
	s_add_u32 s7, s4, 16
	s_addc_u32 s10, s5, 0
	s_add_u32 s11, s4, 0x58
	s_addc_u32 s12, s5, 0
	s_waitcnt lgkmcnt(0)
	s_bitcmp1_b32 s3, 0
	s_cselect_b32 s1, s10, s1
	s_cselect_b32 s0, s7, s0
	v_mov_b32_e32 v1, s0
	v_mov_b32_e32 v2, s1
	flat_load_dwordx4 v[5:8], v[1:2]
	s_load_dwordx2 s[8:9], s[4:5], 0x58
	s_waitcnt lgkmcnt(0)
	s_cselect_b32 s0, s12, s9
	s_cselect_b32 s1, s11, s8
	v_mov_b32_e32 v1, s1
	v_mov_b32_e32 v2, s0
	flat_load_dwordx4 v[1:4], v[1:2]
	s_waitcnt vmcnt(0)
	v_cmp_eq_f64_e32 vcc, 0, v[5:6]
	v_cmp_eq_f64_e64 s[0:1], 0, v[7:8]
	s_and_b64 s[10:11], vcc, s[0:1]
	s_mov_b64 s[0:1], -1
	s_and_saveexec_b64 s[8:9], s[10:11]
	s_cbranch_execz .LBB145_2
; %bb.1:
	s_waitcnt lgkmcnt(0)
	v_cmp_neq_f64_e32 vcc, 1.0, v[1:2]
	v_cmp_neq_f64_e64 s[0:1], 0, v[3:4]
	s_or_b64 s[0:1], vcc, s[0:1]
	s_orn2_b64 s[0:1], s[0:1], exec
.LBB145_2:
	s_or_b64 exec, exec, s[8:9]
	s_and_saveexec_b64 s[8:9], s[0:1]
	s_cbranch_execz .LBB145_8
; %bb.3:
	s_load_dwordx2 s[8:9], s[4:5], 0x28
	v_lshrrev_b32_e32 v9, 2, v0
	v_lshl_or_b32 v11, s6, 5, v9
	v_mov_b32_e32 v12, 0
	s_mov_b64 s[0:1], 0
	s_waitcnt lgkmcnt(0)
	s_cmp_lg_u64 s[8:9], 0
	s_cbranch_scc0 .LBB145_9
; %bb.4:
	s_load_dwordx2 s[6:7], s[4:5], 0x20
                                        ; implicit-def: $vgpr21_vgpr22
                                        ; implicit-def: $vgpr9_vgpr10
	s_waitcnt lgkmcnt(0)
	v_cmp_gt_i64_e32 vcc, s[6:7], v[11:12]
	s_and_saveexec_b64 s[6:7], vcc
	s_xor_b64 s[6:7], exec, s[6:7]
	s_cbranch_execz .LBB145_6
; %bb.5:
	v_lshlrev_b64 v[9:10], 3, v[11:12]
	v_mov_b32_e32 v13, s9
	v_add_co_u32_e32 v9, vcc, s8, v9
	v_addc_co_u32_e32 v10, vcc, v13, v10, vcc
	global_load_dwordx2 v[9:10], v[9:10], off
	s_mov_b32 s3, 0
	s_mov_b64 s[0:1], exec
	s_waitcnt vmcnt(0)
	v_subrev_co_u32_e32 v21, vcc, s2, v9
	v_subbrev_co_u32_e32 v22, vcc, 0, v10, vcc
	v_mov_b32_e32 v10, s3
	v_mov_b32_e32 v9, s2
.LBB145_6:
	s_or_b64 exec, exec, s[6:7]
.LBB145_7:
	s_and_b64 exec, exec, s[0:1]
	s_cbranch_execnz .LBB145_13
.LBB145_8:
	s_endpgm
.LBB145_9:
                                        ; implicit-def: $vgpr21_vgpr22
                                        ; implicit-def: $vgpr9_vgpr10
	s_cbranch_execz .LBB145_7
; %bb.10:
	s_load_dwordx2 s[6:7], s[4:5], 0x0
	s_waitcnt lgkmcnt(0)
	v_cmp_gt_i64_e32 vcc, s[6:7], v[11:12]
	s_and_saveexec_b64 s[6:7], vcc
; %bb.11:
	s_mov_b32 s3, 0
	s_or_b64 s[0:1], s[0:1], exec
; %bb.12:
	s_or_b64 exec, exec, s[6:7]
	v_mov_b32_e32 v10, s3
	v_mov_b32_e32 v22, v12
	;; [unrolled: 1-line block ×4, first 2 shown]
	s_and_b64 exec, exec, s[0:1]
	s_cbranch_execz .LBB145_8
.LBB145_13:
	s_load_dwordx8 s[8:15], s[4:5], 0x30
	v_lshlrev_b64 v[11:12], 3, v[21:22]
	v_and_b32_e32 v0, 3, v0
	s_waitcnt lgkmcnt(0)
	v_mov_b32_e32 v14, s9
	v_add_co_u32_e32 v13, vcc, s8, v11
	v_addc_co_u32_e32 v14, vcc, v14, v12, vcc
	global_load_dwordx2 v[17:18], v[13:14], off
	v_add_co_u32_e32 v13, vcc, 8, v13
	v_addc_co_u32_e32 v14, vcc, 0, v14, vcc
	v_mov_b32_e32 v15, s11
	v_add_co_u32_e32 v11, vcc, s10, v11
	s_cmp_eq_u64 s[10:11], 0
	v_addc_co_u32_e32 v12, vcc, v15, v12, vcc
	s_cselect_b64 vcc, -1, 0
	v_cndmask_b32_e32 v12, v12, v14, vcc
	v_cndmask_b32_e32 v11, v11, v13, vcc
	global_load_dwordx2 v[13:14], v[11:12], off
	s_load_dword s0, s[4:5], 0x8
	s_load_dwordx2 s[10:11], s[4:5], 0x50
	v_mov_b32_e32 v19, s15
	s_waitcnt lgkmcnt(0)
	s_cmp_eq_u32 s0, 1
	s_waitcnt vmcnt(1)
	v_sub_co_u32_e32 v11, vcc, v17, v9
	v_subb_co_u32_e32 v12, vcc, v18, v10, vcc
	v_add_co_u32_e32 v11, vcc, v11, v0
	v_addc_co_u32_e32 v12, vcc, 0, v12, vcc
	v_lshlrev_b64 v[15:16], 7, v[11:12]
	s_waitcnt vmcnt(0)
	v_sub_co_u32_e32 v13, vcc, v13, v9
	v_subb_co_u32_e32 v14, vcc, v14, v10, vcc
	v_cmp_lt_i64_e64 s[0:1], v[11:12], v[13:14]
	v_add_co_u32_e32 v15, vcc, s14, v15
	v_addc_co_u32_e32 v16, vcc, v19, v16, vcc
	s_cbranch_scc1 .LBB145_25
; %bb.14:
	v_mov_b32_e32 v27, 0
	v_mov_b32_e32 v33, 0
	;; [unrolled: 1-line block ×16, first 2 shown]
	s_and_saveexec_b64 s[14:15], s[0:1]
	s_cbranch_execz .LBB145_24
; %bb.15:
	v_or_b32_e32 v19, 4, v0
	v_sub_co_u32_e32 v19, vcc, v19, v9
	v_subb_co_u32_e32 v20, vcc, 0, v10, vcc
	v_add_co_u32_e32 v19, vcc, v19, v17
	v_addc_co_u32_e32 v20, vcc, v20, v18, vcc
	v_cmp_gt_i64_e32 vcc, v[19:20], v[13:14]
	v_not_b32_e32 v24, v17
	v_cndmask_b32_e32 v20, v14, v20, vcc
	v_cndmask_b32_e32 v19, v13, v19, vcc
	v_sub_co_u32_e32 v25, vcc, v9, v0
	v_subbrev_co_u32_e32 v26, vcc, 0, v10, vcc
	v_not_b32_e32 v23, v18
	v_add_co_u32_e32 v24, vcc, v25, v24
	v_addc_co_u32_e32 v23, vcc, v26, v23, vcc
	v_add_co_u32_e32 v25, vcc, v24, v19
	v_addc_co_u32_e32 v26, vcc, v23, v20, vcc
	v_and_b32_e32 v19, 12, v25
	v_mov_b32_e32 v20, 0
	v_cmp_ne_u64_e32 vcc, 12, v[19:20]
	v_mov_b32_e32 v35, 0
	v_mov_b32_e32 v37, 0
	;; [unrolled: 1-line block ×20, first 2 shown]
	s_and_saveexec_b64 s[16:17], vcc
	s_cbranch_execz .LBB145_19
; %bb.16:
	v_lshrrev_b32_e32 v19, 2, v25
	v_add_u32_e32 v19, 1, v19
	v_and_b32_e32 v23, 3, v19
	v_lshlrev_b64 v[19:20], 3, v[11:12]
	v_mov_b32_e32 v24, s13
	v_add_co_u32_e32 v43, vcc, s12, v19
	v_addc_co_u32_e32 v44, vcc, v24, v20, vcc
	v_sub_co_u32_e32 v45, vcc, 0, v23
	v_mov_b32_e32 v27, 0
	s_mov_b32 s20, 0
	v_mov_b32_e32 v20, v12
	v_mov_b32_e32 v33, 0
	;; [unrolled: 1-line block ×9, first 2 shown]
	s_mov_b64 s[18:19], 0
	v_subb_co_u32_e64 v46, s[2:3], 0, 0, vcc
	v_mov_b32_e32 v28, 0
	s_brev_b32 s21, 1
	s_movk_i32 s22, 0x200
	v_mov_b32_e32 v19, v11
	v_mov_b32_e32 v34, 0
	;; [unrolled: 1-line block ×9, first 2 shown]
.LBB145_17:                             ; =>This Inner Loop Header: Depth=1
	global_load_dwordx2 v[67:68], v[43:44], off
	global_load_dwordx4 v[47:50], v[23:24], off offset:32
	global_load_dwordx4 v[51:54], v[23:24], off
	v_mov_b32_e32 v69, s11
	global_load_dwordx4 v[55:58], v[23:24], off offset:64
	global_load_dwordx4 v[59:62], v[23:24], off offset:96
	;; [unrolled: 1-line block ×3, first 2 shown]
	v_add_co_u32_e64 v19, s[2:3], 4, v19
	v_add_co_u32_e64 v43, s[6:7], 32, v43
	;; [unrolled: 1-line block ×3, first 2 shown]
	v_addc_co_u32_e64 v20, s[2:3], 0, v20, s[2:3]
	v_addc_co_u32_e64 v44, s[2:3], 0, v44, s[6:7]
	;; [unrolled: 1-line block ×3, first 2 shown]
	v_cmp_eq_u64_e64 s[2:3], 0, v[45:46]
	s_or_b64 s[18:19], s[2:3], s[18:19]
	s_waitcnt vmcnt(5)
	v_sub_co_u32_e32 v67, vcc, v67, v9
	v_subb_co_u32_e32 v68, vcc, v68, v10, vcc
	v_lshlrev_b64 v[67:68], 6, v[67:68]
	v_add_co_u32_e32 v71, vcc, s10, v67
	v_addc_co_u32_e32 v72, vcc, v69, v68, vcc
	global_load_dwordx4 v[67:70], v[71:72], off
	s_waitcnt vmcnt(0)
	v_fma_f64 v[27:28], v[67:68], 0, v[27:28]
	v_fma_f64 v[29:30], v[67:68], 0, v[29:30]
	v_fma_f64 v[33:34], v[51:52], v[67:68], v[33:34]
	v_fma_f64 v[31:32], v[47:48], v[67:68], v[31:32]
	v_fma_f64 v[39:40], v[67:68], 0, v[39:40]
	v_fma_f64 v[41:42], v[55:56], v[67:68], v[41:42]
	v_fma_f64 v[37:38], v[67:68], 0, v[37:38]
	v_fma_f64 v[35:36], v[59:60], v[67:68], v[35:36]
	v_fma_f64 v[51:52], v[51:52], v[69:70], v[27:28]
	v_fma_f64 v[47:48], v[47:48], v[69:70], v[29:30]
	global_load_dwordx4 v[27:30], v[71:72], off offset:16
	v_fma_f64 v[33:34], v[69:70], s[20:21], v[33:34]
	v_fma_f64 v[39:40], v[55:56], v[69:70], v[39:40]
	;; [unrolled: 1-line block ×6, first 2 shown]
	s_waitcnt vmcnt(0)
	v_fma_f64 v[39:40], v[27:28], 0, v[39:40]
	v_fma_f64 v[31:32], v[27:28], 0, v[51:52]
	v_fma_f64 v[35:36], v[27:28], 0, v[47:48]
	v_fma_f64 v[73:74], v[57:58], v[27:28], v[41:42]
	v_fma_f64 v[51:52], v[53:54], v[27:28], v[33:34]
	v_fma_f64 v[57:58], v[57:58], v[29:30], v[39:40]
	v_fma_f64 v[39:40], v[27:28], 0, v[59:60]
	v_fma_f64 v[69:70], v[53:54], v[29:30], v[31:32]
	global_load_dwordx4 v[31:34], v[23:24], off offset:16
	v_fma_f64 v[53:54], v[49:50], v[27:28], v[67:68]
	v_fma_f64 v[67:68], v[49:50], v[29:30], v[35:36]
	global_load_dwordx4 v[35:38], v[23:24], off offset:80
	global_load_dwordx4 v[47:50], v[23:24], off offset:112
	v_fma_f64 v[27:28], v[61:62], v[27:28], v[55:56]
	v_fma_f64 v[55:56], v[61:62], v[29:30], v[39:40]
	global_load_dwordx4 v[39:42], v[71:72], off offset:32
	v_fma_f64 v[59:60], v[29:30], s[20:21], v[51:52]
	v_fma_f64 v[61:62], v[29:30], s[20:21], v[53:54]
	global_load_dwordx4 v[51:54], v[71:72], off offset:48
	v_fma_f64 v[73:74], v[29:30], s[20:21], v[73:74]
	v_add_co_u32_e32 v23, vcc, s22, v23
	v_fma_f64 v[27:28], v[29:30], s[20:21], v[27:28]
	v_addc_co_u32_e32 v24, vcc, 0, v24, vcc
	s_waitcnt vmcnt(1)
	v_fma_f64 v[29:30], v[39:40], 0, v[69:70]
	v_fma_f64 v[59:60], v[31:32], v[39:40], v[59:60]
	;; [unrolled: 1-line block ×16, first 2 shown]
	s_waitcnt vmcnt(0)
	v_fma_f64 v[29:30], v[51:52], 0, v[29:30]
	v_fma_f64 v[31:32], v[33:34], v[51:52], v[31:32]
	;; [unrolled: 1-line block ×16, first 2 shown]
	s_andn2_b64 exec, exec, s[18:19]
	s_cbranch_execnz .LBB145_17
; %bb.18:
	s_or_b64 exec, exec, s[18:19]
.LBB145_19:
	s_or_b64 exec, exec, s[16:17]
	v_cmp_lt_u64_e32 vcc, 11, v[25:26]
	s_and_saveexec_b64 s[2:3], vcc
	s_cbranch_execz .LBB145_23
; %bb.20:
	v_lshlrev_b64 v[25:26], 3, v[19:20]
	v_mov_b32_e32 v43, s13
	v_add_co_u32_e32 v25, vcc, s12, v25
	v_addc_co_u32_e32 v26, vcc, v43, v26, vcc
	v_add_co_u32_e32 v25, vcc, 64, v25
	s_mov_b32 s8, 0
	v_addc_co_u32_e32 v26, vcc, 0, v26, vcc
	s_mov_b64 s[6:7], 0
	v_mov_b32_e32 v47, s11
	s_brev_b32 s9, 1
	s_movk_i32 s16, 0x800
.LBB145_21:                             ; =>This Inner Loop Header: Depth=1
	global_load_dwordx2 v[43:44], v[25:26], off offset:-64
	s_waitcnt vmcnt(0)
	v_sub_co_u32_e32 v60, vcc, v43, v9
	v_subb_co_u32_e32 v61, vcc, v44, v10, vcc
	v_lshlrev_b64 v[60:61], 6, v[60:61]
	global_load_dwordx4 v[43:46], v[23:24], off offset:48
	global_load_dwordx4 v[48:51], v[23:24], off offset:32
	;; [unrolled: 1-line block ×3, first 2 shown]
	global_load_dwordx4 v[56:59], v[23:24], off
	v_add_co_u32_e32 v76, vcc, s10, v60
	v_addc_co_u32_e32 v77, vcc, v47, v61, vcc
	global_load_dwordx4 v[60:63], v[76:77], off offset:48
	global_load_dwordx4 v[64:67], v[76:77], off offset:32
	;; [unrolled: 1-line block ×3, first 2 shown]
	global_load_dwordx4 v[72:75], v[76:77], off
	s_waitcnt vmcnt(0)
	v_fma_f64 v[27:28], v[72:73], 0, v[27:28]
	v_fma_f64 v[33:34], v[56:57], v[72:73], v[33:34]
	;; [unrolled: 1-line block ×34, first 2 shown]
	global_load_dwordx4 v[27:30], v[23:24], off offset:112
	global_load_dwordx4 v[31:34], v[23:24], off offset:96
	;; [unrolled: 1-line block ×4, first 2 shown]
	s_waitcnt vmcnt(2)
	v_fma_f64 v[35:36], v[31:32], v[72:73], v[35:36]
	v_fma_f64 v[31:32], v[31:32], v[74:75], v[37:38]
	s_waitcnt vmcnt(0)
	v_fma_f64 v[41:42], v[48:49], v[72:73], v[41:42]
	v_fma_f64 v[39:40], v[48:49], v[74:75], v[39:40]
	;; [unrolled: 1-line block ×25, first 2 shown]
	global_load_dwordx2 v[27:28], v[25:26], off offset:-32
	v_fma_f64 v[86:87], v[45:46], v[62:63], v[39:40]
	v_fma_f64 v[64:65], v[62:63], s[8:9], v[31:32]
	;; [unrolled: 1-line block ×3, first 2 shown]
	s_waitcnt vmcnt(0)
	v_sub_co_u32_e32 v43, vcc, v27, v9
	v_subb_co_u32_e32 v44, vcc, v28, v10, vcc
	v_lshlrev_b64 v[43:44], 6, v[43:44]
	global_load_dwordx4 v[27:30], v[23:24], off offset:560
	global_load_dwordx4 v[31:34], v[23:24], off offset:544
	;; [unrolled: 1-line block ×4, first 2 shown]
	v_add_co_u32_e32 v62, vcc, s10, v43
	v_addc_co_u32_e32 v63, vcc, v47, v44, vcc
	global_load_dwordx4 v[43:46], v[62:63], off offset:48
	global_load_dwordx4 v[48:51], v[62:63], off offset:32
	;; [unrolled: 1-line block ×3, first 2 shown]
	global_load_dwordx4 v[56:59], v[62:63], off
	s_waitcnt vmcnt(0)
	v_fma_f64 v[66:67], v[56:57], 0, v[78:79]
	v_fma_f64 v[62:63], v[39:40], v[56:57], v[76:77]
	;; [unrolled: 1-line block ×33, first 2 shown]
	global_load_dwordx4 v[27:30], v[23:24], off offset:624
	global_load_dwordx4 v[31:34], v[23:24], off offset:608
	;; [unrolled: 1-line block ×4, first 2 shown]
	s_waitcnt vmcnt(0)
	v_fma_f64 v[72:73], v[39:40], v[56:57], v[84:85]
	v_fma_f64 v[39:40], v[39:40], v[58:59], v[74:75]
	;; [unrolled: 1-line block ×30, first 2 shown]
	global_load_dwordx2 v[27:28], v[25:26], off
	v_fma_f64 v[76:77], v[45:46], s[8:9], v[31:32]
	s_waitcnt vmcnt(0)
	v_sub_co_u32_e32 v43, vcc, v27, v9
	v_subb_co_u32_e32 v44, vcc, v28, v10, vcc
	v_lshlrev_b64 v[43:44], 6, v[43:44]
	global_load_dwordx4 v[31:34], v[23:24], off offset:1072
	global_load_dwordx4 v[35:38], v[23:24], off offset:1056
	;; [unrolled: 1-line block ×4, first 2 shown]
	v_add_co_u32_e32 v60, vcc, s10, v43
	v_addc_co_u32_e32 v61, vcc, v47, v44, vcc
	global_load_dwordx4 v[48:51], v[60:61], off offset:48
	global_load_dwordx4 v[43:46], v[60:61], off offset:32
	;; [unrolled: 1-line block ×3, first 2 shown]
	global_load_dwordx4 v[56:59], v[60:61], off
	s_waitcnt vmcnt(0)
	v_fma_f64 v[60:61], v[39:40], v[56:57], v[62:63]
	v_fma_f64 v[62:63], v[56:57], 0, v[66:67]
	;; [unrolled: 1-line block ×32, first 2 shown]
	global_load_dwordx4 v[60:63], v[23:24], off offset:1136
	global_load_dwordx4 v[64:67], v[23:24], off offset:1120
	;; [unrolled: 1-line block ×4, first 2 shown]
	v_fma_f64 v[31:32], v[50:51], s[8:9], v[31:32]
	s_waitcnt vmcnt(0)
	v_fma_f64 v[33:34], v[68:69], v[56:57], v[72:73]
	v_fma_f64 v[41:42], v[68:69], v[58:59], v[41:42]
	;; [unrolled: 1-line block ×31, first 2 shown]
	global_load_dwordx2 v[33:34], v[25:26], off offset:32
	global_load_dwordx4 v[48:51], v[23:24], off offset:1584
	global_load_dwordx4 v[52:55], v[23:24], off offset:1568
	;; [unrolled: 1-line block ×4, first 2 shown]
	s_waitcnt vmcnt(4)
	v_sub_co_u32_e32 v33, vcc, v33, v9
	v_subb_co_u32_e32 v34, vcc, v34, v10, vcc
	v_lshlrev_b64 v[33:34], 6, v[33:34]
	v_add_co_u32_e32 v33, vcc, s10, v33
	v_addc_co_u32_e32 v34, vcc, v47, v34, vcc
	global_load_dwordx4 v[64:67], v[33:34], off offset:48
	global_load_dwordx4 v[68:71], v[33:34], off offset:32
	;; [unrolled: 1-line block ×3, first 2 shown]
	global_load_dwordx4 v[76:79], v[33:34], off
	s_waitcnt vmcnt(0)
	v_fma_f64 v[27:28], v[60:61], v[76:77], v[27:28]
	v_fma_f64 v[29:30], v[76:77], 0, v[29:30]
	;; [unrolled: 1-line block ×33, first 2 shown]
	global_load_dwordx4 v[48:51], v[23:24], off offset:1648
	global_load_dwordx4 v[52:55], v[23:24], off offset:1632
	;; [unrolled: 1-line block ×4, first 2 shown]
	v_add_co_u32_e32 v23, vcc, s16, v23
	v_addc_co_u32_e32 v24, vcc, 0, v24, vcc
	v_add_co_u32_e32 v19, vcc, 16, v19
	v_addc_co_u32_e32 v20, vcc, 0, v20, vcc
	;; [unrolled: 2-line block ×3, first 2 shown]
	v_cmp_ge_i64_e32 vcc, v[19:20], v[13:14]
	s_or_b64 s[6:7], vcc, s[6:7]
	s_waitcnt vmcnt(0)
	v_fma_f64 v[35:36], v[39:40], v[76:77], v[35:36]
	v_fma_f64 v[37:38], v[39:40], v[78:79], v[37:38]
	v_fma_f64 v[35:36], v[78:79], s[8:9], v[35:36]
	v_fma_f64 v[37:38], v[72:73], 0, v[37:38]
	v_fma_f64 v[35:36], v[41:42], v[72:73], v[35:36]
	v_fma_f64 v[37:38], v[41:42], v[74:75], v[37:38]
	v_fma_f64 v[35:36], v[74:75], s[8:9], v[35:36]
	v_fma_f64 v[37:38], v[68:69], 0, v[37:38]
	v_fma_f64 v[35:36], v[56:57], v[68:69], v[35:36]
	v_fma_f64 v[37:38], v[56:57], v[70:71], v[37:38]
	v_fma_f64 v[35:36], v[70:71], s[8:9], v[35:36]
	v_fma_f64 v[35:36], v[58:59], v[64:65], v[35:36]
	v_fma_f64 v[41:42], v[66:67], s[8:9], v[35:36]
	v_fma_f64 v[35:36], v[64:65], 0, v[37:38]
	v_fma_f64 v[37:38], v[76:77], 0, v[45:46]
	v_fma_f64 v[39:40], v[58:59], v[66:67], v[35:36]
	v_fma_f64 v[35:36], v[52:53], v[76:77], v[43:44]
	v_fma_f64 v[37:38], v[52:53], v[78:79], v[37:38]
	v_fma_f64 v[35:36], v[78:79], s[8:9], v[35:36]
	v_fma_f64 v[37:38], v[72:73], 0, v[37:38]
	v_fma_f64 v[35:36], v[54:55], v[72:73], v[35:36]
	v_fma_f64 v[37:38], v[54:55], v[74:75], v[37:38]
	v_fma_f64 v[35:36], v[74:75], s[8:9], v[35:36]
	v_fma_f64 v[37:38], v[68:69], 0, v[37:38]
	v_fma_f64 v[35:36], v[48:49], v[68:69], v[35:36]
	v_fma_f64 v[37:38], v[48:49], v[70:71], v[37:38]
	v_fma_f64 v[35:36], v[70:71], s[8:9], v[35:36]
	v_fma_f64 v[37:38], v[64:65], 0, v[37:38]
	v_fma_f64 v[35:36], v[50:51], v[64:65], v[35:36]
	v_fma_f64 v[37:38], v[50:51], v[66:67], v[37:38]
	v_fma_f64 v[35:36], v[66:67], s[8:9], v[35:36]
	s_andn2_b64 exec, exec, s[6:7]
	s_cbranch_execnz .LBB145_21
; %bb.22:
	s_or_b64 exec, exec, s[6:7]
.LBB145_23:
	s_or_b64 exec, exec, s[2:3]
.LBB145_24:
	s_or_b64 exec, exec, s[14:15]
	s_cbranch_execz .LBB145_26
	s_branch .LBB145_37
.LBB145_25:
                                        ; implicit-def: $vgpr27_vgpr28
                                        ; implicit-def: $vgpr33_vgpr34
                                        ; implicit-def: $vgpr29_vgpr30
                                        ; implicit-def: $vgpr31_vgpr32
                                        ; implicit-def: $vgpr39_vgpr40
                                        ; implicit-def: $vgpr41_vgpr42
                                        ; implicit-def: $vgpr37_vgpr38
                                        ; implicit-def: $vgpr35_vgpr36
.LBB145_26:
	v_mov_b32_e32 v27, 0
	v_mov_b32_e32 v33, 0
	;; [unrolled: 1-line block ×16, first 2 shown]
	s_and_saveexec_b64 s[2:3], s[0:1]
	s_cbranch_execz .LBB145_36
; %bb.27:
	v_or_b32_e32 v19, 4, v0
	v_sub_co_u32_e32 v19, vcc, v19, v9
	v_subb_co_u32_e32 v20, vcc, 0, v10, vcc
	v_add_co_u32_e32 v19, vcc, v19, v17
	v_addc_co_u32_e32 v20, vcc, v20, v18, vcc
	v_cmp_gt_i64_e32 vcc, v[19:20], v[13:14]
	v_not_b32_e32 v17, v17
	v_cndmask_b32_e32 v20, v14, v20, vcc
	v_cndmask_b32_e32 v19, v13, v19, vcc
	v_sub_co_u32_e32 v23, vcc, v9, v0
	v_subbrev_co_u32_e32 v24, vcc, 0, v10, vcc
	v_not_b32_e32 v18, v18
	v_add_co_u32_e32 v17, vcc, v23, v17
	v_addc_co_u32_e32 v18, vcc, v24, v18, vcc
	v_add_co_u32_e32 v17, vcc, v17, v19
	v_addc_co_u32_e32 v18, vcc, v18, v20, vcc
	v_and_b32_e32 v19, 12, v17
	v_mov_b32_e32 v20, 0
	v_cmp_ne_u64_e32 vcc, 12, v[19:20]
	v_mov_b32_e32 v35, 0
	v_mov_b32_e32 v37, 0
	;; [unrolled: 1-line block ×16, first 2 shown]
	s_and_saveexec_b64 s[0:1], vcc
	s_cbranch_execz .LBB145_31
; %bb.28:
	v_lshrrev_b32_e32 v19, 2, v17
	v_add_u32_e32 v19, 1, v19
	v_and_b32_e32 v23, 3, v19
	v_lshlrev_b64 v[19:20], 3, v[11:12]
	v_mov_b32_e32 v24, s13
	v_add_co_u32_e32 v19, vcc, s12, v19
	v_addc_co_u32_e32 v20, vcc, v24, v20, vcc
	v_sub_co_u32_e32 v23, vcc, 0, v23
	v_subb_co_u32_e64 v24, s[8:9], 0, 0, vcc
	v_mov_b32_e32 v27, 0
	s_mov_b32 s8, 0
	v_mov_b32_e32 v33, 0
	v_mov_b32_e32 v29, 0
	;; [unrolled: 1-line block ×7, first 2 shown]
	s_mov_b64 s[6:7], 0
	v_mov_b32_e32 v28, 0
	s_brev_b32 s9, 1
	v_mov_b32_e32 v34, 0
	v_mov_b32_e32 v30, 0
	;; [unrolled: 1-line block ×7, first 2 shown]
	s_movk_i32 s14, 0x200
.LBB145_29:                             ; =>This Inner Loop Header: Depth=1
	global_load_dwordx2 v[25:26], v[19:20], off
	v_mov_b32_e32 v59, s11
	global_load_dwordx4 v[43:46], v[15:16], off offset:48
	global_load_dwordx4 v[47:50], v[15:16], off offset:32
	;; [unrolled: 1-line block ×3, first 2 shown]
	global_load_dwordx4 v[55:58], v[15:16], off
	s_waitcnt vmcnt(4)
	v_sub_co_u32_e32 v25, vcc, v25, v9
	v_subb_co_u32_e32 v26, vcc, v26, v10, vcc
	v_lshlrev_b64 v[25:26], 6, v[25:26]
	v_add_co_u32_e32 v25, vcc, s10, v25
	v_addc_co_u32_e32 v26, vcc, v59, v26, vcc
	global_load_dwordx4 v[59:62], v[25:26], off offset:48
	global_load_dwordx4 v[63:66], v[25:26], off offset:32
	;; [unrolled: 1-line block ×3, first 2 shown]
	global_load_dwordx4 v[71:74], v[25:26], off
	s_waitcnt vmcnt(0)
	v_fma_f64 v[27:28], v[71:72], 0, v[27:28]
	v_fma_f64 v[25:26], v[55:56], v[71:72], v[33:34]
	;; [unrolled: 1-line block ×35, first 2 shown]
	global_load_dwordx4 v[35:38], v[15:16], off offset:112
	global_load_dwordx4 v[27:30], v[15:16], off offset:96
	;; [unrolled: 1-line block ×4, first 2 shown]
	v_add_co_u32_e32 v15, vcc, s14, v15
	v_addc_co_u32_e32 v16, vcc, 0, v16, vcc
	v_add_co_u32_e32 v11, vcc, 4, v11
	v_addc_co_u32_e32 v12, vcc, 0, v12, vcc
	;; [unrolled: 2-line block ×4, first 2 shown]
	v_cmp_eq_u64_e32 vcc, 0, v[23:24]
	s_or_b64 s[6:7], vcc, s[6:7]
	s_waitcnt vmcnt(1)
	v_fma_f64 v[43:44], v[31:32], v[65:66], v[43:44]
	s_waitcnt vmcnt(0)
	v_fma_f64 v[25:26], v[39:40], v[63:64], v[25:26]
	v_fma_f64 v[39:40], v[39:40], v[65:66], v[47:48]
	v_fma_f64 v[47:48], v[41:42], v[63:64], v[51:52]
	v_fma_f64 v[41:42], v[41:42], v[65:66], v[49:50]
	v_fma_f64 v[49:50], v[31:32], v[63:64], v[53:54]
	v_fma_f64 v[31:32], v[33:34], v[63:64], v[55:56]
	v_fma_f64 v[25:26], v[65:66], s[8:9], v[25:26]
	v_fma_f64 v[47:48], v[65:66], s[8:9], v[47:48]
	v_fma_f64 v[49:50], v[65:66], s[8:9], v[49:50]
	v_fma_f64 v[51:52], v[65:66], s[8:9], v[31:32]
	v_fma_f64 v[31:32], v[63:64], 0, v[45:46]
	v_fma_f64 v[25:26], v[27:28], v[59:60], v[25:26]
	v_fma_f64 v[45:46], v[33:34], v[65:66], v[31:32]
	v_fma_f64 v[33:34], v[61:62], s[8:9], v[25:26]
	v_fma_f64 v[25:26], v[59:60], 0, v[39:40]
	v_fma_f64 v[27:28], v[27:28], v[61:62], v[25:26]
	v_fma_f64 v[25:26], v[29:30], v[59:60], v[47:48]
	v_fma_f64 v[31:32], v[61:62], s[8:9], v[25:26]
	v_fma_f64 v[25:26], v[59:60], 0, v[41:42]
	v_fma_f64 v[29:30], v[29:30], v[61:62], v[25:26]
	v_fma_f64 v[25:26], v[35:36], v[59:60], v[49:50]
	v_fma_f64 v[41:42], v[61:62], s[8:9], v[25:26]
	v_fma_f64 v[25:26], v[59:60], 0, v[43:44]
	v_fma_f64 v[39:40], v[35:36], v[61:62], v[25:26]
	v_fma_f64 v[25:26], v[37:38], v[59:60], v[51:52]
	v_fma_f64 v[35:36], v[61:62], s[8:9], v[25:26]
	v_fma_f64 v[25:26], v[59:60], 0, v[45:46]
	v_fma_f64 v[37:38], v[37:38], v[61:62], v[25:26]
	s_andn2_b64 exec, exec, s[6:7]
	s_cbranch_execnz .LBB145_29
; %bb.30:
	s_or_b64 exec, exec, s[6:7]
.LBB145_31:
	s_or_b64 exec, exec, s[0:1]
	v_cmp_lt_u64_e32 vcc, 11, v[17:18]
	s_and_saveexec_b64 s[0:1], vcc
	s_cbranch_execz .LBB145_35
; %bb.32:
	v_lshlrev_b64 v[17:18], 3, v[11:12]
	v_mov_b32_e32 v19, s13
	v_add_co_u32_e32 v17, vcc, s12, v17
	v_addc_co_u32_e32 v18, vcc, v19, v18, vcc
	v_add_co_u32_e32 v17, vcc, 64, v17
	s_mov_b32 s8, 0
	v_addc_co_u32_e32 v18, vcc, 0, v18, vcc
	s_mov_b64 s[6:7], 0
	v_mov_b32_e32 v43, s11
	s_brev_b32 s9, 1
	s_movk_i32 s11, 0x800
.LBB145_33:                             ; =>This Inner Loop Header: Depth=1
	global_load_dwordx2 v[19:20], v[17:18], off offset:-64
	global_load_dwordx4 v[23:26], v[15:16], off offset:48
	global_load_dwordx4 v[44:47], v[15:16], off offset:32
	;; [unrolled: 1-line block ×3, first 2 shown]
	global_load_dwordx4 v[52:55], v[15:16], off
	s_waitcnt vmcnt(4)
	v_sub_co_u32_e32 v19, vcc, v19, v9
	v_subb_co_u32_e32 v20, vcc, v20, v10, vcc
	v_lshlrev_b64 v[19:20], 6, v[19:20]
	v_add_co_u32_e32 v19, vcc, s10, v19
	v_addc_co_u32_e32 v20, vcc, v43, v20, vcc
	global_load_dwordx4 v[56:59], v[19:20], off offset:48
	global_load_dwordx4 v[60:63], v[19:20], off offset:32
	;; [unrolled: 1-line block ×3, first 2 shown]
	global_load_dwordx4 v[68:71], v[19:20], off
	s_waitcnt vmcnt(0)
	v_fma_f64 v[27:28], v[68:69], 0, v[27:28]
	v_fma_f64 v[31:32], v[54:55], v[68:69], v[31:32]
	;; [unrolled: 1-line block ×34, first 2 shown]
	global_load_dwordx4 v[23:26], v[15:16], off offset:112
	global_load_dwordx4 v[27:30], v[15:16], off offset:96
	;; [unrolled: 1-line block ×4, first 2 shown]
	s_waitcnt vmcnt(0)
	v_fma_f64 v[19:20], v[35:36], v[60:61], v[19:20]
	v_fma_f64 v[35:36], v[35:36], v[62:63], v[41:42]
	;; [unrolled: 1-line block ×30, first 2 shown]
	global_load_dwordx2 v[23:24], v[17:18], off offset:-32
	s_waitcnt vmcnt(0)
	v_sub_co_u32_e32 v39, vcc, v23, v9
	v_subb_co_u32_e32 v40, vcc, v24, v10, vcc
	v_lshlrev_b64 v[39:40], 6, v[39:40]
	global_load_dwordx4 v[23:26], v[15:16], off offset:560
	global_load_dwordx4 v[27:30], v[15:16], off offset:544
	;; [unrolled: 1-line block ×4, first 2 shown]
	v_add_co_u32_e32 v58, vcc, s10, v39
	v_addc_co_u32_e32 v59, vcc, v43, v40, vcc
	global_load_dwordx4 v[39:42], v[58:59], off offset:48
	global_load_dwordx4 v[44:47], v[58:59], off offset:32
	;; [unrolled: 1-line block ×3, first 2 shown]
	global_load_dwordx4 v[52:55], v[58:59], off
	s_waitcnt vmcnt(0)
	v_fma_f64 v[58:59], v[52:53], 0, v[60:61]
	v_fma_f64 v[19:20], v[35:36], v[52:53], v[19:20]
	;; [unrolled: 1-line block ×32, first 2 shown]
	global_load_dwordx4 v[23:26], v[15:16], off offset:624
	global_load_dwordx4 v[27:30], v[15:16], off offset:608
	;; [unrolled: 1-line block ×4, first 2 shown]
	v_fma_f64 v[50:51], v[44:45], 0, v[52:53]
	v_fma_f64 v[52:53], v[44:45], 0, v[56:57]
	s_waitcnt vmcnt(0)
	v_fma_f64 v[19:20], v[35:36], v[44:45], v[19:20]
	v_fma_f64 v[35:36], v[35:36], v[46:47], v[50:51]
	;; [unrolled: 1-line block ×30, first 2 shown]
	global_load_dwordx2 v[23:24], v[17:18], off
	s_waitcnt vmcnt(0)
	v_sub_co_u32_e32 v39, vcc, v23, v9
	v_subb_co_u32_e32 v40, vcc, v24, v10, vcc
	v_lshlrev_b64 v[39:40], 6, v[39:40]
	global_load_dwordx4 v[23:26], v[15:16], off offset:1072
	global_load_dwordx4 v[27:30], v[15:16], off offset:1056
	;; [unrolled: 1-line block ×4, first 2 shown]
	v_add_co_u32_e32 v70, vcc, s10, v39
	v_addc_co_u32_e32 v71, vcc, v43, v40, vcc
	global_load_dwordx4 v[39:42], v[70:71], off offset:48
	global_load_dwordx4 v[44:47], v[70:71], off offset:32
	;; [unrolled: 1-line block ×3, first 2 shown]
	global_load_dwordx4 v[52:55], v[70:71], off
	s_waitcnt vmcnt(0)
	v_fma_f64 v[56:57], v[52:53], 0, v[56:57]
	v_fma_f64 v[19:20], v[35:36], v[52:53], v[19:20]
	;; [unrolled: 1-line block ×35, first 2 shown]
	global_load_dwordx4 v[33:36], v[15:16], off offset:1136
	global_load_dwordx4 v[25:28], v[15:16], off offset:1120
	;; [unrolled: 1-line block ×4, first 2 shown]
	s_waitcnt vmcnt(0)
	v_fma_f64 v[19:20], v[48:49], v[44:45], v[19:20]
	v_fma_f64 v[48:49], v[48:49], v[46:47], v[52:53]
	;; [unrolled: 1-line block ×26, first 2 shown]
	global_load_dwordx2 v[37:38], v[17:18], off offset:32
	v_fma_f64 v[25:26], v[41:42], s[8:9], v[25:26]
	v_fma_f64 v[29:30], v[41:42], s[8:9], v[29:30]
	;; [unrolled: 1-line block ×3, first 2 shown]
	s_waitcnt vmcnt(0)
	v_sub_co_u32_e32 v41, vcc, v37, v9
	v_subb_co_u32_e32 v42, vcc, v38, v10, vcc
	v_lshlrev_b64 v[41:42], 6, v[41:42]
	global_load_dwordx4 v[37:40], v[15:16], off offset:1584
	global_load_dwordx4 v[44:47], v[15:16], off offset:1568
	global_load_dwordx4 v[48:51], v[15:16], off offset:1552
	global_load_dwordx4 v[52:55], v[15:16], off offset:1536
	v_add_co_u32_e32 v41, vcc, s10, v41
	v_addc_co_u32_e32 v42, vcc, v43, v42, vcc
	global_load_dwordx4 v[56:59], v[41:42], off offset:48
	global_load_dwordx4 v[60:63], v[41:42], off offset:32
	;; [unrolled: 1-line block ×3, first 2 shown]
	global_load_dwordx4 v[68:71], v[41:42], off
	s_waitcnt vmcnt(0)
	v_fma_f64 v[23:24], v[68:69], 0, v[23:24]
	v_fma_f64 v[25:26], v[54:55], v[68:69], v[25:26]
	;; [unrolled: 1-line block ×33, first 2 shown]
	global_load_dwordx4 v[23:26], v[15:16], off offset:1648
	global_load_dwordx4 v[27:30], v[15:16], off offset:1632
	;; [unrolled: 1-line block ×4, first 2 shown]
	v_add_co_u32_e32 v15, vcc, s11, v15
	v_addc_co_u32_e32 v16, vcc, 0, v16, vcc
	v_add_co_u32_e32 v11, vcc, 16, v11
	v_addc_co_u32_e32 v12, vcc, 0, v12, vcc
	;; [unrolled: 2-line block ×3, first 2 shown]
	v_cmp_ge_i64_e32 vcc, v[11:12], v[13:14]
	s_or_b64 s[6:7], vcc, s[6:7]
	s_waitcnt vmcnt(0)
	v_fma_f64 v[19:20], v[35:36], v[60:61], v[19:20]
	v_fma_f64 v[35:36], v[35:36], v[62:63], v[41:42]
	;; [unrolled: 1-line block ×31, first 2 shown]
	s_andn2_b64 exec, exec, s[6:7]
	s_cbranch_execnz .LBB145_33
; %bb.34:
	s_or_b64 exec, exec, s[6:7]
.LBB145_35:
	s_or_b64 exec, exec, s[0:1]
.LBB145_36:
	s_or_b64 exec, exec, s[2:3]
.LBB145_37:
	v_mov_b32_dpp v9, v33 row_shr:1 row_mask:0xf bank_mask:0xf
	v_mov_b32_dpp v10, v34 row_shr:1 row_mask:0xf bank_mask:0xf
	;; [unrolled: 1-line block ×6, first 2 shown]
	v_add_f64 v[9:10], v[33:34], v[9:10]
	v_mov_b32_dpp v11, v27 row_shr:1 row_mask:0xf bank_mask:0xf
	v_mov_b32_dpp v12, v28 row_shr:1 row_mask:0xf bank_mask:0xf
	v_add_f64 v[13:14], v[31:32], v[13:14]
	v_add_f64 v[15:16], v[29:30], v[15:16]
	v_mov_b32_dpp v25, v41 row_shr:1 row_mask:0xf bank_mask:0xf
	v_mov_b32_dpp v26, v42 row_shr:1 row_mask:0xf bank_mask:0xf
	v_mov_b32_dpp v29, v39 row_shr:1 row_mask:0xf bank_mask:0xf
	v_mov_b32_dpp v30, v40 row_shr:1 row_mask:0xf bank_mask:0xf
	v_mov_b32_dpp v31, v35 row_shr:1 row_mask:0xf bank_mask:0xf
	v_mov_b32_dpp v32, v36 row_shr:1 row_mask:0xf bank_mask:0xf
	v_mov_b32_dpp v33, v37 row_shr:1 row_mask:0xf bank_mask:0xf
	v_mov_b32_dpp v34, v38 row_shr:1 row_mask:0xf bank_mask:0xf
	v_add_f64 v[11:12], v[27:28], v[11:12]
	v_add_f64 v[25:26], v[41:42], v[25:26]
	;; [unrolled: 1-line block ×5, first 2 shown]
	v_mov_b32_dpp v27, v9 row_shr:2 row_mask:0xf bank_mask:0xf
	v_mov_b32_dpp v28, v10 row_shr:2 row_mask:0xf bank_mask:0xf
	;; [unrolled: 1-line block ×16, first 2 shown]
	v_cmp_eq_u32_e32 vcc, 3, v0
	s_and_b64 exec, exec, vcc
	s_cbranch_execz .LBB145_8
; %bb.38:
	v_add_f64 v[11:12], v[11:12], v[23:24]
	v_add_f64 v[23:24], v[13:14], v[19:20]
	;; [unrolled: 1-line block ×8, first 2 shown]
	v_mul_f64 v[19:20], v[11:12], -v[7:8]
	v_mul_f64 v[11:12], v[5:6], v[11:12]
	v_mul_f64 v[29:30], v[13:14], -v[7:8]
	v_mul_f64 v[31:32], v[5:6], v[13:14]
	;; [unrolled: 2-line block ×4, first 2 shown]
	v_cmp_eq_f64_e32 vcc, 0, v[1:2]
	v_cmp_eq_f64_e64 s[0:1], 0, v[3:4]
	v_fma_f64 v[17:18], v[5:6], v[9:10], v[19:20]
	v_fma_f64 v[19:20], v[7:8], v[9:10], v[11:12]
	;; [unrolled: 1-line block ×8, first 2 shown]
	s_load_dwordx2 s[2:3], s[4:5], 0x68
	v_lshlrev_b64 v[21:22], 6, v[21:22]
	s_and_b64 s[0:1], vcc, s[0:1]
	s_and_saveexec_b64 s[4:5], s[0:1]
	s_xor_b64 s[0:1], exec, s[4:5]
	s_cbranch_execz .LBB145_40
; %bb.39:
	s_waitcnt lgkmcnt(0)
	v_mov_b32_e32 v1, s3
	v_add_co_u32_e32 v0, vcc, s2, v21
	v_addc_co_u32_e32 v1, vcc, v1, v22, vcc
	global_store_dwordx4 v[0:1], v[17:20], off
	global_store_dwordx4 v[0:1], v[13:16], off offset:16
	global_store_dwordx4 v[0:1], v[9:12], off offset:32
	;; [unrolled: 1-line block ×3, first 2 shown]
                                        ; implicit-def: $vgpr3_vgpr4
                                        ; implicit-def: $vgpr17_vgpr18
                                        ; implicit-def: $vgpr21_vgpr22
                                        ; implicit-def: $vgpr13_vgpr14
                                        ; implicit-def: $vgpr9_vgpr10
                                        ; implicit-def: $vgpr5_vgpr6
.LBB145_40:
	s_andn2_saveexec_b64 s[0:1], s[0:1]
	s_cbranch_execz .LBB145_8
; %bb.41:
	s_waitcnt lgkmcnt(0)
	v_mov_b32_e32 v0, s3
	v_add_co_u32_e32 v37, vcc, s2, v21
	v_addc_co_u32_e32 v38, vcc, v0, v22, vcc
	global_load_dwordx4 v[21:24], v[37:38], off
	global_load_dwordx4 v[25:28], v[37:38], off offset:16
	global_load_dwordx4 v[29:32], v[37:38], off offset:32
	;; [unrolled: 1-line block ×3, first 2 shown]
	s_waitcnt vmcnt(3)
	v_fma_f64 v[17:18], v[1:2], v[21:22], v[17:18]
	v_fma_f64 v[19:20], v[3:4], v[21:22], v[19:20]
	s_waitcnt vmcnt(2)
	v_fma_f64 v[13:14], v[1:2], v[25:26], v[13:14]
	v_fma_f64 v[15:16], v[3:4], v[25:26], v[15:16]
	;; [unrolled: 3-line block ×4, first 2 shown]
	v_fma_f64 v[5:6], -v[3:4], v[23:24], v[17:18]
	v_fma_f64 v[7:8], v[1:2], v[23:24], v[19:20]
	v_fma_f64 v[9:10], -v[3:4], v[27:28], v[13:14]
	v_fma_f64 v[11:12], v[1:2], v[27:28], v[15:16]
	;; [unrolled: 2-line block ×4, first 2 shown]
	global_store_dwordx4 v[37:38], v[5:8], off
	global_store_dwordx4 v[37:38], v[9:12], off offset:16
	global_store_dwordx4 v[37:38], v[13:16], off offset:32
	global_store_dwordx4 v[37:38], v[17:20], off offset:48
	s_endpgm
	.section	.rodata,"a",@progbits
	.p2align	6, 0x0
	.amdhsa_kernel _ZN9rocsparseL18bsrxmvn_4x4_kernelILj128ELj4E21rocsparse_complex_numIdElldS2_S2_EEvT3_20rocsparse_direction_NS_24const_host_device_scalarIT1_EES3_PKS3_PKT2_SC_S9_PKT4_PKT5_S7_PT6_21rocsparse_index_base_b
		.amdhsa_group_segment_fixed_size 0
		.amdhsa_private_segment_fixed_size 0
		.amdhsa_kernarg_size 120
		.amdhsa_user_sgpr_count 6
		.amdhsa_user_sgpr_private_segment_buffer 1
		.amdhsa_user_sgpr_dispatch_ptr 0
		.amdhsa_user_sgpr_queue_ptr 0
		.amdhsa_user_sgpr_kernarg_segment_ptr 1
		.amdhsa_user_sgpr_dispatch_id 0
		.amdhsa_user_sgpr_flat_scratch_init 0
		.amdhsa_user_sgpr_private_segment_size 0
		.amdhsa_uses_dynamic_stack 0
		.amdhsa_system_sgpr_private_segment_wavefront_offset 0
		.amdhsa_system_sgpr_workgroup_id_x 1
		.amdhsa_system_sgpr_workgroup_id_y 0
		.amdhsa_system_sgpr_workgroup_id_z 0
		.amdhsa_system_sgpr_workgroup_info 0
		.amdhsa_system_vgpr_workitem_id 0
		.amdhsa_next_free_vgpr 88
		.amdhsa_next_free_sgpr 23
		.amdhsa_reserve_vcc 1
		.amdhsa_reserve_flat_scratch 0
		.amdhsa_float_round_mode_32 0
		.amdhsa_float_round_mode_16_64 0
		.amdhsa_float_denorm_mode_32 3
		.amdhsa_float_denorm_mode_16_64 3
		.amdhsa_dx10_clamp 1
		.amdhsa_ieee_mode 1
		.amdhsa_fp16_overflow 0
		.amdhsa_exception_fp_ieee_invalid_op 0
		.amdhsa_exception_fp_denorm_src 0
		.amdhsa_exception_fp_ieee_div_zero 0
		.amdhsa_exception_fp_ieee_overflow 0
		.amdhsa_exception_fp_ieee_underflow 0
		.amdhsa_exception_fp_ieee_inexact 0
		.amdhsa_exception_int_div_zero 0
	.end_amdhsa_kernel
	.section	.text._ZN9rocsparseL18bsrxmvn_4x4_kernelILj128ELj4E21rocsparse_complex_numIdElldS2_S2_EEvT3_20rocsparse_direction_NS_24const_host_device_scalarIT1_EES3_PKS3_PKT2_SC_S9_PKT4_PKT5_S7_PT6_21rocsparse_index_base_b,"axG",@progbits,_ZN9rocsparseL18bsrxmvn_4x4_kernelILj128ELj4E21rocsparse_complex_numIdElldS2_S2_EEvT3_20rocsparse_direction_NS_24const_host_device_scalarIT1_EES3_PKS3_PKT2_SC_S9_PKT4_PKT5_S7_PT6_21rocsparse_index_base_b,comdat
.Lfunc_end145:
	.size	_ZN9rocsparseL18bsrxmvn_4x4_kernelILj128ELj4E21rocsparse_complex_numIdElldS2_S2_EEvT3_20rocsparse_direction_NS_24const_host_device_scalarIT1_EES3_PKS3_PKT2_SC_S9_PKT4_PKT5_S7_PT6_21rocsparse_index_base_b, .Lfunc_end145-_ZN9rocsparseL18bsrxmvn_4x4_kernelILj128ELj4E21rocsparse_complex_numIdElldS2_S2_EEvT3_20rocsparse_direction_NS_24const_host_device_scalarIT1_EES3_PKS3_PKT2_SC_S9_PKT4_PKT5_S7_PT6_21rocsparse_index_base_b
                                        ; -- End function
	.set _ZN9rocsparseL18bsrxmvn_4x4_kernelILj128ELj4E21rocsparse_complex_numIdElldS2_S2_EEvT3_20rocsparse_direction_NS_24const_host_device_scalarIT1_EES3_PKS3_PKT2_SC_S9_PKT4_PKT5_S7_PT6_21rocsparse_index_base_b.num_vgpr, 88
	.set _ZN9rocsparseL18bsrxmvn_4x4_kernelILj128ELj4E21rocsparse_complex_numIdElldS2_S2_EEvT3_20rocsparse_direction_NS_24const_host_device_scalarIT1_EES3_PKS3_PKT2_SC_S9_PKT4_PKT5_S7_PT6_21rocsparse_index_base_b.num_agpr, 0
	.set _ZN9rocsparseL18bsrxmvn_4x4_kernelILj128ELj4E21rocsparse_complex_numIdElldS2_S2_EEvT3_20rocsparse_direction_NS_24const_host_device_scalarIT1_EES3_PKS3_PKT2_SC_S9_PKT4_PKT5_S7_PT6_21rocsparse_index_base_b.numbered_sgpr, 23
	.set _ZN9rocsparseL18bsrxmvn_4x4_kernelILj128ELj4E21rocsparse_complex_numIdElldS2_S2_EEvT3_20rocsparse_direction_NS_24const_host_device_scalarIT1_EES3_PKS3_PKT2_SC_S9_PKT4_PKT5_S7_PT6_21rocsparse_index_base_b.num_named_barrier, 0
	.set _ZN9rocsparseL18bsrxmvn_4x4_kernelILj128ELj4E21rocsparse_complex_numIdElldS2_S2_EEvT3_20rocsparse_direction_NS_24const_host_device_scalarIT1_EES3_PKS3_PKT2_SC_S9_PKT4_PKT5_S7_PT6_21rocsparse_index_base_b.private_seg_size, 0
	.set _ZN9rocsparseL18bsrxmvn_4x4_kernelILj128ELj4E21rocsparse_complex_numIdElldS2_S2_EEvT3_20rocsparse_direction_NS_24const_host_device_scalarIT1_EES3_PKS3_PKT2_SC_S9_PKT4_PKT5_S7_PT6_21rocsparse_index_base_b.uses_vcc, 1
	.set _ZN9rocsparseL18bsrxmvn_4x4_kernelILj128ELj4E21rocsparse_complex_numIdElldS2_S2_EEvT3_20rocsparse_direction_NS_24const_host_device_scalarIT1_EES3_PKS3_PKT2_SC_S9_PKT4_PKT5_S7_PT6_21rocsparse_index_base_b.uses_flat_scratch, 0
	.set _ZN9rocsparseL18bsrxmvn_4x4_kernelILj128ELj4E21rocsparse_complex_numIdElldS2_S2_EEvT3_20rocsparse_direction_NS_24const_host_device_scalarIT1_EES3_PKS3_PKT2_SC_S9_PKT4_PKT5_S7_PT6_21rocsparse_index_base_b.has_dyn_sized_stack, 0
	.set _ZN9rocsparseL18bsrxmvn_4x4_kernelILj128ELj4E21rocsparse_complex_numIdElldS2_S2_EEvT3_20rocsparse_direction_NS_24const_host_device_scalarIT1_EES3_PKS3_PKT2_SC_S9_PKT4_PKT5_S7_PT6_21rocsparse_index_base_b.has_recursion, 0
	.set _ZN9rocsparseL18bsrxmvn_4x4_kernelILj128ELj4E21rocsparse_complex_numIdElldS2_S2_EEvT3_20rocsparse_direction_NS_24const_host_device_scalarIT1_EES3_PKS3_PKT2_SC_S9_PKT4_PKT5_S7_PT6_21rocsparse_index_base_b.has_indirect_call, 0
	.section	.AMDGPU.csdata,"",@progbits
; Kernel info:
; codeLenInByte = 9044
; TotalNumSgprs: 27
; NumVgprs: 88
; ScratchSize: 0
; MemoryBound: 0
; FloatMode: 240
; IeeeMode: 1
; LDSByteSize: 0 bytes/workgroup (compile time only)
; SGPRBlocks: 3
; VGPRBlocks: 21
; NumSGPRsForWavesPerEU: 27
; NumVGPRsForWavesPerEU: 88
; Occupancy: 2
; WaveLimiterHint : 1
; COMPUTE_PGM_RSRC2:SCRATCH_EN: 0
; COMPUTE_PGM_RSRC2:USER_SGPR: 6
; COMPUTE_PGM_RSRC2:TRAP_HANDLER: 0
; COMPUTE_PGM_RSRC2:TGID_X_EN: 1
; COMPUTE_PGM_RSRC2:TGID_Y_EN: 0
; COMPUTE_PGM_RSRC2:TGID_Z_EN: 0
; COMPUTE_PGM_RSRC2:TIDIG_COMP_CNT: 0
	.section	.text._ZN9rocsparseL18bsrxmvn_4x4_kernelILj128ELj8E21rocsparse_complex_numIdElldS2_S2_EEvT3_20rocsparse_direction_NS_24const_host_device_scalarIT1_EES3_PKS3_PKT2_SC_S9_PKT4_PKT5_S7_PT6_21rocsparse_index_base_b,"axG",@progbits,_ZN9rocsparseL18bsrxmvn_4x4_kernelILj128ELj8E21rocsparse_complex_numIdElldS2_S2_EEvT3_20rocsparse_direction_NS_24const_host_device_scalarIT1_EES3_PKS3_PKT2_SC_S9_PKT4_PKT5_S7_PT6_21rocsparse_index_base_b,comdat
	.globl	_ZN9rocsparseL18bsrxmvn_4x4_kernelILj128ELj8E21rocsparse_complex_numIdElldS2_S2_EEvT3_20rocsparse_direction_NS_24const_host_device_scalarIT1_EES3_PKS3_PKT2_SC_S9_PKT4_PKT5_S7_PT6_21rocsparse_index_base_b ; -- Begin function _ZN9rocsparseL18bsrxmvn_4x4_kernelILj128ELj8E21rocsparse_complex_numIdElldS2_S2_EEvT3_20rocsparse_direction_NS_24const_host_device_scalarIT1_EES3_PKS3_PKT2_SC_S9_PKT4_PKT5_S7_PT6_21rocsparse_index_base_b
	.p2align	8
	.type	_ZN9rocsparseL18bsrxmvn_4x4_kernelILj128ELj8E21rocsparse_complex_numIdElldS2_S2_EEvT3_20rocsparse_direction_NS_24const_host_device_scalarIT1_EES3_PKS3_PKT2_SC_S9_PKT4_PKT5_S7_PT6_21rocsparse_index_base_b,@function
_ZN9rocsparseL18bsrxmvn_4x4_kernelILj128ELj8E21rocsparse_complex_numIdElldS2_S2_EEvT3_20rocsparse_direction_NS_24const_host_device_scalarIT1_EES3_PKS3_PKT2_SC_S9_PKT4_PKT5_S7_PT6_21rocsparse_index_base_b: ; @_ZN9rocsparseL18bsrxmvn_4x4_kernelILj128ELj8E21rocsparse_complex_numIdElldS2_S2_EEvT3_20rocsparse_direction_NS_24const_host_device_scalarIT1_EES3_PKS3_PKT2_SC_S9_PKT4_PKT5_S7_PT6_21rocsparse_index_base_b
; %bb.0:
	s_load_dwordx2 s[0:1], s[4:5], 0x10
	s_load_dwordx2 s[2:3], s[4:5], 0x70
	s_add_u32 s7, s4, 16
	s_addc_u32 s10, s5, 0
	s_add_u32 s11, s4, 0x58
	s_addc_u32 s12, s5, 0
	s_waitcnt lgkmcnt(0)
	s_bitcmp1_b32 s3, 0
	s_cselect_b32 s1, s10, s1
	s_cselect_b32 s0, s7, s0
	v_mov_b32_e32 v1, s0
	v_mov_b32_e32 v2, s1
	flat_load_dwordx4 v[5:8], v[1:2]
	s_load_dwordx2 s[8:9], s[4:5], 0x58
	s_waitcnt lgkmcnt(0)
	s_cselect_b32 s0, s12, s9
	s_cselect_b32 s1, s11, s8
	v_mov_b32_e32 v1, s1
	v_mov_b32_e32 v2, s0
	flat_load_dwordx4 v[1:4], v[1:2]
	s_waitcnt vmcnt(0)
	v_cmp_eq_f64_e32 vcc, 0, v[5:6]
	v_cmp_eq_f64_e64 s[0:1], 0, v[7:8]
	s_and_b64 s[10:11], vcc, s[0:1]
	s_mov_b64 s[0:1], -1
	s_and_saveexec_b64 s[8:9], s[10:11]
	s_cbranch_execz .LBB146_2
; %bb.1:
	s_waitcnt lgkmcnt(0)
	v_cmp_neq_f64_e32 vcc, 1.0, v[1:2]
	v_cmp_neq_f64_e64 s[0:1], 0, v[3:4]
	s_or_b64 s[0:1], vcc, s[0:1]
	s_orn2_b64 s[0:1], s[0:1], exec
.LBB146_2:
	s_or_b64 exec, exec, s[8:9]
	s_and_saveexec_b64 s[8:9], s[0:1]
	s_cbranch_execz .LBB146_8
; %bb.3:
	s_load_dwordx2 s[8:9], s[4:5], 0x28
	v_lshrrev_b32_e32 v9, 3, v0
	v_lshl_or_b32 v11, s6, 4, v9
	v_mov_b32_e32 v12, 0
	s_mov_b64 s[0:1], 0
	s_waitcnt lgkmcnt(0)
	s_cmp_lg_u64 s[8:9], 0
	s_cbranch_scc0 .LBB146_9
; %bb.4:
	s_load_dwordx2 s[6:7], s[4:5], 0x20
                                        ; implicit-def: $vgpr21_vgpr22
                                        ; implicit-def: $vgpr9_vgpr10
	s_waitcnt lgkmcnt(0)
	v_cmp_gt_i64_e32 vcc, s[6:7], v[11:12]
	s_and_saveexec_b64 s[6:7], vcc
	s_xor_b64 s[6:7], exec, s[6:7]
	s_cbranch_execz .LBB146_6
; %bb.5:
	v_lshlrev_b64 v[9:10], 3, v[11:12]
	v_mov_b32_e32 v13, s9
	v_add_co_u32_e32 v9, vcc, s8, v9
	v_addc_co_u32_e32 v10, vcc, v13, v10, vcc
	global_load_dwordx2 v[9:10], v[9:10], off
	s_mov_b32 s3, 0
	s_mov_b64 s[0:1], exec
	s_waitcnt vmcnt(0)
	v_subrev_co_u32_e32 v21, vcc, s2, v9
	v_subbrev_co_u32_e32 v22, vcc, 0, v10, vcc
	v_mov_b32_e32 v10, s3
	v_mov_b32_e32 v9, s2
.LBB146_6:
	s_or_b64 exec, exec, s[6:7]
.LBB146_7:
	s_and_b64 exec, exec, s[0:1]
	s_cbranch_execnz .LBB146_13
.LBB146_8:
	s_endpgm
.LBB146_9:
                                        ; implicit-def: $vgpr21_vgpr22
                                        ; implicit-def: $vgpr9_vgpr10
	s_cbranch_execz .LBB146_7
; %bb.10:
	s_load_dwordx2 s[6:7], s[4:5], 0x0
	s_waitcnt lgkmcnt(0)
	v_cmp_gt_i64_e32 vcc, s[6:7], v[11:12]
	s_and_saveexec_b64 s[6:7], vcc
; %bb.11:
	s_mov_b32 s3, 0
	s_or_b64 s[0:1], s[0:1], exec
; %bb.12:
	s_or_b64 exec, exec, s[6:7]
	v_mov_b32_e32 v10, s3
	v_mov_b32_e32 v22, v12
	v_mov_b32_e32 v9, s2
	v_mov_b32_e32 v21, v11
	s_and_b64 exec, exec, s[0:1]
	s_cbranch_execz .LBB146_8
.LBB146_13:
	s_load_dwordx8 s[8:15], s[4:5], 0x30
	v_lshlrev_b64 v[11:12], 3, v[21:22]
	v_and_b32_e32 v0, 7, v0
	s_waitcnt lgkmcnt(0)
	v_mov_b32_e32 v14, s9
	v_add_co_u32_e32 v13, vcc, s8, v11
	v_addc_co_u32_e32 v14, vcc, v14, v12, vcc
	global_load_dwordx2 v[17:18], v[13:14], off
	v_add_co_u32_e32 v13, vcc, 8, v13
	v_addc_co_u32_e32 v14, vcc, 0, v14, vcc
	v_mov_b32_e32 v15, s11
	v_add_co_u32_e32 v11, vcc, s10, v11
	s_cmp_eq_u64 s[10:11], 0
	v_addc_co_u32_e32 v12, vcc, v15, v12, vcc
	s_cselect_b64 vcc, -1, 0
	v_cndmask_b32_e32 v12, v12, v14, vcc
	v_cndmask_b32_e32 v11, v11, v13, vcc
	global_load_dwordx2 v[13:14], v[11:12], off
	s_load_dword s0, s[4:5], 0x8
	s_load_dwordx2 s[10:11], s[4:5], 0x50
	v_mov_b32_e32 v19, s15
	s_waitcnt lgkmcnt(0)
	s_cmp_eq_u32 s0, 1
	s_waitcnt vmcnt(1)
	v_sub_co_u32_e32 v11, vcc, v17, v9
	v_subb_co_u32_e32 v12, vcc, v18, v10, vcc
	v_add_co_u32_e32 v11, vcc, v11, v0
	v_addc_co_u32_e32 v12, vcc, 0, v12, vcc
	v_lshlrev_b64 v[15:16], 7, v[11:12]
	s_waitcnt vmcnt(0)
	v_sub_co_u32_e32 v13, vcc, v13, v9
	v_subb_co_u32_e32 v14, vcc, v14, v10, vcc
	v_cmp_lt_i64_e64 s[0:1], v[11:12], v[13:14]
	v_add_co_u32_e32 v15, vcc, s14, v15
	v_addc_co_u32_e32 v16, vcc, v19, v16, vcc
	s_cbranch_scc1 .LBB146_25
; %bb.14:
	v_mov_b32_e32 v27, 0
	v_mov_b32_e32 v39, 0
	;; [unrolled: 1-line block ×16, first 2 shown]
	s_and_saveexec_b64 s[14:15], s[0:1]
	s_cbranch_execz .LBB146_24
; %bb.15:
	v_or_b32_e32 v19, 8, v0
	v_sub_co_u32_e32 v19, vcc, v19, v9
	v_subb_co_u32_e32 v20, vcc, 0, v10, vcc
	v_add_co_u32_e32 v19, vcc, v19, v17
	v_addc_co_u32_e32 v20, vcc, v20, v18, vcc
	v_cmp_gt_i64_e32 vcc, v[19:20], v[13:14]
	v_not_b32_e32 v24, v17
	v_cndmask_b32_e32 v20, v14, v20, vcc
	v_cndmask_b32_e32 v19, v13, v19, vcc
	v_sub_co_u32_e32 v25, vcc, v9, v0
	v_subbrev_co_u32_e32 v26, vcc, 0, v10, vcc
	v_not_b32_e32 v23, v18
	v_add_co_u32_e32 v24, vcc, v25, v24
	v_addc_co_u32_e32 v23, vcc, v26, v23, vcc
	v_add_co_u32_e32 v25, vcc, v24, v19
	v_addc_co_u32_e32 v26, vcc, v23, v20, vcc
	v_and_b32_e32 v19, 24, v25
	v_mov_b32_e32 v20, 0
	v_cmp_ne_u64_e32 vcc, 24, v[19:20]
	v_mov_b32_e32 v31, 0
	v_mov_b32_e32 v35, 0
	;; [unrolled: 1-line block ×20, first 2 shown]
	s_and_saveexec_b64 s[16:17], vcc
	s_cbranch_execz .LBB146_19
; %bb.16:
	v_lshrrev_b32_e32 v19, 3, v25
	v_add_u32_e32 v19, 1, v19
	v_and_b32_e32 v23, 3, v19
	v_lshlrev_b64 v[19:20], 3, v[11:12]
	v_mov_b32_e32 v24, s13
	v_add_co_u32_e32 v43, vcc, s12, v19
	v_addc_co_u32_e32 v44, vcc, v24, v20, vcc
	v_sub_co_u32_e32 v45, vcc, 0, v23
	v_mov_b32_e32 v27, 0
	s_mov_b32 s20, 0
	v_mov_b32_e32 v20, v12
	v_mov_b32_e32 v39, 0
	;; [unrolled: 1-line block ×9, first 2 shown]
	s_mov_b64 s[18:19], 0
	v_subb_co_u32_e64 v46, s[2:3], 0, 0, vcc
	v_mov_b32_e32 v28, 0
	s_brev_b32 s21, 1
	s_movk_i32 s22, 0x400
	v_mov_b32_e32 v19, v11
	v_mov_b32_e32 v40, 0
	;; [unrolled: 1-line block ×9, first 2 shown]
.LBB146_17:                             ; =>This Inner Loop Header: Depth=1
	global_load_dwordx2 v[67:68], v[43:44], off
	global_load_dwordx4 v[47:50], v[23:24], off offset:32
	global_load_dwordx4 v[51:54], v[23:24], off
	v_mov_b32_e32 v69, s11
	global_load_dwordx4 v[55:58], v[23:24], off offset:64
	global_load_dwordx4 v[59:62], v[23:24], off offset:96
	;; [unrolled: 1-line block ×3, first 2 shown]
	v_add_co_u32_e64 v19, s[2:3], 8, v19
	v_add_co_u32_e64 v43, s[6:7], 64, v43
	;; [unrolled: 1-line block ×3, first 2 shown]
	v_addc_co_u32_e64 v20, s[2:3], 0, v20, s[2:3]
	v_addc_co_u32_e64 v44, s[2:3], 0, v44, s[6:7]
	;; [unrolled: 1-line block ×3, first 2 shown]
	v_cmp_eq_u64_e64 s[2:3], 0, v[45:46]
	s_or_b64 s[18:19], s[2:3], s[18:19]
	s_waitcnt vmcnt(5)
	v_sub_co_u32_e32 v67, vcc, v67, v9
	v_subb_co_u32_e32 v68, vcc, v68, v10, vcc
	v_lshlrev_b64 v[67:68], 6, v[67:68]
	v_add_co_u32_e32 v71, vcc, s10, v67
	v_addc_co_u32_e32 v72, vcc, v69, v68, vcc
	global_load_dwordx4 v[67:70], v[71:72], off
	s_waitcnt vmcnt(0)
	v_fma_f64 v[27:28], v[67:68], 0, v[27:28]
	v_fma_f64 v[29:30], v[67:68], 0, v[29:30]
	;; [unrolled: 1-line block ×10, first 2 shown]
	global_load_dwordx4 v[27:30], v[71:72], off offset:16
	v_fma_f64 v[39:40], v[69:70], s[20:21], v[39:40]
	v_fma_f64 v[55:56], v[55:56], v[69:70], v[37:38]
	;; [unrolled: 1-line block ×6, first 2 shown]
	s_waitcnt vmcnt(0)
	v_fma_f64 v[31:32], v[27:28], 0, v[51:52]
	v_fma_f64 v[51:52], v[53:54], v[27:28], v[39:40]
	;; [unrolled: 1-line block ×6, first 2 shown]
	global_load_dwordx4 v[31:34], v[23:24], off offset:16
	v_fma_f64 v[57:58], v[57:58], v[29:30], v[39:40]
	v_fma_f64 v[39:40], v[27:28], 0, v[59:60]
	v_fma_f64 v[53:54], v[49:50], v[27:28], v[67:68]
	v_fma_f64 v[67:68], v[49:50], v[29:30], v[35:36]
	global_load_dwordx4 v[35:38], v[23:24], off offset:80
	global_load_dwordx4 v[47:50], v[23:24], off offset:112
	v_fma_f64 v[27:28], v[61:62], v[27:28], v[73:74]
	v_fma_f64 v[55:56], v[29:30], s[20:21], v[55:56]
	v_add_co_u32_e32 v23, vcc, s22, v23
	v_fma_f64 v[59:60], v[61:62], v[29:30], v[39:40]
	global_load_dwordx4 v[39:42], v[71:72], off offset:32
	v_fma_f64 v[61:62], v[29:30], s[20:21], v[51:52]
	v_fma_f64 v[73:74], v[29:30], s[20:21], v[53:54]
	global_load_dwordx4 v[51:54], v[71:72], off offset:48
	v_fma_f64 v[27:28], v[29:30], s[20:21], v[27:28]
	v_addc_co_u32_e32 v24, vcc, 0, v24, vcc
	s_waitcnt vmcnt(1)
	v_fma_f64 v[29:30], v[39:40], 0, v[69:70]
	v_fma_f64 v[61:62], v[31:32], v[39:40], v[61:62]
	;; [unrolled: 1-line block ×16, first 2 shown]
	s_waitcnt vmcnt(0)
	v_fma_f64 v[29:30], v[51:52], 0, v[29:30]
	v_fma_f64 v[31:32], v[33:34], v[51:52], v[31:32]
	;; [unrolled: 1-line block ×16, first 2 shown]
	s_andn2_b64 exec, exec, s[18:19]
	s_cbranch_execnz .LBB146_17
; %bb.18:
	s_or_b64 exec, exec, s[18:19]
.LBB146_19:
	s_or_b64 exec, exec, s[16:17]
	v_cmp_lt_u64_e32 vcc, 23, v[25:26]
	s_and_saveexec_b64 s[2:3], vcc
	s_cbranch_execz .LBB146_23
; %bb.20:
	v_lshlrev_b64 v[25:26], 3, v[19:20]
	v_mov_b32_e32 v43, s13
	v_add_co_u32_e32 v25, vcc, s12, v25
	v_addc_co_u32_e32 v26, vcc, v43, v26, vcc
	v_add_co_u32_e32 v25, vcc, 0x80, v25
	s_mov_b32 s8, 0
	v_addc_co_u32_e32 v26, vcc, 0, v26, vcc
	s_mov_b64 s[6:7], 0
	v_mov_b32_e32 v47, s11
	s_brev_b32 s9, 1
	s_movk_i32 s16, 0x1000
.LBB146_21:                             ; =>This Inner Loop Header: Depth=1
	global_load_dwordx2 v[43:44], v[25:26], off offset:-128
	s_waitcnt vmcnt(0)
	v_sub_co_u32_e32 v60, vcc, v43, v9
	v_subb_co_u32_e32 v61, vcc, v44, v10, vcc
	v_lshlrev_b64 v[60:61], 6, v[60:61]
	global_load_dwordx4 v[43:46], v[23:24], off offset:48
	global_load_dwordx4 v[48:51], v[23:24], off offset:32
	;; [unrolled: 1-line block ×3, first 2 shown]
	global_load_dwordx4 v[56:59], v[23:24], off
	v_add_co_u32_e32 v76, vcc, s10, v60
	v_addc_co_u32_e32 v77, vcc, v47, v61, vcc
	global_load_dwordx4 v[60:63], v[76:77], off offset:48
	global_load_dwordx4 v[64:67], v[76:77], off offset:32
	;; [unrolled: 1-line block ×3, first 2 shown]
	global_load_dwordx4 v[72:75], v[76:77], off
	s_waitcnt vmcnt(0)
	v_fma_f64 v[27:28], v[72:73], 0, v[27:28]
	v_fma_f64 v[29:30], v[72:73], 0, v[29:30]
	;; [unrolled: 1-line block ×33, first 2 shown]
	global_load_dwordx4 v[27:30], v[23:24], off offset:112
	global_load_dwordx4 v[43:46], v[23:24], off offset:96
	global_load_dwordx4 v[48:51], v[23:24], off offset:80
	global_load_dwordx4 v[52:55], v[23:24], off offset:64
	s_waitcnt vmcnt(2)
	v_fma_f64 v[31:32], v[43:44], v[72:73], v[31:32]
	s_waitcnt vmcnt(0)
	v_fma_f64 v[33:34], v[52:53], v[72:73], v[41:42]
	v_fma_f64 v[37:38], v[52:53], v[74:75], v[37:38]
	;; [unrolled: 1-line block ×30, first 2 shown]
	global_load_dwordx2 v[27:28], v[25:26], off offset:-64
	s_waitcnt vmcnt(0)
	v_sub_co_u32_e32 v43, vcc, v27, v9
	v_subb_co_u32_e32 v44, vcc, v28, v10, vcc
	v_lshlrev_b64 v[43:44], 6, v[43:44]
	global_load_dwordx4 v[27:30], v[23:24], off offset:1072
	global_load_dwordx4 v[31:34], v[23:24], off offset:1056
	;; [unrolled: 1-line block ×4, first 2 shown]
	v_add_co_u32_e32 v62, vcc, s10, v43
	v_addc_co_u32_e32 v63, vcc, v47, v44, vcc
	global_load_dwordx4 v[43:46], v[62:63], off offset:48
	global_load_dwordx4 v[48:51], v[62:63], off offset:32
	;; [unrolled: 1-line block ×3, first 2 shown]
	global_load_dwordx4 v[56:59], v[62:63], off
	s_waitcnt vmcnt(0)
	v_fma_f64 v[66:67], v[56:57], 0, v[78:79]
	v_fma_f64 v[62:63], v[39:40], v[56:57], v[76:77]
	;; [unrolled: 1-line block ×33, first 2 shown]
	global_load_dwordx4 v[27:30], v[23:24], off offset:1136
	global_load_dwordx4 v[31:34], v[23:24], off offset:1120
	;; [unrolled: 1-line block ×4, first 2 shown]
	s_waitcnt vmcnt(0)
	v_fma_f64 v[62:63], v[39:40], v[56:57], v[84:85]
	v_fma_f64 v[39:40], v[39:40], v[58:59], v[74:75]
	;; [unrolled: 1-line block ×30, first 2 shown]
	global_load_dwordx2 v[27:28], v[25:26], off
	v_fma_f64 v[78:79], v[45:46], s[8:9], v[31:32]
	s_waitcnt vmcnt(0)
	v_sub_co_u32_e32 v31, vcc, v27, v9
	v_subb_co_u32_e32 v32, vcc, v28, v10, vcc
	v_lshlrev_b64 v[31:32], 6, v[31:32]
	global_load_dwordx4 v[33:36], v[23:24], off offset:2096
	global_load_dwordx4 v[37:40], v[23:24], off offset:2080
	;; [unrolled: 1-line block ×4, first 2 shown]
	v_add_co_u32_e32 v31, vcc, s10, v31
	v_addc_co_u32_e32 v32, vcc, v47, v32, vcc
	global_load_dwordx4 v[48:51], v[31:32], off offset:48
	global_load_dwordx4 v[52:55], v[31:32], off offset:32
	;; [unrolled: 1-line block ×3, first 2 shown]
	global_load_dwordx4 v[60:63], v[31:32], off
	s_waitcnt vmcnt(0)
	v_fma_f64 v[31:32], v[41:42], v[60:61], v[66:67]
	v_fma_f64 v[45:46], v[60:61], 0, v[68:69]
	;; [unrolled: 1-line block ×23, first 2 shown]
	global_load_dwordx4 v[39:42], v[23:24], off offset:2160
	global_load_dwordx4 v[43:46], v[23:24], off offset:2144
	;; [unrolled: 1-line block ×4, first 2 shown]
	v_fma_f64 v[31:32], v[58:59], s[8:9], v[31:32]
	v_fma_f64 v[37:38], v[52:53], 0, v[37:38]
	;; [unrolled: 1-line block ×10, first 2 shown]
	s_waitcnt vmcnt(0)
	v_fma_f64 v[31:32], v[68:69], v[60:61], v[74:75]
	v_fma_f64 v[35:36], v[68:69], v[62:63], v[35:36]
	;; [unrolled: 1-line block ×31, first 2 shown]
	global_load_dwordx2 v[39:40], v[25:26], off offset:64
	s_waitcnt vmcnt(0)
	v_sub_co_u32_e32 v60, vcc, v39, v9
	v_subb_co_u32_e32 v61, vcc, v40, v10, vcc
	v_lshlrev_b64 v[60:61], 6, v[60:61]
	global_load_dwordx4 v[48:51], v[23:24], off offset:3120
	global_load_dwordx4 v[52:55], v[23:24], off offset:3104
	;; [unrolled: 1-line block ×4, first 2 shown]
	v_add_co_u32_e32 v76, vcc, s10, v60
	v_addc_co_u32_e32 v77, vcc, v47, v61, vcc
	global_load_dwordx4 v[60:63], v[76:77], off offset:48
	global_load_dwordx4 v[64:67], v[76:77], off offset:32
	;; [unrolled: 1-line block ×3, first 2 shown]
	global_load_dwordx4 v[72:75], v[76:77], off
	s_waitcnt vmcnt(0)
	v_fma_f64 v[27:28], v[56:57], v[72:73], v[27:28]
	v_fma_f64 v[29:30], v[72:73], 0, v[29:30]
	;; [unrolled: 1-line block ×33, first 2 shown]
	global_load_dwordx4 v[48:51], v[23:24], off offset:3184
	global_load_dwordx4 v[52:55], v[23:24], off offset:3168
	global_load_dwordx4 v[56:59], v[23:24], off offset:3152
	global_load_dwordx4 v[76:79], v[23:24], off offset:3136
	v_add_co_u32_e32 v23, vcc, s16, v23
	v_addc_co_u32_e32 v24, vcc, 0, v24, vcc
	v_add_co_u32_e32 v19, vcc, 32, v19
	v_addc_co_u32_e32 v20, vcc, 0, v20, vcc
	;; [unrolled: 2-line block ×3, first 2 shown]
	v_cmp_ge_i64_e32 vcc, v[19:20], v[13:14]
	s_or_b64 s[6:7], vcc, s[6:7]
	s_waitcnt vmcnt(0)
	v_fma_f64 v[31:32], v[76:77], v[72:73], v[31:32]
	v_fma_f64 v[35:36], v[76:77], v[74:75], v[35:36]
	v_fma_f64 v[31:32], v[74:75], s[8:9], v[31:32]
	v_fma_f64 v[35:36], v[68:69], 0, v[35:36]
	v_fma_f64 v[31:32], v[78:79], v[68:69], v[31:32]
	v_fma_f64 v[35:36], v[78:79], v[70:71], v[35:36]
	v_fma_f64 v[31:32], v[70:71], s[8:9], v[31:32]
	v_fma_f64 v[35:36], v[64:65], 0, v[35:36]
	v_fma_f64 v[31:32], v[56:57], v[64:65], v[31:32]
	v_fma_f64 v[35:36], v[56:57], v[66:67], v[35:36]
	v_fma_f64 v[31:32], v[66:67], s[8:9], v[31:32]
	v_fma_f64 v[31:32], v[58:59], v[60:61], v[31:32]
	v_fma_f64 v[41:42], v[62:63], s[8:9], v[31:32]
	v_fma_f64 v[31:32], v[60:61], 0, v[35:36]
	v_fma_f64 v[35:36], v[72:73], 0, v[45:46]
	v_fma_f64 v[37:38], v[58:59], v[62:63], v[31:32]
	v_fma_f64 v[31:32], v[52:53], v[72:73], v[43:44]
	v_fma_f64 v[35:36], v[52:53], v[74:75], v[35:36]
	v_fma_f64 v[31:32], v[74:75], s[8:9], v[31:32]
	v_fma_f64 v[35:36], v[68:69], 0, v[35:36]
	v_fma_f64 v[31:32], v[54:55], v[68:69], v[31:32]
	v_fma_f64 v[35:36], v[54:55], v[70:71], v[35:36]
	v_fma_f64 v[31:32], v[70:71], s[8:9], v[31:32]
	v_fma_f64 v[35:36], v[64:65], 0, v[35:36]
	v_fma_f64 v[31:32], v[48:49], v[64:65], v[31:32]
	v_fma_f64 v[35:36], v[48:49], v[66:67], v[35:36]
	v_fma_f64 v[31:32], v[66:67], s[8:9], v[31:32]
	v_fma_f64 v[35:36], v[60:61], 0, v[35:36]
	v_fma_f64 v[31:32], v[50:51], v[60:61], v[31:32]
	v_fma_f64 v[35:36], v[50:51], v[62:63], v[35:36]
	v_fma_f64 v[31:32], v[62:63], s[8:9], v[31:32]
	s_andn2_b64 exec, exec, s[6:7]
	s_cbranch_execnz .LBB146_21
; %bb.22:
	s_or_b64 exec, exec, s[6:7]
.LBB146_23:
	s_or_b64 exec, exec, s[2:3]
.LBB146_24:
	s_or_b64 exec, exec, s[14:15]
	s_cbranch_execz .LBB146_26
	s_branch .LBB146_37
.LBB146_25:
                                        ; implicit-def: $vgpr27_vgpr28
                                        ; implicit-def: $vgpr39_vgpr40
                                        ; implicit-def: $vgpr29_vgpr30
                                        ; implicit-def: $vgpr33_vgpr34
                                        ; implicit-def: $vgpr37_vgpr38
                                        ; implicit-def: $vgpr41_vgpr42
                                        ; implicit-def: $vgpr35_vgpr36
                                        ; implicit-def: $vgpr31_vgpr32
.LBB146_26:
	v_mov_b32_e32 v27, 0
	v_mov_b32_e32 v39, 0
	;; [unrolled: 1-line block ×16, first 2 shown]
	s_and_saveexec_b64 s[2:3], s[0:1]
	s_cbranch_execz .LBB146_36
; %bb.27:
	v_or_b32_e32 v19, 8, v0
	v_sub_co_u32_e32 v19, vcc, v19, v9
	v_subb_co_u32_e32 v20, vcc, 0, v10, vcc
	v_add_co_u32_e32 v19, vcc, v19, v17
	v_addc_co_u32_e32 v20, vcc, v20, v18, vcc
	v_cmp_gt_i64_e32 vcc, v[19:20], v[13:14]
	v_not_b32_e32 v17, v17
	v_cndmask_b32_e32 v20, v14, v20, vcc
	v_cndmask_b32_e32 v19, v13, v19, vcc
	v_sub_co_u32_e32 v23, vcc, v9, v0
	v_subbrev_co_u32_e32 v24, vcc, 0, v10, vcc
	v_not_b32_e32 v18, v18
	v_add_co_u32_e32 v17, vcc, v23, v17
	v_addc_co_u32_e32 v18, vcc, v24, v18, vcc
	v_add_co_u32_e32 v17, vcc, v17, v19
	v_addc_co_u32_e32 v18, vcc, v18, v20, vcc
	v_and_b32_e32 v19, 24, v17
	v_mov_b32_e32 v20, 0
	v_cmp_ne_u64_e32 vcc, 24, v[19:20]
	v_mov_b32_e32 v31, 0
	v_mov_b32_e32 v35, 0
	;; [unrolled: 1-line block ×16, first 2 shown]
	s_and_saveexec_b64 s[0:1], vcc
	s_cbranch_execz .LBB146_31
; %bb.28:
	v_lshrrev_b32_e32 v19, 3, v17
	v_add_u32_e32 v19, 1, v19
	v_and_b32_e32 v23, 3, v19
	v_lshlrev_b64 v[19:20], 3, v[11:12]
	v_mov_b32_e32 v24, s13
	v_add_co_u32_e32 v19, vcc, s12, v19
	v_addc_co_u32_e32 v20, vcc, v24, v20, vcc
	v_sub_co_u32_e32 v23, vcc, 0, v23
	v_subb_co_u32_e64 v24, s[8:9], 0, 0, vcc
	v_mov_b32_e32 v27, 0
	s_mov_b32 s8, 0
	v_mov_b32_e32 v39, 0
	v_mov_b32_e32 v29, 0
	;; [unrolled: 1-line block ×7, first 2 shown]
	s_mov_b64 s[6:7], 0
	v_mov_b32_e32 v28, 0
	s_brev_b32 s9, 1
	v_mov_b32_e32 v40, 0
	v_mov_b32_e32 v30, 0
	;; [unrolled: 1-line block ×7, first 2 shown]
	s_movk_i32 s14, 0x400
.LBB146_29:                             ; =>This Inner Loop Header: Depth=1
	global_load_dwordx2 v[25:26], v[19:20], off
	v_mov_b32_e32 v59, s11
	global_load_dwordx4 v[43:46], v[15:16], off offset:48
	global_load_dwordx4 v[47:50], v[15:16], off offset:32
	;; [unrolled: 1-line block ×3, first 2 shown]
	global_load_dwordx4 v[55:58], v[15:16], off
	s_waitcnt vmcnt(4)
	v_sub_co_u32_e32 v25, vcc, v25, v9
	v_subb_co_u32_e32 v26, vcc, v26, v10, vcc
	v_lshlrev_b64 v[25:26], 6, v[25:26]
	v_add_co_u32_e32 v25, vcc, s10, v25
	v_addc_co_u32_e32 v26, vcc, v59, v26, vcc
	global_load_dwordx4 v[59:62], v[25:26], off offset:48
	global_load_dwordx4 v[63:66], v[25:26], off offset:32
	;; [unrolled: 1-line block ×3, first 2 shown]
	global_load_dwordx4 v[71:74], v[25:26], off
	s_waitcnt vmcnt(0)
	v_fma_f64 v[27:28], v[71:72], 0, v[27:28]
	v_fma_f64 v[33:34], v[57:58], v[71:72], v[33:34]
	v_fma_f64 v[25:26], v[55:56], v[71:72], v[39:40]
	v_fma_f64 v[29:30], v[71:72], 0, v[29:30]
	v_fma_f64 v[39:40], v[51:52], v[71:72], v[41:42]
	v_fma_f64 v[37:38], v[71:72], 0, v[37:38]
	v_fma_f64 v[31:32], v[53:54], v[71:72], v[31:32]
	v_fma_f64 v[35:36], v[71:72], 0, v[35:36]
	v_fma_f64 v[27:28], v[55:56], v[73:74], v[27:28]
	v_fma_f64 v[33:34], v[73:74], s[8:9], v[33:34]
	v_fma_f64 v[25:26], v[73:74], s[8:9], v[25:26]
	v_fma_f64 v[29:30], v[57:58], v[73:74], v[29:30]
	v_fma_f64 v[39:40], v[73:74], s[8:9], v[39:40]
	v_fma_f64 v[37:38], v[51:52], v[73:74], v[37:38]
	v_fma_f64 v[31:32], v[73:74], s[8:9], v[31:32]
	v_fma_f64 v[35:36], v[53:54], v[73:74], v[35:36]
	v_fma_f64 v[27:28], v[67:68], 0, v[27:28]
	v_fma_f64 v[25:26], v[47:48], v[67:68], v[25:26]
	v_fma_f64 v[41:42], v[47:48], v[69:70], v[27:28]
	v_fma_f64 v[27:28], v[49:50], v[67:68], v[33:34]
	v_fma_f64 v[25:26], v[69:70], s[8:9], v[25:26]
	v_fma_f64 v[41:42], v[63:64], 0, v[41:42]
	v_fma_f64 v[47:48], v[69:70], s[8:9], v[27:28]
	v_fma_f64 v[27:28], v[67:68], 0, v[29:30]
	v_fma_f64 v[49:50], v[49:50], v[69:70], v[27:28]
	v_fma_f64 v[27:28], v[43:44], v[67:68], v[39:40]
	v_fma_f64 v[39:40], v[69:70], s[8:9], v[27:28]
	v_fma_f64 v[27:28], v[67:68], 0, v[37:38]
	v_fma_f64 v[51:52], v[43:44], v[69:70], v[27:28]
	v_fma_f64 v[27:28], v[45:46], v[67:68], v[31:32]
	v_fma_f64 v[53:54], v[69:70], s[8:9], v[27:28]
	v_fma_f64 v[27:28], v[67:68], 0, v[35:36]
	v_fma_f64 v[55:56], v[45:46], v[69:70], v[27:28]
	global_load_dwordx4 v[43:46], v[15:16], off offset:112
	global_load_dwordx4 v[27:30], v[15:16], off offset:96
	global_load_dwordx4 v[31:34], v[15:16], off offset:80
	global_load_dwordx4 v[35:38], v[15:16], off offset:64
	v_add_co_u32_e32 v15, vcc, s14, v15
	v_addc_co_u32_e32 v16, vcc, 0, v16, vcc
	v_add_co_u32_e32 v11, vcc, 8, v11
	v_addc_co_u32_e32 v12, vcc, 0, v12, vcc
	;; [unrolled: 2-line block ×4, first 2 shown]
	v_cmp_eq_u64_e32 vcc, 0, v[23:24]
	s_or_b64 s[6:7], vcc, s[6:7]
	s_waitcnt vmcnt(1)
	v_fma_f64 v[39:40], v[31:32], v[63:64], v[39:40]
	s_waitcnt vmcnt(0)
	v_fma_f64 v[25:26], v[35:36], v[63:64], v[25:26]
	v_fma_f64 v[35:36], v[35:36], v[65:66], v[41:42]
	;; [unrolled: 1-line block ×30, first 2 shown]
	s_andn2_b64 exec, exec, s[6:7]
	s_cbranch_execnz .LBB146_29
; %bb.30:
	s_or_b64 exec, exec, s[6:7]
.LBB146_31:
	s_or_b64 exec, exec, s[0:1]
	v_cmp_lt_u64_e32 vcc, 23, v[17:18]
	s_and_saveexec_b64 s[0:1], vcc
	s_cbranch_execz .LBB146_35
; %bb.32:
	v_lshlrev_b64 v[17:18], 3, v[11:12]
	v_mov_b32_e32 v19, s13
	v_add_co_u32_e32 v17, vcc, s12, v17
	v_addc_co_u32_e32 v18, vcc, v19, v18, vcc
	v_add_co_u32_e32 v17, vcc, 0x80, v17
	s_mov_b32 s8, 0
	v_addc_co_u32_e32 v18, vcc, 0, v18, vcc
	s_mov_b64 s[6:7], 0
	v_mov_b32_e32 v43, s11
	s_brev_b32 s9, 1
	s_movk_i32 s11, 0x1000
.LBB146_33:                             ; =>This Inner Loop Header: Depth=1
	global_load_dwordx2 v[19:20], v[17:18], off offset:-128
	global_load_dwordx4 v[23:26], v[15:16], off offset:48
	global_load_dwordx4 v[44:47], v[15:16], off offset:32
	;; [unrolled: 1-line block ×3, first 2 shown]
	global_load_dwordx4 v[52:55], v[15:16], off
	s_waitcnt vmcnt(4)
	v_sub_co_u32_e32 v19, vcc, v19, v9
	v_subb_co_u32_e32 v20, vcc, v20, v10, vcc
	v_lshlrev_b64 v[19:20], 6, v[19:20]
	v_add_co_u32_e32 v19, vcc, s10, v19
	v_addc_co_u32_e32 v20, vcc, v43, v20, vcc
	global_load_dwordx4 v[56:59], v[19:20], off offset:48
	global_load_dwordx4 v[60:63], v[19:20], off offset:32
	;; [unrolled: 1-line block ×3, first 2 shown]
	global_load_dwordx4 v[68:71], v[19:20], off
	s_waitcnt vmcnt(0)
	v_fma_f64 v[27:28], v[68:69], 0, v[27:28]
	v_fma_f64 v[33:34], v[54:55], v[68:69], v[33:34]
	;; [unrolled: 1-line block ×33, first 2 shown]
	global_load_dwordx4 v[23:26], v[15:16], off offset:112
	global_load_dwordx4 v[27:30], v[15:16], off offset:96
	;; [unrolled: 1-line block ×4, first 2 shown]
	s_waitcnt vmcnt(1)
	v_fma_f64 v[39:40], v[31:32], v[60:61], v[39:40]
	s_waitcnt vmcnt(0)
	v_fma_f64 v[19:20], v[35:36], v[60:61], v[19:20]
	v_fma_f64 v[35:36], v[35:36], v[62:63], v[41:42]
	;; [unrolled: 1-line block ×30, first 2 shown]
	global_load_dwordx2 v[23:24], v[17:18], off offset:-64
	s_waitcnt vmcnt(0)
	v_sub_co_u32_e32 v39, vcc, v23, v9
	v_subb_co_u32_e32 v40, vcc, v24, v10, vcc
	v_lshlrev_b64 v[39:40], 6, v[39:40]
	global_load_dwordx4 v[23:26], v[15:16], off offset:1072
	global_load_dwordx4 v[27:30], v[15:16], off offset:1056
	;; [unrolled: 1-line block ×4, first 2 shown]
	v_add_co_u32_e32 v58, vcc, s10, v39
	v_addc_co_u32_e32 v59, vcc, v43, v40, vcc
	global_load_dwordx4 v[39:42], v[58:59], off offset:48
	global_load_dwordx4 v[44:47], v[58:59], off offset:32
	;; [unrolled: 1-line block ×3, first 2 shown]
	global_load_dwordx4 v[52:55], v[58:59], off
	s_waitcnt vmcnt(0)
	v_fma_f64 v[58:59], v[52:53], 0, v[60:61]
	v_fma_f64 v[19:20], v[35:36], v[52:53], v[19:20]
	;; [unrolled: 1-line block ×32, first 2 shown]
	global_load_dwordx4 v[23:26], v[15:16], off offset:1136
	global_load_dwordx4 v[27:30], v[15:16], off offset:1120
	;; [unrolled: 1-line block ×4, first 2 shown]
	v_fma_f64 v[50:51], v[44:45], 0, v[52:53]
	v_fma_f64 v[52:53], v[44:45], 0, v[56:57]
	s_waitcnt vmcnt(0)
	v_fma_f64 v[19:20], v[35:36], v[44:45], v[19:20]
	v_fma_f64 v[35:36], v[35:36], v[46:47], v[50:51]
	;; [unrolled: 1-line block ×30, first 2 shown]
	global_load_dwordx2 v[23:24], v[17:18], off
	s_waitcnt vmcnt(0)
	v_sub_co_u32_e32 v39, vcc, v23, v9
	v_subb_co_u32_e32 v40, vcc, v24, v10, vcc
	v_lshlrev_b64 v[39:40], 6, v[39:40]
	global_load_dwordx4 v[23:26], v[15:16], off offset:2096
	global_load_dwordx4 v[27:30], v[15:16], off offset:2080
	;; [unrolled: 1-line block ×4, first 2 shown]
	v_add_co_u32_e32 v70, vcc, s10, v39
	v_addc_co_u32_e32 v71, vcc, v43, v40, vcc
	global_load_dwordx4 v[39:42], v[70:71], off offset:48
	global_load_dwordx4 v[44:47], v[70:71], off offset:32
	;; [unrolled: 1-line block ×3, first 2 shown]
	global_load_dwordx4 v[52:55], v[70:71], off
	s_waitcnt vmcnt(0)
	v_fma_f64 v[56:57], v[52:53], 0, v[56:57]
	v_fma_f64 v[19:20], v[35:36], v[52:53], v[19:20]
	;; [unrolled: 1-line block ×35, first 2 shown]
	global_load_dwordx4 v[33:36], v[15:16], off offset:2160
	global_load_dwordx4 v[25:28], v[15:16], off offset:2144
	global_load_dwordx4 v[29:32], v[15:16], off offset:2128
	global_load_dwordx4 v[48:51], v[15:16], off offset:2112
	s_waitcnt vmcnt(0)
	v_fma_f64 v[19:20], v[48:49], v[44:45], v[19:20]
	v_fma_f64 v[48:49], v[48:49], v[46:47], v[52:53]
	;; [unrolled: 1-line block ×26, first 2 shown]
	global_load_dwordx2 v[37:38], v[17:18], off offset:64
	v_fma_f64 v[25:26], v[41:42], s[8:9], v[25:26]
	v_fma_f64 v[29:30], v[41:42], s[8:9], v[29:30]
	;; [unrolled: 1-line block ×3, first 2 shown]
	s_waitcnt vmcnt(0)
	v_sub_co_u32_e32 v41, vcc, v37, v9
	v_subb_co_u32_e32 v42, vcc, v38, v10, vcc
	v_lshlrev_b64 v[41:42], 6, v[41:42]
	global_load_dwordx4 v[37:40], v[15:16], off offset:3120
	global_load_dwordx4 v[44:47], v[15:16], off offset:3104
	;; [unrolled: 1-line block ×4, first 2 shown]
	v_add_co_u32_e32 v41, vcc, s10, v41
	v_addc_co_u32_e32 v42, vcc, v43, v42, vcc
	global_load_dwordx4 v[56:59], v[41:42], off offset:48
	global_load_dwordx4 v[60:63], v[41:42], off offset:32
	global_load_dwordx4 v[64:67], v[41:42], off offset:16
	global_load_dwordx4 v[68:71], v[41:42], off
	s_waitcnt vmcnt(0)
	v_fma_f64 v[23:24], v[68:69], 0, v[23:24]
	v_fma_f64 v[25:26], v[54:55], v[68:69], v[25:26]
	;; [unrolled: 1-line block ×33, first 2 shown]
	global_load_dwordx4 v[23:26], v[15:16], off offset:3184
	global_load_dwordx4 v[27:30], v[15:16], off offset:3168
	;; [unrolled: 1-line block ×4, first 2 shown]
	v_add_co_u32_e32 v15, vcc, s11, v15
	v_addc_co_u32_e32 v16, vcc, 0, v16, vcc
	v_add_co_u32_e32 v11, vcc, 32, v11
	v_fma_f64 v[39:40], v[60:61], 0, v[39:40]
	v_addc_co_u32_e32 v12, vcc, 0, v12, vcc
	v_add_co_u32_e32 v17, vcc, 0x100, v17
	v_addc_co_u32_e32 v18, vcc, 0, v18, vcc
	v_cmp_ge_i64_e32 vcc, v[11:12], v[13:14]
	s_or_b64 s[6:7], vcc, s[6:7]
	s_waitcnt vmcnt(0)
	v_fma_f64 v[19:20], v[35:36], v[60:61], v[19:20]
	v_fma_f64 v[35:36], v[35:36], v[62:63], v[41:42]
	;; [unrolled: 1-line block ×30, first 2 shown]
	s_andn2_b64 exec, exec, s[6:7]
	s_cbranch_execnz .LBB146_33
; %bb.34:
	s_or_b64 exec, exec, s[6:7]
.LBB146_35:
	s_or_b64 exec, exec, s[0:1]
.LBB146_36:
	s_or_b64 exec, exec, s[2:3]
.LBB146_37:
	v_mov_b32_dpp v9, v39 row_shr:1 row_mask:0xf bank_mask:0xf
	v_mov_b32_dpp v10, v40 row_shr:1 row_mask:0xf bank_mask:0xf
	v_add_f64 v[9:10], v[39:40], v[9:10]
	v_mov_b32_dpp v11, v27 row_shr:1 row_mask:0xf bank_mask:0xf
	v_mov_b32_dpp v12, v28 row_shr:1 row_mask:0xf bank_mask:0xf
	v_mov_b32_dpp v13, v33 row_shr:1 row_mask:0xf bank_mask:0xf
	v_mov_b32_dpp v14, v34 row_shr:1 row_mask:0xf bank_mask:0xf
	v_add_f64 v[11:12], v[27:28], v[11:12]
	v_add_f64 v[13:14], v[33:34], v[13:14]
	v_mov_b32_dpp v17, v29 row_shr:1 row_mask:0xf bank_mask:0xf
	v_mov_b32_dpp v18, v30 row_shr:1 row_mask:0xf bank_mask:0xf
	v_add_f64 v[17:18], v[29:30], v[17:18]
	v_mov_b32_dpp v15, v9 row_shr:2 row_mask:0xf bank_mask:0xf
	v_mov_b32_dpp v16, v10 row_shr:2 row_mask:0xf bank_mask:0xf
	;; [unrolled: 3-line block ×14, first 2 shown]
	v_mov_b32_dpp v23, v11 row_shr:4 row_mask:0xf bank_mask:0xe
	v_mov_b32_dpp v24, v12 row_shr:4 row_mask:0xf bank_mask:0xe
	;; [unrolled: 1-line block ×14, first 2 shown]
	v_cmp_eq_u32_e32 vcc, 7, v0
	s_and_b64 exec, exec, vcc
	s_cbranch_execz .LBB146_8
; %bb.38:
	v_add_f64 v[11:12], v[11:12], v[23:24]
	v_add_f64 v[23:24], v[13:14], v[19:20]
	;; [unrolled: 1-line block ×8, first 2 shown]
	v_mul_f64 v[19:20], v[11:12], -v[7:8]
	v_mul_f64 v[11:12], v[5:6], v[11:12]
	v_mul_f64 v[29:30], v[13:14], -v[7:8]
	v_mul_f64 v[31:32], v[5:6], v[13:14]
	;; [unrolled: 2-line block ×4, first 2 shown]
	v_cmp_eq_f64_e32 vcc, 0, v[1:2]
	v_cmp_eq_f64_e64 s[0:1], 0, v[3:4]
	v_fma_f64 v[17:18], v[5:6], v[9:10], v[19:20]
	v_fma_f64 v[19:20], v[7:8], v[9:10], v[11:12]
	;; [unrolled: 1-line block ×8, first 2 shown]
	s_load_dwordx2 s[2:3], s[4:5], 0x68
	v_lshlrev_b64 v[21:22], 6, v[21:22]
	s_and_b64 s[0:1], vcc, s[0:1]
	s_and_saveexec_b64 s[4:5], s[0:1]
	s_xor_b64 s[0:1], exec, s[4:5]
	s_cbranch_execz .LBB146_40
; %bb.39:
	s_waitcnt lgkmcnt(0)
	v_mov_b32_e32 v1, s3
	v_add_co_u32_e32 v0, vcc, s2, v21
	v_addc_co_u32_e32 v1, vcc, v1, v22, vcc
	global_store_dwordx4 v[0:1], v[17:20], off
	global_store_dwordx4 v[0:1], v[13:16], off offset:16
	global_store_dwordx4 v[0:1], v[9:12], off offset:32
	;; [unrolled: 1-line block ×3, first 2 shown]
                                        ; implicit-def: $vgpr3_vgpr4
                                        ; implicit-def: $vgpr17_vgpr18
                                        ; implicit-def: $vgpr21_vgpr22
                                        ; implicit-def: $vgpr13_vgpr14
                                        ; implicit-def: $vgpr9_vgpr10
                                        ; implicit-def: $vgpr5_vgpr6
.LBB146_40:
	s_andn2_saveexec_b64 s[0:1], s[0:1]
	s_cbranch_execz .LBB146_8
; %bb.41:
	s_waitcnt lgkmcnt(0)
	v_mov_b32_e32 v0, s3
	v_add_co_u32_e32 v37, vcc, s2, v21
	v_addc_co_u32_e32 v38, vcc, v0, v22, vcc
	global_load_dwordx4 v[21:24], v[37:38], off
	global_load_dwordx4 v[25:28], v[37:38], off offset:16
	global_load_dwordx4 v[29:32], v[37:38], off offset:32
	;; [unrolled: 1-line block ×3, first 2 shown]
	s_waitcnt vmcnt(3)
	v_fma_f64 v[17:18], v[1:2], v[21:22], v[17:18]
	v_fma_f64 v[19:20], v[3:4], v[21:22], v[19:20]
	s_waitcnt vmcnt(2)
	v_fma_f64 v[13:14], v[1:2], v[25:26], v[13:14]
	v_fma_f64 v[15:16], v[3:4], v[25:26], v[15:16]
	s_waitcnt vmcnt(1)
	v_fma_f64 v[21:22], v[1:2], v[29:30], v[9:10]
	v_fma_f64 v[25:26], v[3:4], v[29:30], v[11:12]
	s_waitcnt vmcnt(0)
	v_fma_f64 v[29:30], v[1:2], v[33:34], v[5:6]
	v_fma_f64 v[33:34], v[3:4], v[33:34], v[7:8]
	v_fma_f64 v[5:6], -v[3:4], v[23:24], v[17:18]
	v_fma_f64 v[7:8], v[1:2], v[23:24], v[19:20]
	v_fma_f64 v[9:10], -v[3:4], v[27:28], v[13:14]
	v_fma_f64 v[11:12], v[1:2], v[27:28], v[15:16]
	v_fma_f64 v[13:14], -v[3:4], v[31:32], v[21:22]
	v_fma_f64 v[15:16], v[1:2], v[31:32], v[25:26]
	v_fma_f64 v[17:18], -v[3:4], v[35:36], v[29:30]
	v_fma_f64 v[19:20], v[1:2], v[35:36], v[33:34]
	global_store_dwordx4 v[37:38], v[5:8], off
	global_store_dwordx4 v[37:38], v[9:12], off offset:16
	global_store_dwordx4 v[37:38], v[13:16], off offset:32
	;; [unrolled: 1-line block ×3, first 2 shown]
	s_endpgm
	.section	.rodata,"a",@progbits
	.p2align	6, 0x0
	.amdhsa_kernel _ZN9rocsparseL18bsrxmvn_4x4_kernelILj128ELj8E21rocsparse_complex_numIdElldS2_S2_EEvT3_20rocsparse_direction_NS_24const_host_device_scalarIT1_EES3_PKS3_PKT2_SC_S9_PKT4_PKT5_S7_PT6_21rocsparse_index_base_b
		.amdhsa_group_segment_fixed_size 0
		.amdhsa_private_segment_fixed_size 0
		.amdhsa_kernarg_size 120
		.amdhsa_user_sgpr_count 6
		.amdhsa_user_sgpr_private_segment_buffer 1
		.amdhsa_user_sgpr_dispatch_ptr 0
		.amdhsa_user_sgpr_queue_ptr 0
		.amdhsa_user_sgpr_kernarg_segment_ptr 1
		.amdhsa_user_sgpr_dispatch_id 0
		.amdhsa_user_sgpr_flat_scratch_init 0
		.amdhsa_user_sgpr_private_segment_size 0
		.amdhsa_uses_dynamic_stack 0
		.amdhsa_system_sgpr_private_segment_wavefront_offset 0
		.amdhsa_system_sgpr_workgroup_id_x 1
		.amdhsa_system_sgpr_workgroup_id_y 0
		.amdhsa_system_sgpr_workgroup_id_z 0
		.amdhsa_system_sgpr_workgroup_info 0
		.amdhsa_system_vgpr_workitem_id 0
		.amdhsa_next_free_vgpr 88
		.amdhsa_next_free_sgpr 23
		.amdhsa_reserve_vcc 1
		.amdhsa_reserve_flat_scratch 0
		.amdhsa_float_round_mode_32 0
		.amdhsa_float_round_mode_16_64 0
		.amdhsa_float_denorm_mode_32 3
		.amdhsa_float_denorm_mode_16_64 3
		.amdhsa_dx10_clamp 1
		.amdhsa_ieee_mode 1
		.amdhsa_fp16_overflow 0
		.amdhsa_exception_fp_ieee_invalid_op 0
		.amdhsa_exception_fp_denorm_src 0
		.amdhsa_exception_fp_ieee_div_zero 0
		.amdhsa_exception_fp_ieee_overflow 0
		.amdhsa_exception_fp_ieee_underflow 0
		.amdhsa_exception_fp_ieee_inexact 0
		.amdhsa_exception_int_div_zero 0
	.end_amdhsa_kernel
	.section	.text._ZN9rocsparseL18bsrxmvn_4x4_kernelILj128ELj8E21rocsparse_complex_numIdElldS2_S2_EEvT3_20rocsparse_direction_NS_24const_host_device_scalarIT1_EES3_PKS3_PKT2_SC_S9_PKT4_PKT5_S7_PT6_21rocsparse_index_base_b,"axG",@progbits,_ZN9rocsparseL18bsrxmvn_4x4_kernelILj128ELj8E21rocsparse_complex_numIdElldS2_S2_EEvT3_20rocsparse_direction_NS_24const_host_device_scalarIT1_EES3_PKS3_PKT2_SC_S9_PKT4_PKT5_S7_PT6_21rocsparse_index_base_b,comdat
.Lfunc_end146:
	.size	_ZN9rocsparseL18bsrxmvn_4x4_kernelILj128ELj8E21rocsparse_complex_numIdElldS2_S2_EEvT3_20rocsparse_direction_NS_24const_host_device_scalarIT1_EES3_PKS3_PKT2_SC_S9_PKT4_PKT5_S7_PT6_21rocsparse_index_base_b, .Lfunc_end146-_ZN9rocsparseL18bsrxmvn_4x4_kernelILj128ELj8E21rocsparse_complex_numIdElldS2_S2_EEvT3_20rocsparse_direction_NS_24const_host_device_scalarIT1_EES3_PKS3_PKT2_SC_S9_PKT4_PKT5_S7_PT6_21rocsparse_index_base_b
                                        ; -- End function
	.set _ZN9rocsparseL18bsrxmvn_4x4_kernelILj128ELj8E21rocsparse_complex_numIdElldS2_S2_EEvT3_20rocsparse_direction_NS_24const_host_device_scalarIT1_EES3_PKS3_PKT2_SC_S9_PKT4_PKT5_S7_PT6_21rocsparse_index_base_b.num_vgpr, 88
	.set _ZN9rocsparseL18bsrxmvn_4x4_kernelILj128ELj8E21rocsparse_complex_numIdElldS2_S2_EEvT3_20rocsparse_direction_NS_24const_host_device_scalarIT1_EES3_PKS3_PKT2_SC_S9_PKT4_PKT5_S7_PT6_21rocsparse_index_base_b.num_agpr, 0
	.set _ZN9rocsparseL18bsrxmvn_4x4_kernelILj128ELj8E21rocsparse_complex_numIdElldS2_S2_EEvT3_20rocsparse_direction_NS_24const_host_device_scalarIT1_EES3_PKS3_PKT2_SC_S9_PKT4_PKT5_S7_PT6_21rocsparse_index_base_b.numbered_sgpr, 23
	.set _ZN9rocsparseL18bsrxmvn_4x4_kernelILj128ELj8E21rocsparse_complex_numIdElldS2_S2_EEvT3_20rocsparse_direction_NS_24const_host_device_scalarIT1_EES3_PKS3_PKT2_SC_S9_PKT4_PKT5_S7_PT6_21rocsparse_index_base_b.num_named_barrier, 0
	.set _ZN9rocsparseL18bsrxmvn_4x4_kernelILj128ELj8E21rocsparse_complex_numIdElldS2_S2_EEvT3_20rocsparse_direction_NS_24const_host_device_scalarIT1_EES3_PKS3_PKT2_SC_S9_PKT4_PKT5_S7_PT6_21rocsparse_index_base_b.private_seg_size, 0
	.set _ZN9rocsparseL18bsrxmvn_4x4_kernelILj128ELj8E21rocsparse_complex_numIdElldS2_S2_EEvT3_20rocsparse_direction_NS_24const_host_device_scalarIT1_EES3_PKS3_PKT2_SC_S9_PKT4_PKT5_S7_PT6_21rocsparse_index_base_b.uses_vcc, 1
	.set _ZN9rocsparseL18bsrxmvn_4x4_kernelILj128ELj8E21rocsparse_complex_numIdElldS2_S2_EEvT3_20rocsparse_direction_NS_24const_host_device_scalarIT1_EES3_PKS3_PKT2_SC_S9_PKT4_PKT5_S7_PT6_21rocsparse_index_base_b.uses_flat_scratch, 0
	.set _ZN9rocsparseL18bsrxmvn_4x4_kernelILj128ELj8E21rocsparse_complex_numIdElldS2_S2_EEvT3_20rocsparse_direction_NS_24const_host_device_scalarIT1_EES3_PKS3_PKT2_SC_S9_PKT4_PKT5_S7_PT6_21rocsparse_index_base_b.has_dyn_sized_stack, 0
	.set _ZN9rocsparseL18bsrxmvn_4x4_kernelILj128ELj8E21rocsparse_complex_numIdElldS2_S2_EEvT3_20rocsparse_direction_NS_24const_host_device_scalarIT1_EES3_PKS3_PKT2_SC_S9_PKT4_PKT5_S7_PT6_21rocsparse_index_base_b.has_recursion, 0
	.set _ZN9rocsparseL18bsrxmvn_4x4_kernelILj128ELj8E21rocsparse_complex_numIdElldS2_S2_EEvT3_20rocsparse_direction_NS_24const_host_device_scalarIT1_EES3_PKS3_PKT2_SC_S9_PKT4_PKT5_S7_PT6_21rocsparse_index_base_b.has_indirect_call, 0
	.section	.AMDGPU.csdata,"",@progbits
; Kernel info:
; codeLenInByte = 9248
; TotalNumSgprs: 27
; NumVgprs: 88
; ScratchSize: 0
; MemoryBound: 0
; FloatMode: 240
; IeeeMode: 1
; LDSByteSize: 0 bytes/workgroup (compile time only)
; SGPRBlocks: 3
; VGPRBlocks: 21
; NumSGPRsForWavesPerEU: 27
; NumVGPRsForWavesPerEU: 88
; Occupancy: 2
; WaveLimiterHint : 1
; COMPUTE_PGM_RSRC2:SCRATCH_EN: 0
; COMPUTE_PGM_RSRC2:USER_SGPR: 6
; COMPUTE_PGM_RSRC2:TRAP_HANDLER: 0
; COMPUTE_PGM_RSRC2:TGID_X_EN: 1
; COMPUTE_PGM_RSRC2:TGID_Y_EN: 0
; COMPUTE_PGM_RSRC2:TGID_Z_EN: 0
; COMPUTE_PGM_RSRC2:TIDIG_COMP_CNT: 0
	.section	.text._ZN9rocsparseL18bsrxmvn_4x4_kernelILj128ELj16E21rocsparse_complex_numIdElldS2_S2_EEvT3_20rocsparse_direction_NS_24const_host_device_scalarIT1_EES3_PKS3_PKT2_SC_S9_PKT4_PKT5_S7_PT6_21rocsparse_index_base_b,"axG",@progbits,_ZN9rocsparseL18bsrxmvn_4x4_kernelILj128ELj16E21rocsparse_complex_numIdElldS2_S2_EEvT3_20rocsparse_direction_NS_24const_host_device_scalarIT1_EES3_PKS3_PKT2_SC_S9_PKT4_PKT5_S7_PT6_21rocsparse_index_base_b,comdat
	.globl	_ZN9rocsparseL18bsrxmvn_4x4_kernelILj128ELj16E21rocsparse_complex_numIdElldS2_S2_EEvT3_20rocsparse_direction_NS_24const_host_device_scalarIT1_EES3_PKS3_PKT2_SC_S9_PKT4_PKT5_S7_PT6_21rocsparse_index_base_b ; -- Begin function _ZN9rocsparseL18bsrxmvn_4x4_kernelILj128ELj16E21rocsparse_complex_numIdElldS2_S2_EEvT3_20rocsparse_direction_NS_24const_host_device_scalarIT1_EES3_PKS3_PKT2_SC_S9_PKT4_PKT5_S7_PT6_21rocsparse_index_base_b
	.p2align	8
	.type	_ZN9rocsparseL18bsrxmvn_4x4_kernelILj128ELj16E21rocsparse_complex_numIdElldS2_S2_EEvT3_20rocsparse_direction_NS_24const_host_device_scalarIT1_EES3_PKS3_PKT2_SC_S9_PKT4_PKT5_S7_PT6_21rocsparse_index_base_b,@function
_ZN9rocsparseL18bsrxmvn_4x4_kernelILj128ELj16E21rocsparse_complex_numIdElldS2_S2_EEvT3_20rocsparse_direction_NS_24const_host_device_scalarIT1_EES3_PKS3_PKT2_SC_S9_PKT4_PKT5_S7_PT6_21rocsparse_index_base_b: ; @_ZN9rocsparseL18bsrxmvn_4x4_kernelILj128ELj16E21rocsparse_complex_numIdElldS2_S2_EEvT3_20rocsparse_direction_NS_24const_host_device_scalarIT1_EES3_PKS3_PKT2_SC_S9_PKT4_PKT5_S7_PT6_21rocsparse_index_base_b
; %bb.0:
	s_load_dwordx2 s[0:1], s[4:5], 0x10
	s_load_dwordx2 s[2:3], s[4:5], 0x70
	s_add_u32 s7, s4, 16
	s_addc_u32 s10, s5, 0
	s_add_u32 s11, s4, 0x58
	s_addc_u32 s12, s5, 0
	s_waitcnt lgkmcnt(0)
	s_bitcmp1_b32 s3, 0
	s_cselect_b32 s1, s10, s1
	s_cselect_b32 s0, s7, s0
	v_mov_b32_e32 v1, s0
	v_mov_b32_e32 v2, s1
	flat_load_dwordx4 v[5:8], v[1:2]
	s_load_dwordx2 s[8:9], s[4:5], 0x58
	s_waitcnt lgkmcnt(0)
	s_cselect_b32 s0, s12, s9
	s_cselect_b32 s1, s11, s8
	v_mov_b32_e32 v1, s1
	v_mov_b32_e32 v2, s0
	flat_load_dwordx4 v[1:4], v[1:2]
	s_waitcnt vmcnt(0)
	v_cmp_eq_f64_e32 vcc, 0, v[5:6]
	v_cmp_eq_f64_e64 s[0:1], 0, v[7:8]
	s_and_b64 s[10:11], vcc, s[0:1]
	s_mov_b64 s[0:1], -1
	s_and_saveexec_b64 s[8:9], s[10:11]
	s_cbranch_execz .LBB147_2
; %bb.1:
	s_waitcnt lgkmcnt(0)
	v_cmp_neq_f64_e32 vcc, 1.0, v[1:2]
	v_cmp_neq_f64_e64 s[0:1], 0, v[3:4]
	s_or_b64 s[0:1], vcc, s[0:1]
	s_orn2_b64 s[0:1], s[0:1], exec
.LBB147_2:
	s_or_b64 exec, exec, s[8:9]
	s_and_saveexec_b64 s[8:9], s[0:1]
	s_cbranch_execz .LBB147_8
; %bb.3:
	s_load_dwordx2 s[8:9], s[4:5], 0x28
	v_lshrrev_b32_e32 v9, 4, v0
	v_lshl_or_b32 v11, s6, 3, v9
	v_mov_b32_e32 v12, 0
	s_mov_b64 s[0:1], 0
	s_waitcnt lgkmcnt(0)
	s_cmp_lg_u64 s[8:9], 0
	s_cbranch_scc0 .LBB147_9
; %bb.4:
	s_load_dwordx2 s[6:7], s[4:5], 0x20
                                        ; implicit-def: $vgpr21_vgpr22
                                        ; implicit-def: $vgpr9_vgpr10
	s_waitcnt lgkmcnt(0)
	v_cmp_gt_i64_e32 vcc, s[6:7], v[11:12]
	s_and_saveexec_b64 s[6:7], vcc
	s_xor_b64 s[6:7], exec, s[6:7]
	s_cbranch_execz .LBB147_6
; %bb.5:
	v_lshlrev_b64 v[9:10], 3, v[11:12]
	v_mov_b32_e32 v13, s9
	v_add_co_u32_e32 v9, vcc, s8, v9
	v_addc_co_u32_e32 v10, vcc, v13, v10, vcc
	global_load_dwordx2 v[9:10], v[9:10], off
	s_mov_b32 s3, 0
	s_mov_b64 s[0:1], exec
	s_waitcnt vmcnt(0)
	v_subrev_co_u32_e32 v21, vcc, s2, v9
	v_subbrev_co_u32_e32 v22, vcc, 0, v10, vcc
	v_mov_b32_e32 v10, s3
	v_mov_b32_e32 v9, s2
.LBB147_6:
	s_or_b64 exec, exec, s[6:7]
.LBB147_7:
	s_and_b64 exec, exec, s[0:1]
	s_cbranch_execnz .LBB147_13
.LBB147_8:
	s_endpgm
.LBB147_9:
                                        ; implicit-def: $vgpr21_vgpr22
                                        ; implicit-def: $vgpr9_vgpr10
	s_cbranch_execz .LBB147_7
; %bb.10:
	s_load_dwordx2 s[6:7], s[4:5], 0x0
	s_waitcnt lgkmcnt(0)
	v_cmp_gt_i64_e32 vcc, s[6:7], v[11:12]
	s_and_saveexec_b64 s[6:7], vcc
; %bb.11:
	s_mov_b32 s3, 0
	s_or_b64 s[0:1], s[0:1], exec
; %bb.12:
	s_or_b64 exec, exec, s[6:7]
	v_mov_b32_e32 v10, s3
	v_mov_b32_e32 v22, v12
	;; [unrolled: 1-line block ×4, first 2 shown]
	s_and_b64 exec, exec, s[0:1]
	s_cbranch_execz .LBB147_8
.LBB147_13:
	s_load_dwordx8 s[8:15], s[4:5], 0x30
	v_lshlrev_b64 v[11:12], 3, v[21:22]
	v_and_b32_e32 v0, 15, v0
	s_waitcnt lgkmcnt(0)
	v_mov_b32_e32 v14, s9
	v_add_co_u32_e32 v13, vcc, s8, v11
	v_addc_co_u32_e32 v14, vcc, v14, v12, vcc
	global_load_dwordx2 v[17:18], v[13:14], off
	v_add_co_u32_e32 v13, vcc, 8, v13
	v_addc_co_u32_e32 v14, vcc, 0, v14, vcc
	v_mov_b32_e32 v15, s11
	v_add_co_u32_e32 v11, vcc, s10, v11
	s_cmp_eq_u64 s[10:11], 0
	v_addc_co_u32_e32 v12, vcc, v15, v12, vcc
	s_cselect_b64 vcc, -1, 0
	v_cndmask_b32_e32 v12, v12, v14, vcc
	v_cndmask_b32_e32 v11, v11, v13, vcc
	global_load_dwordx2 v[13:14], v[11:12], off
	s_load_dword s0, s[4:5], 0x8
	s_load_dwordx2 s[8:9], s[4:5], 0x50
	v_mov_b32_e32 v19, s15
	s_waitcnt lgkmcnt(0)
	s_cmp_eq_u32 s0, 1
	s_waitcnt vmcnt(1)
	v_sub_co_u32_e32 v11, vcc, v17, v9
	v_subb_co_u32_e32 v12, vcc, v18, v10, vcc
	v_add_co_u32_e32 v11, vcc, v11, v0
	v_addc_co_u32_e32 v12, vcc, 0, v12, vcc
	v_lshlrev_b64 v[15:16], 7, v[11:12]
	s_waitcnt vmcnt(0)
	v_sub_co_u32_e32 v13, vcc, v13, v9
	v_subb_co_u32_e32 v14, vcc, v14, v10, vcc
	v_cmp_lt_i64_e64 s[0:1], v[11:12], v[13:14]
	v_add_co_u32_e32 v15, vcc, s14, v15
	v_addc_co_u32_e32 v16, vcc, v19, v16, vcc
	s_cbranch_scc1 .LBB147_25
; %bb.14:
	v_mov_b32_e32 v37, 0
	v_mov_b32_e32 v41, 0
	v_mov_b32_e32 v31, 0
	v_mov_b32_e32 v33, 0
	v_mov_b32_e32 v35, 0
	v_mov_b32_e32 v39, 0
	v_mov_b32_e32 v27, 0
	v_mov_b32_e32 v29, 0
	v_mov_b32_e32 v38, 0
	v_mov_b32_e32 v42, 0
	v_mov_b32_e32 v32, 0
	v_mov_b32_e32 v34, 0
	v_mov_b32_e32 v36, 0
	v_mov_b32_e32 v40, 0
	v_mov_b32_e32 v28, 0
	v_mov_b32_e32 v30, 0
	s_and_saveexec_b64 s[10:11], s[0:1]
	s_cbranch_execz .LBB147_24
; %bb.15:
	v_or_b32_e32 v19, 16, v0
	v_sub_co_u32_e32 v19, vcc, v19, v9
	v_subb_co_u32_e32 v20, vcc, 0, v10, vcc
	v_add_co_u32_e32 v19, vcc, v19, v17
	v_addc_co_u32_e32 v20, vcc, v20, v18, vcc
	v_cmp_gt_i64_e32 vcc, v[19:20], v[13:14]
	v_not_b32_e32 v24, v17
	v_cndmask_b32_e32 v20, v14, v20, vcc
	v_cndmask_b32_e32 v19, v13, v19, vcc
	v_sub_co_u32_e32 v25, vcc, v9, v0
	v_subbrev_co_u32_e32 v26, vcc, 0, v10, vcc
	v_not_b32_e32 v23, v18
	v_add_co_u32_e32 v24, vcc, v25, v24
	v_addc_co_u32_e32 v23, vcc, v26, v23, vcc
	v_add_co_u32_e32 v25, vcc, v24, v19
	v_addc_co_u32_e32 v26, vcc, v23, v20, vcc
	v_and_b32_e32 v19, 48, v25
	v_mov_b32_e32 v20, 0
	v_cmp_ne_u64_e32 vcc, 48, v[19:20]
	v_mov_b32_e32 v29, 0
	v_mov_b32_e32 v27, 0
	;; [unrolled: 1-line block ×20, first 2 shown]
	s_and_saveexec_b64 s[14:15], vcc
	s_cbranch_execz .LBB147_19
; %bb.16:
	v_lshrrev_b32_e32 v19, 4, v25
	v_add_u32_e32 v19, 1, v19
	v_and_b32_e32 v23, 3, v19
	v_lshlrev_b64 v[19:20], 3, v[11:12]
	v_mov_b32_e32 v24, s13
	v_add_co_u32_e32 v43, vcc, s12, v19
	v_addc_co_u32_e32 v44, vcc, v24, v20, vcc
	v_sub_co_u32_e32 v45, vcc, 0, v23
	v_mov_b32_e32 v37, 0
	s_mov_b32 s18, 0
	v_mov_b32_e32 v20, v12
	v_mov_b32_e32 v41, 0
	;; [unrolled: 1-line block ×9, first 2 shown]
	s_mov_b64 s[16:17], 0
	v_subb_co_u32_e64 v46, s[2:3], 0, 0, vcc
	v_mov_b32_e32 v38, 0
	s_brev_b32 s19, 1
	s_movk_i32 s20, 0x800
	v_mov_b32_e32 v19, v11
	v_mov_b32_e32 v42, 0
	;; [unrolled: 1-line block ×9, first 2 shown]
.LBB147_17:                             ; =>This Inner Loop Header: Depth=1
	global_load_dwordx2 v[67:68], v[43:44], off
	global_load_dwordx4 v[47:50], v[23:24], off offset:32
	global_load_dwordx4 v[51:54], v[23:24], off
	v_mov_b32_e32 v69, s9
	global_load_dwordx4 v[55:58], v[23:24], off offset:64
	global_load_dwordx4 v[59:62], v[23:24], off offset:96
	;; [unrolled: 1-line block ×3, first 2 shown]
	v_add_co_u32_e64 v45, s[6:7], 1, v45
	s_waitcnt vmcnt(5)
	v_sub_co_u32_e32 v67, vcc, v67, v9
	v_subb_co_u32_e32 v68, vcc, v68, v10, vcc
	v_lshlrev_b64 v[67:68], 6, v[67:68]
	v_add_co_u32_e32 v71, vcc, s8, v67
	v_addc_co_u32_e32 v72, vcc, v69, v68, vcc
	global_load_dwordx4 v[67:70], v[71:72], off
	s_waitcnt vmcnt(0)
	v_fma_f64 v[35:36], v[67:68], 0, v[35:36]
	v_fma_f64 v[29:30], v[59:60], v[67:68], v[29:30]
	;; [unrolled: 1-line block ×11, first 2 shown]
	global_load_dwordx4 v[27:30], v[71:72], off offset:16
	v_fma_f64 v[37:38], v[51:52], v[69:70], v[37:38]
	v_fma_f64 v[47:48], v[47:48], v[69:70], v[31:32]
	;; [unrolled: 1-line block ×5, first 2 shown]
	s_waitcnt vmcnt(0)
	v_fma_f64 v[35:36], v[27:28], 0, v[35:36]
	v_fma_f64 v[31:32], v[27:28], 0, v[37:38]
	;; [unrolled: 1-line block ×9, first 2 shown]
	global_load_dwordx4 v[31:34], v[23:24], off offset:16
	v_fma_f64 v[73:74], v[49:50], v[29:30], v[37:38]
	global_load_dwordx4 v[47:50], v[23:24], off offset:80
	global_load_dwordx4 v[51:54], v[23:24], off offset:112
	v_fma_f64 v[27:28], v[61:62], v[27:28], v[55:56]
	global_load_dwordx4 v[55:58], v[71:72], off offset:48
	v_fma_f64 v[59:60], v[61:62], v[29:30], v[35:36]
	;; [unrolled: 2-line block ×3, first 2 shown]
	v_fma_f64 v[61:62], v[29:30], s[18:19], v[69:70]
	v_fma_f64 v[39:40], v[29:30], s[18:19], v[39:40]
	v_add_co_u32_e32 v23, vcc, s20, v23
	v_fma_f64 v[27:28], v[29:30], s[18:19], v[27:28]
	s_mov_b64 s[2:3], vcc
	v_add_co_u32_e32 v19, vcc, 16, v19
	v_addc_co_u32_e32 v20, vcc, 0, v20, vcc
	v_addc_co_u32_e64 v46, vcc, 0, v46, s[6:7]
	v_cmp_eq_u64_e64 s[6:7], 0, v[45:46]
	v_add_co_u32_e32 v43, vcc, 0x80, v43
	v_addc_co_u32_e64 v24, s[2:3], 0, v24, s[2:3]
	s_or_b64 s[16:17], s[6:7], s[16:17]
	v_addc_co_u32_e32 v44, vcc, 0, v44, vcc
	s_waitcnt vmcnt(0)
	v_fma_f64 v[29:30], v[35:36], 0, v[67:68]
	v_fma_f64 v[41:42], v[31:32], v[35:36], v[41:42]
	;; [unrolled: 1-line block ×32, first 2 shown]
	s_andn2_b64 exec, exec, s[16:17]
	s_cbranch_execnz .LBB147_17
; %bb.18:
	s_or_b64 exec, exec, s[16:17]
.LBB147_19:
	s_or_b64 exec, exec, s[14:15]
	v_cmp_lt_u64_e32 vcc, 47, v[25:26]
	s_and_saveexec_b64 s[6:7], vcc
	s_cbranch_execz .LBB147_23
; %bb.20:
	v_lshlrev_b64 v[25:26], 3, v[19:20]
	v_mov_b32_e32 v43, s13
	v_add_co_u32_e32 v25, vcc, s12, v25
	v_addc_co_u32_e32 v26, vcc, v43, v26, vcc
	v_add_co_u32_e32 v25, vcc, 0x100, v25
	s_mov_b32 s16, 0
	v_addc_co_u32_e32 v26, vcc, 0, v26, vcc
	s_mov_b64 s[14:15], 0
	v_mov_b32_e32 v49, s9
	s_brev_b32 s17, 1
	s_movk_i32 s18, 0x1000
.LBB147_21:                             ; =>This Inner Loop Header: Depth=1
	global_load_dwordx2 v[43:44], v[25:26], off offset:-256
	s_waitcnt vmcnt(0)
	v_sub_co_u32_e32 v47, vcc, v43, v9
	v_subb_co_u32_e32 v48, vcc, v44, v10, vcc
	v_lshlrev_b64 v[47:48], 6, v[47:48]
	global_load_dwordx4 v[43:46], v[23:24], off offset:48
	global_load_dwordx4 v[50:53], v[23:24], off offset:32
	;; [unrolled: 1-line block ×3, first 2 shown]
	global_load_dwordx4 v[58:61], v[23:24], off
	v_add_co_u32_e32 v47, vcc, s8, v47
	v_addc_co_u32_e32 v48, vcc, v49, v48, vcc
	global_load_dwordx4 v[62:65], v[47:48], off offset:48
	global_load_dwordx4 v[66:69], v[47:48], off offset:32
	global_load_dwordx4 v[70:73], v[47:48], off offset:16
	global_load_dwordx4 v[74:77], v[47:48], off
	s_waitcnt vmcnt(0)
	v_fma_f64 v[41:42], v[58:59], v[74:75], v[41:42]
	v_fma_f64 v[33:34], v[50:51], v[74:75], v[33:34]
	;; [unrolled: 1-line block ×33, first 2 shown]
	global_load_dwordx4 v[31:34], v[23:24], off offset:112
	global_load_dwordx4 v[41:44], v[23:24], off offset:96
	;; [unrolled: 1-line block ×4, first 2 shown]
	v_fma_f64 v[80:81], v[56:57], v[64:65], v[37:38]
	s_waitcnt vmcnt(2)
	v_fma_f64 v[29:30], v[41:42], v[74:75], v[29:30]
	v_fma_f64 v[27:28], v[41:42], v[76:77], v[27:28]
	s_waitcnt vmcnt(0)
	v_fma_f64 v[37:38], v[50:51], v[74:75], v[39:40]
	v_fma_f64 v[35:36], v[50:51], v[76:77], v[35:36]
	;; [unrolled: 1-line block ×25, first 2 shown]
	global_load_dwordx2 v[27:28], v[25:26], off offset:-128
	v_fma_f64 v[47:48], v[47:48], v[64:65], v[35:36]
	v_fma_f64 v[66:67], v[64:65], s[16:17], v[29:30]
	;; [unrolled: 1-line block ×3, first 2 shown]
	s_waitcnt vmcnt(0)
	v_sub_co_u32_e32 v43, vcc, v27, v9
	v_subb_co_u32_e32 v44, vcc, v28, v10, vcc
	v_lshlrev_b64 v[43:44], 6, v[43:44]
	global_load_dwordx4 v[27:30], v[23:24], off offset:2096
	global_load_dwordx4 v[31:34], v[23:24], off offset:2080
	global_load_dwordx4 v[35:38], v[23:24], off offset:2064
	global_load_dwordx4 v[39:42], v[23:24], off offset:2048
	v_add_co_u32_e32 v64, vcc, s8, v43
	v_addc_co_u32_e32 v65, vcc, v49, v44, vcc
	global_load_dwordx4 v[43:46], v[64:65], off offset:48
	global_load_dwordx4 v[50:53], v[64:65], off offset:32
	;; [unrolled: 1-line block ×3, first 2 shown]
	global_load_dwordx4 v[58:61], v[64:65], off
	s_waitcnt vmcnt(0)
	v_fma_f64 v[68:69], v[58:59], 0, v[80:81]
	v_fma_f64 v[64:65], v[39:40], v[58:59], v[78:79]
	;; [unrolled: 1-line block ×33, first 2 shown]
	global_load_dwordx4 v[27:30], v[23:24], off offset:2160
	global_load_dwordx4 v[31:34], v[23:24], off offset:2144
	;; [unrolled: 1-line block ×4, first 2 shown]
	s_waitcnt vmcnt(0)
	v_fma_f64 v[64:65], v[39:40], v[58:59], v[86:87]
	v_fma_f64 v[39:40], v[39:40], v[60:61], v[47:48]
	v_fma_f64 v[64:65], v[60:61], s[16:17], v[64:65]
	v_fma_f64 v[39:40], v[54:55], 0, v[39:40]
	v_fma_f64 v[47:48], v[41:42], v[54:55], v[64:65]
	v_fma_f64 v[39:40], v[41:42], v[56:57], v[39:40]
	v_fma_f64 v[47:48], v[56:57], s[16:17], v[47:48]
	v_fma_f64 v[39:40], v[50:51], 0, v[39:40]
	v_fma_f64 v[41:42], v[35:36], v[50:51], v[47:48]
	v_fma_f64 v[35:36], v[35:36], v[52:53], v[39:40]
	v_fma_f64 v[41:42], v[52:53], s[16:17], v[41:42]
	v_fma_f64 v[35:36], v[43:44], 0, v[35:36]
	v_fma_f64 v[39:40], v[37:38], v[43:44], v[41:42]
	v_fma_f64 v[78:79], v[37:38], v[45:46], v[35:36]
	v_fma_f64 v[37:38], v[58:59], 0, v[62:63]
	v_fma_f64 v[35:36], v[31:32], v[58:59], v[66:67]
	v_fma_f64 v[76:77], v[45:46], s[16:17], v[39:40]
	v_fma_f64 v[31:32], v[31:32], v[60:61], v[37:38]
	v_fma_f64 v[35:36], v[60:61], s[16:17], v[35:36]
	v_fma_f64 v[31:32], v[54:55], 0, v[31:32]
	v_fma_f64 v[35:36], v[33:34], v[54:55], v[35:36]
	v_fma_f64 v[31:32], v[33:34], v[56:57], v[31:32]
	v_fma_f64 v[35:36], v[56:57], s[16:17], v[35:36]
	v_fma_f64 v[31:32], v[50:51], 0, v[31:32]
	v_fma_f64 v[33:34], v[27:28], v[50:51], v[35:36]
	v_fma_f64 v[27:28], v[27:28], v[52:53], v[31:32]
	v_fma_f64 v[33:34], v[52:53], s[16:17], v[33:34]
	v_fma_f64 v[27:28], v[43:44], 0, v[27:28]
	v_fma_f64 v[31:32], v[29:30], v[43:44], v[33:34]
	v_fma_f64 v[82:83], v[29:30], v[45:46], v[27:28]
	global_load_dwordx2 v[29:30], v[25:26], off
	v_add_co_u32_e32 v27, vcc, s18, v23
	v_addc_co_u32_e32 v28, vcc, 0, v24, vcc
	v_fma_f64 v[80:81], v[45:46], s[16:17], v[31:32]
	s_waitcnt vmcnt(0)
	v_sub_co_u32_e32 v33, vcc, v29, v9
	v_subb_co_u32_e32 v34, vcc, v30, v10, vcc
	v_lshlrev_b64 v[33:34], 6, v[33:34]
	global_load_dwordx4 v[29:32], v[27:28], off
	global_load_dwordx4 v[35:38], v[27:28], off offset:48
	global_load_dwordx4 v[39:42], v[27:28], off offset:32
	;; [unrolled: 1-line block ×3, first 2 shown]
	v_add_co_u32_e32 v33, vcc, s8, v33
	v_addc_co_u32_e32 v34, vcc, v49, v34, vcc
	global_load_dwordx4 v[50:53], v[33:34], off offset:48
	global_load_dwordx4 v[54:57], v[33:34], off offset:32
	;; [unrolled: 1-line block ×3, first 2 shown]
	global_load_dwordx4 v[62:65], v[33:34], off
	s_waitcnt vmcnt(0)
	v_fma_f64 v[47:48], v[62:63], 0, v[70:71]
	v_fma_f64 v[33:34], v[29:30], v[62:63], v[68:69]
	;; [unrolled: 1-line block ×33, first 2 shown]
	global_load_dwordx4 v[43:46], v[27:28], off offset:112
	global_load_dwordx4 v[66:69], v[27:28], off offset:96
	;; [unrolled: 1-line block ×4, first 2 shown]
	s_waitcnt vmcnt(0)
	v_fma_f64 v[29:30], v[70:71], v[62:63], v[76:77]
	v_fma_f64 v[41:42], v[70:71], v[64:65], v[41:42]
	;; [unrolled: 1-line block ×31, first 2 shown]
	global_load_dwordx2 v[37:38], v[25:26], off offset:128
	global_load_dwordx4 v[50:53], v[27:28], off offset:2096
	global_load_dwordx4 v[54:57], v[27:28], off offset:2080
	;; [unrolled: 1-line block ×4, first 2 shown]
	s_waitcnt vmcnt(4)
	v_sub_co_u32_e32 v37, vcc, v37, v9
	v_subb_co_u32_e32 v38, vcc, v38, v10, vcc
	v_lshlrev_b64 v[37:38], 6, v[37:38]
	v_add_co_u32_e32 v37, vcc, s8, v37
	v_addc_co_u32_e32 v38, vcc, v49, v38, vcc
	global_load_dwordx4 v[66:69], v[37:38], off offset:48
	global_load_dwordx4 v[70:73], v[37:38], off offset:32
	;; [unrolled: 1-line block ×3, first 2 shown]
	global_load_dwordx4 v[78:81], v[37:38], off
	v_add_co_u32_e32 v19, vcc, 64, v19
	v_addc_co_u32_e32 v20, vcc, 0, v20, vcc
	v_add_co_u32_e32 v25, vcc, 0x200, v25
	v_addc_co_u32_e32 v26, vcc, 0, v26, vcc
	v_cmp_ge_i64_e64 s[2:3], v[19:20], v[13:14]
	v_add_co_u32_e32 v23, vcc, 0x2000, v23
	v_addc_co_u32_e32 v24, vcc, 0, v24, vcc
	s_or_b64 s[14:15], s[2:3], s[14:15]
	s_waitcnt vmcnt(0)
	v_fma_f64 v[31:32], v[62:63], v[78:79], v[31:32]
	v_fma_f64 v[33:34], v[78:79], 0, v[33:34]
	;; [unrolled: 1-line block ×32, first 2 shown]
	global_load_dwordx4 v[50:53], v[27:28], off offset:2160
	global_load_dwordx4 v[54:57], v[27:28], off offset:2144
	;; [unrolled: 1-line block ×4, first 2 shown]
	s_waitcnt vmcnt(0)
	v_fma_f64 v[27:28], v[62:63], v[78:79], v[29:30]
	v_fma_f64 v[29:30], v[78:79], 0, v[35:36]
	;; [unrolled: 1-line block ×32, first 2 shown]
	s_andn2_b64 exec, exec, s[14:15]
	s_cbranch_execnz .LBB147_21
; %bb.22:
	s_or_b64 exec, exec, s[14:15]
.LBB147_23:
	s_or_b64 exec, exec, s[6:7]
.LBB147_24:
	s_or_b64 exec, exec, s[10:11]
	s_cbranch_execz .LBB147_26
	s_branch .LBB147_37
.LBB147_25:
                                        ; implicit-def: $vgpr37_vgpr38
                                        ; implicit-def: $vgpr41_vgpr42
                                        ; implicit-def: $vgpr31_vgpr32
                                        ; implicit-def: $vgpr33_vgpr34
                                        ; implicit-def: $vgpr35_vgpr36
                                        ; implicit-def: $vgpr39_vgpr40
                                        ; implicit-def: $vgpr27_vgpr28
                                        ; implicit-def: $vgpr29_vgpr30
.LBB147_26:
	v_mov_b32_e32 v37, 0
	v_mov_b32_e32 v41, 0
	;; [unrolled: 1-line block ×16, first 2 shown]
	s_and_saveexec_b64 s[2:3], s[0:1]
	s_cbranch_execz .LBB147_36
; %bb.27:
	v_or_b32_e32 v19, 16, v0
	v_sub_co_u32_e32 v19, vcc, v19, v9
	v_subb_co_u32_e32 v20, vcc, 0, v10, vcc
	v_add_co_u32_e32 v19, vcc, v19, v17
	v_addc_co_u32_e32 v20, vcc, v20, v18, vcc
	v_cmp_gt_i64_e32 vcc, v[19:20], v[13:14]
	v_not_b32_e32 v17, v17
	v_cndmask_b32_e32 v20, v14, v20, vcc
	v_cndmask_b32_e32 v19, v13, v19, vcc
	v_sub_co_u32_e32 v23, vcc, v9, v0
	v_subbrev_co_u32_e32 v24, vcc, 0, v10, vcc
	v_not_b32_e32 v18, v18
	v_add_co_u32_e32 v17, vcc, v23, v17
	v_addc_co_u32_e32 v18, vcc, v24, v18, vcc
	v_add_co_u32_e32 v17, vcc, v17, v19
	v_addc_co_u32_e32 v18, vcc, v18, v20, vcc
	v_and_b32_e32 v19, 48, v17
	v_mov_b32_e32 v20, 0
	v_cmp_ne_u64_e32 vcc, 48, v[19:20]
	v_mov_b32_e32 v29, 0
	v_mov_b32_e32 v27, 0
	;; [unrolled: 1-line block ×16, first 2 shown]
	s_and_saveexec_b64 s[0:1], vcc
	s_cbranch_execz .LBB147_31
; %bb.28:
	v_lshrrev_b32_e32 v19, 4, v17
	v_add_u32_e32 v19, 1, v19
	v_and_b32_e32 v23, 3, v19
	v_lshlrev_b64 v[19:20], 3, v[11:12]
	v_mov_b32_e32 v24, s13
	v_add_co_u32_e32 v19, vcc, s12, v19
	v_addc_co_u32_e32 v20, vcc, v24, v20, vcc
	v_sub_co_u32_e32 v23, vcc, 0, v23
	v_subb_co_u32_e64 v24, s[10:11], 0, 0, vcc
	v_mov_b32_e32 v37, 0
	s_mov_b32 s10, 0
	v_mov_b32_e32 v41, 0
	v_mov_b32_e32 v31, 0
	;; [unrolled: 1-line block ×7, first 2 shown]
	s_mov_b64 s[6:7], 0
	v_mov_b32_e32 v38, 0
	s_brev_b32 s11, 1
	v_mov_b32_e32 v42, 0
	v_mov_b32_e32 v32, 0
	;; [unrolled: 1-line block ×7, first 2 shown]
	s_movk_i32 s14, 0x800
.LBB147_29:                             ; =>This Inner Loop Header: Depth=1
	global_load_dwordx2 v[25:26], v[19:20], off
	v_mov_b32_e32 v59, s9
	global_load_dwordx4 v[43:46], v[15:16], off offset:48
	global_load_dwordx4 v[47:50], v[15:16], off offset:32
	;; [unrolled: 1-line block ×3, first 2 shown]
	global_load_dwordx4 v[55:58], v[15:16], off
	s_waitcnt vmcnt(4)
	v_sub_co_u32_e32 v25, vcc, v25, v9
	v_subb_co_u32_e32 v26, vcc, v26, v10, vcc
	v_lshlrev_b64 v[25:26], 6, v[25:26]
	v_add_co_u32_e32 v25, vcc, s8, v25
	v_addc_co_u32_e32 v26, vcc, v59, v26, vcc
	global_load_dwordx4 v[59:62], v[25:26], off offset:48
	global_load_dwordx4 v[63:66], v[25:26], off offset:32
	;; [unrolled: 1-line block ×3, first 2 shown]
	global_load_dwordx4 v[71:74], v[25:26], off
	s_waitcnt vmcnt(0)
	v_fma_f64 v[25:26], v[55:56], v[71:72], v[41:42]
	v_fma_f64 v[37:38], v[71:72], 0, v[37:38]
	;; [unrolled: 1-line block ×35, first 2 shown]
	global_load_dwordx4 v[25:28], v[15:16], off offset:112
	global_load_dwordx4 v[29:32], v[15:16], off offset:96
	;; [unrolled: 1-line block ×4, first 2 shown]
	v_add_co_u32_e32 v15, vcc, s14, v15
	v_addc_co_u32_e32 v16, vcc, 0, v16, vcc
	v_add_co_u32_e32 v11, vcc, 16, v11
	v_addc_co_u32_e32 v12, vcc, 0, v12, vcc
	v_add_co_u32_e32 v19, vcc, 0x80, v19
	v_addc_co_u32_e32 v20, vcc, 0, v20, vcc
	v_add_co_u32_e32 v23, vcc, 1, v23
	v_addc_co_u32_e32 v24, vcc, 0, v24, vcc
	v_cmp_eq_u64_e32 vcc, 0, v[23:24]
	s_or_b64 s[6:7], vcc, s[6:7]
	s_waitcnt vmcnt(1)
	v_fma_f64 v[43:44], v[33:34], v[65:66], v[43:44]
	s_waitcnt vmcnt(0)
	v_fma_f64 v[41:42], v[37:38], v[63:64], v[41:42]
	v_fma_f64 v[37:38], v[37:38], v[65:66], v[47:48]
	v_fma_f64 v[47:48], v[39:40], v[63:64], v[51:52]
	v_fma_f64 v[39:40], v[39:40], v[65:66], v[49:50]
	v_fma_f64 v[49:50], v[33:34], v[63:64], v[53:54]
	v_fma_f64 v[33:34], v[35:36], v[63:64], v[55:56]
	v_fma_f64 v[41:42], v[65:66], s[10:11], v[41:42]
	v_fma_f64 v[47:48], v[65:66], s[10:11], v[47:48]
	v_fma_f64 v[49:50], v[65:66], s[10:11], v[49:50]
	v_fma_f64 v[51:52], v[65:66], s[10:11], v[33:34]
	v_fma_f64 v[33:34], v[63:64], 0, v[45:46]
	v_fma_f64 v[45:46], v[35:36], v[65:66], v[33:34]
	v_fma_f64 v[33:34], v[29:30], v[59:60], v[41:42]
	v_fma_f64 v[41:42], v[61:62], s[10:11], v[33:34]
	v_fma_f64 v[33:34], v[59:60], 0, v[37:38]
	v_fma_f64 v[37:38], v[29:30], v[61:62], v[33:34]
	v_fma_f64 v[29:30], v[31:32], v[59:60], v[47:48]
	v_fma_f64 v[33:34], v[61:62], s[10:11], v[29:30]
	v_fma_f64 v[29:30], v[59:60], 0, v[39:40]
	v_fma_f64 v[31:32], v[31:32], v[61:62], v[29:30]
	v_fma_f64 v[29:30], v[25:26], v[59:60], v[49:50]
	v_fma_f64 v[39:40], v[61:62], s[10:11], v[29:30]
	v_fma_f64 v[29:30], v[59:60], 0, v[43:44]
	v_fma_f64 v[35:36], v[25:26], v[61:62], v[29:30]
	v_fma_f64 v[25:26], v[27:28], v[59:60], v[51:52]
	v_fma_f64 v[29:30], v[61:62], s[10:11], v[25:26]
	v_fma_f64 v[25:26], v[59:60], 0, v[45:46]
	v_fma_f64 v[27:28], v[27:28], v[61:62], v[25:26]
	s_andn2_b64 exec, exec, s[6:7]
	s_cbranch_execnz .LBB147_29
; %bb.30:
	s_or_b64 exec, exec, s[6:7]
.LBB147_31:
	s_or_b64 exec, exec, s[0:1]
	v_cmp_lt_u64_e32 vcc, 47, v[17:18]
	s_and_saveexec_b64 s[6:7], vcc
	s_cbranch_execz .LBB147_35
; %bb.32:
	v_lshlrev_b64 v[17:18], 3, v[11:12]
	v_mov_b32_e32 v19, s13
	v_add_co_u32_e32 v17, vcc, s12, v17
	v_addc_co_u32_e32 v18, vcc, v19, v18, vcc
	v_add_co_u32_e32 v17, vcc, 0x100, v17
	s_mov_b32 s12, 0
	v_addc_co_u32_e32 v18, vcc, 0, v18, vcc
	s_mov_b64 s[10:11], 0
	v_mov_b32_e32 v43, s9
	s_brev_b32 s13, 1
	s_movk_i32 s9, 0x1000
.LBB147_33:                             ; =>This Inner Loop Header: Depth=1
	global_load_dwordx2 v[19:20], v[17:18], off offset:-256
	global_load_dwordx4 v[23:26], v[15:16], off offset:48
	global_load_dwordx4 v[44:47], v[15:16], off offset:32
	;; [unrolled: 1-line block ×3, first 2 shown]
	global_load_dwordx4 v[52:55], v[15:16], off
	s_waitcnt vmcnt(4)
	v_sub_co_u32_e32 v19, vcc, v19, v9
	v_subb_co_u32_e32 v20, vcc, v20, v10, vcc
	v_lshlrev_b64 v[19:20], 6, v[19:20]
	v_add_co_u32_e32 v19, vcc, s8, v19
	v_addc_co_u32_e32 v20, vcc, v43, v20, vcc
	global_load_dwordx4 v[56:59], v[19:20], off offset:48
	global_load_dwordx4 v[60:63], v[19:20], off offset:32
	;; [unrolled: 1-line block ×3, first 2 shown]
	global_load_dwordx4 v[68:71], v[19:20], off
	s_waitcnt vmcnt(0)
	v_fma_f64 v[31:32], v[68:69], 0, v[31:32]
	v_fma_f64 v[33:34], v[54:55], v[68:69], v[33:34]
	;; [unrolled: 1-line block ×33, first 2 shown]
	global_load_dwordx4 v[23:26], v[15:16], off offset:112
	global_load_dwordx4 v[27:30], v[15:16], off offset:96
	;; [unrolled: 1-line block ×4, first 2 shown]
	s_waitcnt vmcnt(1)
	v_fma_f64 v[39:40], v[31:32], v[60:61], v[39:40]
	s_waitcnt vmcnt(0)
	v_fma_f64 v[19:20], v[35:36], v[60:61], v[19:20]
	v_fma_f64 v[35:36], v[35:36], v[62:63], v[41:42]
	;; [unrolled: 1-line block ×30, first 2 shown]
	global_load_dwordx2 v[23:24], v[17:18], off offset:-128
	s_waitcnt vmcnt(0)
	v_sub_co_u32_e32 v39, vcc, v23, v9
	v_subb_co_u32_e32 v40, vcc, v24, v10, vcc
	v_lshlrev_b64 v[39:40], 6, v[39:40]
	global_load_dwordx4 v[23:26], v[15:16], off offset:2096
	global_load_dwordx4 v[27:30], v[15:16], off offset:2080
	;; [unrolled: 1-line block ×4, first 2 shown]
	v_add_co_u32_e32 v58, vcc, s8, v39
	v_addc_co_u32_e32 v59, vcc, v43, v40, vcc
	global_load_dwordx4 v[39:42], v[58:59], off offset:48
	global_load_dwordx4 v[44:47], v[58:59], off offset:32
	;; [unrolled: 1-line block ×3, first 2 shown]
	global_load_dwordx4 v[52:55], v[58:59], off
	s_waitcnt vmcnt(0)
	v_fma_f64 v[58:59], v[52:53], 0, v[60:61]
	v_fma_f64 v[19:20], v[35:36], v[52:53], v[19:20]
	v_fma_f64 v[60:61], v[52:53], 0, v[64:65]
	v_fma_f64 v[35:36], v[35:36], v[54:55], v[58:59]
	v_fma_f64 v[58:59], v[37:38], v[52:53], v[62:63]
	v_fma_f64 v[62:63], v[52:53], 0, v[68:69]
	v_fma_f64 v[19:20], v[54:55], s[12:13], v[19:20]
	v_fma_f64 v[37:38], v[37:38], v[54:55], v[60:61]
	v_fma_f64 v[60:61], v[31:32], v[52:53], v[66:67]
	v_fma_f64 v[35:36], v[48:49], 0, v[35:36]
	v_fma_f64 v[58:59], v[54:55], s[12:13], v[58:59]
	v_fma_f64 v[31:32], v[31:32], v[54:55], v[62:63]
	v_fma_f64 v[62:63], v[33:34], v[52:53], v[70:71]
	v_fma_f64 v[52:53], v[52:53], 0, v[56:57]
	v_fma_f64 v[19:20], v[27:28], v[48:49], v[19:20]
	v_fma_f64 v[60:61], v[54:55], s[12:13], v[60:61]
	v_fma_f64 v[62:63], v[54:55], s[12:13], v[62:63]
	v_fma_f64 v[33:34], v[33:34], v[54:55], v[52:53]
	v_fma_f64 v[52:53], v[27:28], v[50:51], v[35:36]
	v_fma_f64 v[27:28], v[29:30], v[48:49], v[58:59]
	v_fma_f64 v[19:20], v[50:51], s[12:13], v[19:20]
	v_fma_f64 v[54:55], v[50:51], s[12:13], v[27:28]
	v_fma_f64 v[27:28], v[48:49], 0, v[37:38]
	v_fma_f64 v[56:57], v[29:30], v[50:51], v[27:28]
	v_fma_f64 v[27:28], v[23:24], v[48:49], v[60:61]
	v_fma_f64 v[58:59], v[50:51], s[12:13], v[27:28]
	v_fma_f64 v[27:28], v[48:49], 0, v[31:32]
	v_fma_f64 v[60:61], v[23:24], v[50:51], v[27:28]
	v_fma_f64 v[23:24], v[25:26], v[48:49], v[62:63]
	v_fma_f64 v[62:63], v[50:51], s[12:13], v[23:24]
	v_fma_f64 v[23:24], v[48:49], 0, v[33:34]
	v_fma_f64 v[48:49], v[25:26], v[50:51], v[23:24]
	global_load_dwordx4 v[23:26], v[15:16], off offset:2160
	global_load_dwordx4 v[27:30], v[15:16], off offset:2144
	;; [unrolled: 1-line block ×4, first 2 shown]
	v_fma_f64 v[50:51], v[44:45], 0, v[52:53]
	v_fma_f64 v[52:53], v[44:45], 0, v[56:57]
	s_waitcnt vmcnt(0)
	v_fma_f64 v[19:20], v[35:36], v[44:45], v[19:20]
	v_fma_f64 v[35:36], v[35:36], v[46:47], v[50:51]
	;; [unrolled: 1-line block ×26, first 2 shown]
	global_load_dwordx2 v[23:24], v[17:18], off
	v_fma_f64 v[19:20], v[25:26], v[39:40], v[54:55]
	v_fma_f64 v[68:69], v[41:42], s[12:13], v[19:20]
	;; [unrolled: 1-line block ×4, first 2 shown]
	v_add_co_u32_e32 v19, vcc, s9, v15
	v_addc_co_u32_e32 v20, vcc, 0, v16, vcc
	s_waitcnt vmcnt(0)
	v_sub_co_u32_e32 v39, vcc, v23, v9
	v_subb_co_u32_e32 v40, vcc, v24, v10, vcc
	v_lshlrev_b64 v[39:40], 6, v[39:40]
	global_load_dwordx4 v[23:26], v[19:20], off
	global_load_dwordx4 v[27:30], v[19:20], off offset:48
	global_load_dwordx4 v[31:34], v[19:20], off offset:32
	;; [unrolled: 1-line block ×3, first 2 shown]
	v_add_co_u32_e32 v72, vcc, s8, v39
	v_addc_co_u32_e32 v73, vcc, v43, v40, vcc
	global_load_dwordx4 v[39:42], v[72:73], off offset:48
	global_load_dwordx4 v[44:47], v[72:73], off offset:32
	;; [unrolled: 1-line block ×3, first 2 shown]
	global_load_dwordx4 v[52:55], v[72:73], off
	s_waitcnt vmcnt(0)
	v_fma_f64 v[58:59], v[52:53], 0, v[58:59]
	v_fma_f64 v[56:57], v[23:24], v[52:53], v[56:57]
	;; [unrolled: 1-line block ×32, first 2 shown]
	global_load_dwordx4 v[35:38], v[19:20], off offset:112
	global_load_dwordx4 v[27:30], v[19:20], off offset:96
	;; [unrolled: 1-line block ×4, first 2 shown]
	s_waitcnt vmcnt(0)
	v_fma_f64 v[50:51], v[31:32], v[44:45], v[52:53]
	v_fma_f64 v[52:53], v[44:45], 0, v[54:55]
	;; [unrolled: 1-line block ×32, first 2 shown]
	global_load_dwordx2 v[39:40], v[17:18], off offset:128
	s_waitcnt vmcnt(0)
	v_sub_co_u32_e32 v56, vcc, v39, v9
	v_subb_co_u32_e32 v57, vcc, v40, v10, vcc
	v_lshlrev_b64 v[56:57], 6, v[56:57]
	global_load_dwordx4 v[39:42], v[19:20], off offset:2096
	global_load_dwordx4 v[44:47], v[19:20], off offset:2080
	;; [unrolled: 1-line block ×4, first 2 shown]
	v_add_co_u32_e32 v72, vcc, s8, v56
	v_addc_co_u32_e32 v73, vcc, v43, v57, vcc
	global_load_dwordx4 v[56:59], v[72:73], off offset:48
	global_load_dwordx4 v[60:63], v[72:73], off offset:32
	;; [unrolled: 1-line block ×3, first 2 shown]
	global_load_dwordx4 v[68:71], v[72:73], off
	v_add_co_u32_e32 v11, vcc, 64, v11
	v_addc_co_u32_e32 v12, vcc, 0, v12, vcc
	v_add_co_u32_e32 v17, vcc, 0x200, v17
	v_addc_co_u32_e32 v18, vcc, 0, v18, vcc
	v_cmp_ge_i64_e64 s[0:1], v[11:12], v[13:14]
	v_add_co_u32_e32 v15, vcc, 0x2000, v15
	v_addc_co_u32_e32 v16, vcc, 0, v16, vcc
	s_or_b64 s[10:11], s[0:1], s[10:11]
	s_waitcnt vmcnt(0)
	v_fma_f64 v[23:24], v[52:53], v[68:69], v[23:24]
	v_fma_f64 v[25:26], v[68:69], 0, v[25:26]
	;; [unrolled: 1-line block ×34, first 2 shown]
	global_load_dwordx4 v[23:26], v[19:20], off offset:2160
	global_load_dwordx4 v[27:30], v[19:20], off offset:2144
	;; [unrolled: 1-line block ×4, first 2 shown]
	s_waitcnt vmcnt(0)
	v_fma_f64 v[19:20], v[35:36], v[60:61], v[48:49]
	v_fma_f64 v[35:36], v[35:36], v[62:63], v[44:45]
	;; [unrolled: 1-line block ×30, first 2 shown]
	s_andn2_b64 exec, exec, s[10:11]
	s_cbranch_execnz .LBB147_33
; %bb.34:
	s_or_b64 exec, exec, s[10:11]
.LBB147_35:
	s_or_b64 exec, exec, s[6:7]
.LBB147_36:
	s_or_b64 exec, exec, s[2:3]
.LBB147_37:
	v_mov_b32_dpp v9, v41 row_shr:1 row_mask:0xf bank_mask:0xf
	v_mov_b32_dpp v10, v42 row_shr:1 row_mask:0xf bank_mask:0xf
	v_add_f64 v[9:10], v[41:42], v[9:10]
	v_mov_b32_dpp v11, v37 row_shr:1 row_mask:0xf bank_mask:0xf
	v_mov_b32_dpp v12, v38 row_shr:1 row_mask:0xf bank_mask:0xf
	v_add_f64 v[11:12], v[37:38], v[11:12]
	v_mov_b32_dpp v13, v33 row_shr:1 row_mask:0xf bank_mask:0xf
	v_mov_b32_dpp v14, v34 row_shr:1 row_mask:0xf bank_mask:0xf
	v_add_f64 v[13:14], v[33:34], v[13:14]
	v_mov_b32_dpp v37, v35 row_shr:1 row_mask:0xf bank_mask:0xf
	v_mov_b32_dpp v15, v9 row_shr:2 row_mask:0xf bank_mask:0xf
	;; [unrolled: 1-line block ×3, first 2 shown]
	v_add_f64 v[9:10], v[9:10], v[15:16]
	v_mov_b32_dpp v15, v11 row_shr:2 row_mask:0xf bank_mask:0xf
	v_mov_b32_dpp v16, v12 row_shr:2 row_mask:0xf bank_mask:0xf
	v_add_f64 v[11:12], v[11:12], v[15:16]
	v_mov_b32_dpp v15, v31 row_shr:1 row_mask:0xf bank_mask:0xf
	v_mov_b32_dpp v16, v32 row_shr:1 row_mask:0xf bank_mask:0xf
	;; [unrolled: 3-line block ×3, first 2 shown]
	v_add_f64 v[13:14], v[13:14], v[19:20]
	v_mov_b32_dpp v38, v36 row_shr:1 row_mask:0xf bank_mask:0xf
	v_add_f64 v[35:36], v[35:36], v[37:38]
	v_mov_b32_dpp v37, v29 row_shr:1 row_mask:0xf bank_mask:0xf
	v_mov_b32_dpp v38, v30 row_shr:1 row_mask:0xf bank_mask:0xf
	;; [unrolled: 1-line block ×4, first 2 shown]
	v_add_f64 v[15:16], v[15:16], v[19:20]
	v_mov_b32_dpp v19, v39 row_shr:1 row_mask:0xf bank_mask:0xf
	v_mov_b32_dpp v20, v40 row_shr:1 row_mask:0xf bank_mask:0xf
	v_add_f64 v[19:20], v[39:40], v[19:20]
	v_add_f64 v[29:30], v[29:30], v[37:38]
	v_mov_b32_dpp v37, v27 row_shr:1 row_mask:0xf bank_mask:0xf
	v_mov_b32_dpp v38, v28 row_shr:1 row_mask:0xf bank_mask:0xf
	v_add_f64 v[27:28], v[27:28], v[37:38]
	v_mov_b32_dpp v17, v9 row_shr:4 row_mask:0xf bank_mask:0xe
	v_mov_b32_dpp v18, v10 row_shr:4 row_mask:0xf bank_mask:0xe
	;; [unrolled: 3-line block ×5, first 2 shown]
	v_mov_b32_dpp v37, v35 row_shr:2 row_mask:0xf bank_mask:0xf
	v_mov_b32_dpp v38, v36 row_shr:2 row_mask:0xf bank_mask:0xf
	v_add_f64 v[15:16], v[15:16], v[17:18]
	v_mov_b32_dpp v17, v19 row_shr:2 row_mask:0xf bank_mask:0xf
	v_mov_b32_dpp v18, v20 row_shr:2 row_mask:0xf bank_mask:0xf
	v_add_f64 v[35:36], v[35:36], v[37:38]
	;; [unrolled: 3-line block ×3, first 2 shown]
	v_add_f64 v[37:38], v[29:30], v[37:38]
	v_mov_b32_dpp v29, v27 row_shr:2 row_mask:0xf bank_mask:0xf
	v_mov_b32_dpp v30, v28 row_shr:2 row_mask:0xf bank_mask:0xf
	v_add_f64 v[39:40], v[27:28], v[29:30]
	v_mov_b32_dpp v29, v35 row_shr:4 row_mask:0xf bank_mask:0xe
	v_mov_b32_dpp v30, v36 row_shr:4 row_mask:0xf bank_mask:0xe
	v_add_f64 v[29:30], v[35:36], v[29:30]
	v_mov_b32_dpp v33, v31 row_shr:4 row_mask:0xf bank_mask:0xe
	v_mov_b32_dpp v34, v32 row_shr:4 row_mask:0xf bank_mask:0xe
	v_add_f64 v[27:28], v[31:32], v[33:34]
	v_mov_b32_dpp v31, v37 row_shr:4 row_mask:0xf bank_mask:0xe
	v_mov_b32_dpp v32, v38 row_shr:4 row_mask:0xf bank_mask:0xe
	v_mov_b32_dpp v33, v39 row_shr:4 row_mask:0xf bank_mask:0xe
	v_mov_b32_dpp v34, v40 row_shr:4 row_mask:0xf bank_mask:0xe
	v_add_f64 v[31:32], v[37:38], v[31:32]
	v_add_f64 v[33:34], v[39:40], v[33:34]
	v_mov_b32_dpp v25, v9 row_shr:8 row_mask:0xf bank_mask:0xc
	v_mov_b32_dpp v26, v10 row_shr:8 row_mask:0xf bank_mask:0xc
	;; [unrolled: 1-line block ×16, first 2 shown]
	v_cmp_eq_u32_e32 vcc, 15, v0
	s_and_b64 exec, exec, vcc
	s_cbranch_execz .LBB147_8
; %bb.38:
	v_add_f64 v[11:12], v[11:12], v[23:24]
	v_add_f64 v[23:24], v[13:14], v[19:20]
	;; [unrolled: 1-line block ×8, first 2 shown]
	v_mul_f64 v[19:20], v[11:12], -v[7:8]
	v_mul_f64 v[11:12], v[5:6], v[11:12]
	v_mul_f64 v[29:30], v[13:14], -v[7:8]
	v_mul_f64 v[31:32], v[5:6], v[13:14]
	;; [unrolled: 2-line block ×4, first 2 shown]
	v_cmp_eq_f64_e32 vcc, 0, v[1:2]
	v_cmp_eq_f64_e64 s[0:1], 0, v[3:4]
	v_fma_f64 v[17:18], v[5:6], v[9:10], v[19:20]
	v_fma_f64 v[19:20], v[7:8], v[9:10], v[11:12]
	;; [unrolled: 1-line block ×8, first 2 shown]
	s_load_dwordx2 s[2:3], s[4:5], 0x68
	v_lshlrev_b64 v[21:22], 6, v[21:22]
	s_and_b64 s[0:1], vcc, s[0:1]
	s_and_saveexec_b64 s[4:5], s[0:1]
	s_xor_b64 s[0:1], exec, s[4:5]
	s_cbranch_execz .LBB147_40
; %bb.39:
	s_waitcnt lgkmcnt(0)
	v_mov_b32_e32 v1, s3
	v_add_co_u32_e32 v0, vcc, s2, v21
	v_addc_co_u32_e32 v1, vcc, v1, v22, vcc
	global_store_dwordx4 v[0:1], v[17:20], off
	global_store_dwordx4 v[0:1], v[13:16], off offset:16
	global_store_dwordx4 v[0:1], v[9:12], off offset:32
	;; [unrolled: 1-line block ×3, first 2 shown]
                                        ; implicit-def: $vgpr3_vgpr4
                                        ; implicit-def: $vgpr17_vgpr18
                                        ; implicit-def: $vgpr21_vgpr22
                                        ; implicit-def: $vgpr13_vgpr14
                                        ; implicit-def: $vgpr9_vgpr10
                                        ; implicit-def: $vgpr5_vgpr6
.LBB147_40:
	s_andn2_saveexec_b64 s[0:1], s[0:1]
	s_cbranch_execz .LBB147_8
; %bb.41:
	s_waitcnt lgkmcnt(0)
	v_mov_b32_e32 v0, s3
	v_add_co_u32_e32 v37, vcc, s2, v21
	v_addc_co_u32_e32 v38, vcc, v0, v22, vcc
	global_load_dwordx4 v[21:24], v[37:38], off
	global_load_dwordx4 v[25:28], v[37:38], off offset:16
	global_load_dwordx4 v[29:32], v[37:38], off offset:32
	;; [unrolled: 1-line block ×3, first 2 shown]
	s_waitcnt vmcnt(3)
	v_fma_f64 v[17:18], v[1:2], v[21:22], v[17:18]
	v_fma_f64 v[19:20], v[3:4], v[21:22], v[19:20]
	s_waitcnt vmcnt(2)
	v_fma_f64 v[13:14], v[1:2], v[25:26], v[13:14]
	v_fma_f64 v[15:16], v[3:4], v[25:26], v[15:16]
	s_waitcnt vmcnt(1)
	v_fma_f64 v[21:22], v[1:2], v[29:30], v[9:10]
	v_fma_f64 v[25:26], v[3:4], v[29:30], v[11:12]
	s_waitcnt vmcnt(0)
	v_fma_f64 v[29:30], v[1:2], v[33:34], v[5:6]
	v_fma_f64 v[33:34], v[3:4], v[33:34], v[7:8]
	v_fma_f64 v[5:6], -v[3:4], v[23:24], v[17:18]
	v_fma_f64 v[7:8], v[1:2], v[23:24], v[19:20]
	v_fma_f64 v[9:10], -v[3:4], v[27:28], v[13:14]
	v_fma_f64 v[11:12], v[1:2], v[27:28], v[15:16]
	;; [unrolled: 2-line block ×4, first 2 shown]
	global_store_dwordx4 v[37:38], v[5:8], off
	global_store_dwordx4 v[37:38], v[9:12], off offset:16
	global_store_dwordx4 v[37:38], v[13:16], off offset:32
	;; [unrolled: 1-line block ×3, first 2 shown]
	s_endpgm
	.section	.rodata,"a",@progbits
	.p2align	6, 0x0
	.amdhsa_kernel _ZN9rocsparseL18bsrxmvn_4x4_kernelILj128ELj16E21rocsparse_complex_numIdElldS2_S2_EEvT3_20rocsparse_direction_NS_24const_host_device_scalarIT1_EES3_PKS3_PKT2_SC_S9_PKT4_PKT5_S7_PT6_21rocsparse_index_base_b
		.amdhsa_group_segment_fixed_size 0
		.amdhsa_private_segment_fixed_size 0
		.amdhsa_kernarg_size 120
		.amdhsa_user_sgpr_count 6
		.amdhsa_user_sgpr_private_segment_buffer 1
		.amdhsa_user_sgpr_dispatch_ptr 0
		.amdhsa_user_sgpr_queue_ptr 0
		.amdhsa_user_sgpr_kernarg_segment_ptr 1
		.amdhsa_user_sgpr_dispatch_id 0
		.amdhsa_user_sgpr_flat_scratch_init 0
		.amdhsa_user_sgpr_private_segment_size 0
		.amdhsa_uses_dynamic_stack 0
		.amdhsa_system_sgpr_private_segment_wavefront_offset 0
		.amdhsa_system_sgpr_workgroup_id_x 1
		.amdhsa_system_sgpr_workgroup_id_y 0
		.amdhsa_system_sgpr_workgroup_id_z 0
		.amdhsa_system_sgpr_workgroup_info 0
		.amdhsa_system_vgpr_workitem_id 0
		.amdhsa_next_free_vgpr 88
		.amdhsa_next_free_sgpr 21
		.amdhsa_reserve_vcc 1
		.amdhsa_reserve_flat_scratch 0
		.amdhsa_float_round_mode_32 0
		.amdhsa_float_round_mode_16_64 0
		.amdhsa_float_denorm_mode_32 3
		.amdhsa_float_denorm_mode_16_64 3
		.amdhsa_dx10_clamp 1
		.amdhsa_ieee_mode 1
		.amdhsa_fp16_overflow 0
		.amdhsa_exception_fp_ieee_invalid_op 0
		.amdhsa_exception_fp_denorm_src 0
		.amdhsa_exception_fp_ieee_div_zero 0
		.amdhsa_exception_fp_ieee_overflow 0
		.amdhsa_exception_fp_ieee_underflow 0
		.amdhsa_exception_fp_ieee_inexact 0
		.amdhsa_exception_int_div_zero 0
	.end_amdhsa_kernel
	.section	.text._ZN9rocsparseL18bsrxmvn_4x4_kernelILj128ELj16E21rocsparse_complex_numIdElldS2_S2_EEvT3_20rocsparse_direction_NS_24const_host_device_scalarIT1_EES3_PKS3_PKT2_SC_S9_PKT4_PKT5_S7_PT6_21rocsparse_index_base_b,"axG",@progbits,_ZN9rocsparseL18bsrxmvn_4x4_kernelILj128ELj16E21rocsparse_complex_numIdElldS2_S2_EEvT3_20rocsparse_direction_NS_24const_host_device_scalarIT1_EES3_PKS3_PKT2_SC_S9_PKT4_PKT5_S7_PT6_21rocsparse_index_base_b,comdat
.Lfunc_end147:
	.size	_ZN9rocsparseL18bsrxmvn_4x4_kernelILj128ELj16E21rocsparse_complex_numIdElldS2_S2_EEvT3_20rocsparse_direction_NS_24const_host_device_scalarIT1_EES3_PKS3_PKT2_SC_S9_PKT4_PKT5_S7_PT6_21rocsparse_index_base_b, .Lfunc_end147-_ZN9rocsparseL18bsrxmvn_4x4_kernelILj128ELj16E21rocsparse_complex_numIdElldS2_S2_EEvT3_20rocsparse_direction_NS_24const_host_device_scalarIT1_EES3_PKS3_PKT2_SC_S9_PKT4_PKT5_S7_PT6_21rocsparse_index_base_b
                                        ; -- End function
	.set _ZN9rocsparseL18bsrxmvn_4x4_kernelILj128ELj16E21rocsparse_complex_numIdElldS2_S2_EEvT3_20rocsparse_direction_NS_24const_host_device_scalarIT1_EES3_PKS3_PKT2_SC_S9_PKT4_PKT5_S7_PT6_21rocsparse_index_base_b.num_vgpr, 88
	.set _ZN9rocsparseL18bsrxmvn_4x4_kernelILj128ELj16E21rocsparse_complex_numIdElldS2_S2_EEvT3_20rocsparse_direction_NS_24const_host_device_scalarIT1_EES3_PKS3_PKT2_SC_S9_PKT4_PKT5_S7_PT6_21rocsparse_index_base_b.num_agpr, 0
	.set _ZN9rocsparseL18bsrxmvn_4x4_kernelILj128ELj16E21rocsparse_complex_numIdElldS2_S2_EEvT3_20rocsparse_direction_NS_24const_host_device_scalarIT1_EES3_PKS3_PKT2_SC_S9_PKT4_PKT5_S7_PT6_21rocsparse_index_base_b.numbered_sgpr, 21
	.set _ZN9rocsparseL18bsrxmvn_4x4_kernelILj128ELj16E21rocsparse_complex_numIdElldS2_S2_EEvT3_20rocsparse_direction_NS_24const_host_device_scalarIT1_EES3_PKS3_PKT2_SC_S9_PKT4_PKT5_S7_PT6_21rocsparse_index_base_b.num_named_barrier, 0
	.set _ZN9rocsparseL18bsrxmvn_4x4_kernelILj128ELj16E21rocsparse_complex_numIdElldS2_S2_EEvT3_20rocsparse_direction_NS_24const_host_device_scalarIT1_EES3_PKS3_PKT2_SC_S9_PKT4_PKT5_S7_PT6_21rocsparse_index_base_b.private_seg_size, 0
	.set _ZN9rocsparseL18bsrxmvn_4x4_kernelILj128ELj16E21rocsparse_complex_numIdElldS2_S2_EEvT3_20rocsparse_direction_NS_24const_host_device_scalarIT1_EES3_PKS3_PKT2_SC_S9_PKT4_PKT5_S7_PT6_21rocsparse_index_base_b.uses_vcc, 1
	.set _ZN9rocsparseL18bsrxmvn_4x4_kernelILj128ELj16E21rocsparse_complex_numIdElldS2_S2_EEvT3_20rocsparse_direction_NS_24const_host_device_scalarIT1_EES3_PKS3_PKT2_SC_S9_PKT4_PKT5_S7_PT6_21rocsparse_index_base_b.uses_flat_scratch, 0
	.set _ZN9rocsparseL18bsrxmvn_4x4_kernelILj128ELj16E21rocsparse_complex_numIdElldS2_S2_EEvT3_20rocsparse_direction_NS_24const_host_device_scalarIT1_EES3_PKS3_PKT2_SC_S9_PKT4_PKT5_S7_PT6_21rocsparse_index_base_b.has_dyn_sized_stack, 0
	.set _ZN9rocsparseL18bsrxmvn_4x4_kernelILj128ELj16E21rocsparse_complex_numIdElldS2_S2_EEvT3_20rocsparse_direction_NS_24const_host_device_scalarIT1_EES3_PKS3_PKT2_SC_S9_PKT4_PKT5_S7_PT6_21rocsparse_index_base_b.has_recursion, 0
	.set _ZN9rocsparseL18bsrxmvn_4x4_kernelILj128ELj16E21rocsparse_complex_numIdElldS2_S2_EEvT3_20rocsparse_direction_NS_24const_host_device_scalarIT1_EES3_PKS3_PKT2_SC_S9_PKT4_PKT5_S7_PT6_21rocsparse_index_base_b.has_indirect_call, 0
	.section	.AMDGPU.csdata,"",@progbits
; Kernel info:
; codeLenInByte = 9468
; TotalNumSgprs: 25
; NumVgprs: 88
; ScratchSize: 0
; MemoryBound: 0
; FloatMode: 240
; IeeeMode: 1
; LDSByteSize: 0 bytes/workgroup (compile time only)
; SGPRBlocks: 3
; VGPRBlocks: 21
; NumSGPRsForWavesPerEU: 25
; NumVGPRsForWavesPerEU: 88
; Occupancy: 2
; WaveLimiterHint : 1
; COMPUTE_PGM_RSRC2:SCRATCH_EN: 0
; COMPUTE_PGM_RSRC2:USER_SGPR: 6
; COMPUTE_PGM_RSRC2:TRAP_HANDLER: 0
; COMPUTE_PGM_RSRC2:TGID_X_EN: 1
; COMPUTE_PGM_RSRC2:TGID_Y_EN: 0
; COMPUTE_PGM_RSRC2:TGID_Z_EN: 0
; COMPUTE_PGM_RSRC2:TIDIG_COMP_CNT: 0
	.section	.text._ZN9rocsparseL18bsrxmvn_4x4_kernelILj128ELj32E21rocsparse_complex_numIdElldS2_S2_EEvT3_20rocsparse_direction_NS_24const_host_device_scalarIT1_EES3_PKS3_PKT2_SC_S9_PKT4_PKT5_S7_PT6_21rocsparse_index_base_b,"axG",@progbits,_ZN9rocsparseL18bsrxmvn_4x4_kernelILj128ELj32E21rocsparse_complex_numIdElldS2_S2_EEvT3_20rocsparse_direction_NS_24const_host_device_scalarIT1_EES3_PKS3_PKT2_SC_S9_PKT4_PKT5_S7_PT6_21rocsparse_index_base_b,comdat
	.globl	_ZN9rocsparseL18bsrxmvn_4x4_kernelILj128ELj32E21rocsparse_complex_numIdElldS2_S2_EEvT3_20rocsparse_direction_NS_24const_host_device_scalarIT1_EES3_PKS3_PKT2_SC_S9_PKT4_PKT5_S7_PT6_21rocsparse_index_base_b ; -- Begin function _ZN9rocsparseL18bsrxmvn_4x4_kernelILj128ELj32E21rocsparse_complex_numIdElldS2_S2_EEvT3_20rocsparse_direction_NS_24const_host_device_scalarIT1_EES3_PKS3_PKT2_SC_S9_PKT4_PKT5_S7_PT6_21rocsparse_index_base_b
	.p2align	8
	.type	_ZN9rocsparseL18bsrxmvn_4x4_kernelILj128ELj32E21rocsparse_complex_numIdElldS2_S2_EEvT3_20rocsparse_direction_NS_24const_host_device_scalarIT1_EES3_PKS3_PKT2_SC_S9_PKT4_PKT5_S7_PT6_21rocsparse_index_base_b,@function
_ZN9rocsparseL18bsrxmvn_4x4_kernelILj128ELj32E21rocsparse_complex_numIdElldS2_S2_EEvT3_20rocsparse_direction_NS_24const_host_device_scalarIT1_EES3_PKS3_PKT2_SC_S9_PKT4_PKT5_S7_PT6_21rocsparse_index_base_b: ; @_ZN9rocsparseL18bsrxmvn_4x4_kernelILj128ELj32E21rocsparse_complex_numIdElldS2_S2_EEvT3_20rocsparse_direction_NS_24const_host_device_scalarIT1_EES3_PKS3_PKT2_SC_S9_PKT4_PKT5_S7_PT6_21rocsparse_index_base_b
; %bb.0:
	s_load_dwordx2 s[0:1], s[4:5], 0x10
	s_load_dwordx2 s[2:3], s[4:5], 0x70
	s_add_u32 s7, s4, 16
	s_addc_u32 s10, s5, 0
	s_add_u32 s11, s4, 0x58
	s_addc_u32 s12, s5, 0
	s_waitcnt lgkmcnt(0)
	s_bitcmp1_b32 s3, 0
	s_cselect_b32 s1, s10, s1
	s_cselect_b32 s0, s7, s0
	v_mov_b32_e32 v1, s0
	v_mov_b32_e32 v2, s1
	flat_load_dwordx4 v[5:8], v[1:2]
	s_load_dwordx2 s[8:9], s[4:5], 0x58
	s_waitcnt lgkmcnt(0)
	s_cselect_b32 s0, s12, s9
	s_cselect_b32 s1, s11, s8
	v_mov_b32_e32 v1, s1
	v_mov_b32_e32 v2, s0
	flat_load_dwordx4 v[1:4], v[1:2]
	s_waitcnt vmcnt(0)
	v_cmp_eq_f64_e32 vcc, 0, v[5:6]
	v_cmp_eq_f64_e64 s[0:1], 0, v[7:8]
	s_and_b64 s[10:11], vcc, s[0:1]
	s_mov_b64 s[0:1], -1
	s_and_saveexec_b64 s[8:9], s[10:11]
	s_cbranch_execz .LBB148_2
; %bb.1:
	s_waitcnt lgkmcnt(0)
	v_cmp_neq_f64_e32 vcc, 1.0, v[1:2]
	v_cmp_neq_f64_e64 s[0:1], 0, v[3:4]
	s_or_b64 s[0:1], vcc, s[0:1]
	s_orn2_b64 s[0:1], s[0:1], exec
.LBB148_2:
	s_or_b64 exec, exec, s[8:9]
	s_and_saveexec_b64 s[8:9], s[0:1]
	s_cbranch_execz .LBB148_8
; %bb.3:
	s_load_dwordx2 s[8:9], s[4:5], 0x28
	v_lshrrev_b32_e32 v9, 5, v0
	v_lshl_or_b32 v11, s6, 2, v9
	v_mov_b32_e32 v12, 0
	s_mov_b64 s[0:1], 0
	s_waitcnt lgkmcnt(0)
	s_cmp_lg_u64 s[8:9], 0
	s_cbranch_scc0 .LBB148_9
; %bb.4:
	s_load_dwordx2 s[6:7], s[4:5], 0x20
                                        ; implicit-def: $vgpr21_vgpr22
                                        ; implicit-def: $vgpr9_vgpr10
	s_waitcnt lgkmcnt(0)
	v_cmp_gt_i64_e32 vcc, s[6:7], v[11:12]
	s_and_saveexec_b64 s[6:7], vcc
	s_xor_b64 s[6:7], exec, s[6:7]
	s_cbranch_execz .LBB148_6
; %bb.5:
	v_lshlrev_b64 v[9:10], 3, v[11:12]
	v_mov_b32_e32 v13, s9
	v_add_co_u32_e32 v9, vcc, s8, v9
	v_addc_co_u32_e32 v10, vcc, v13, v10, vcc
	global_load_dwordx2 v[9:10], v[9:10], off
	s_mov_b32 s3, 0
	s_mov_b64 s[0:1], exec
	s_waitcnt vmcnt(0)
	v_subrev_co_u32_e32 v21, vcc, s2, v9
	v_subbrev_co_u32_e32 v22, vcc, 0, v10, vcc
	v_mov_b32_e32 v10, s3
	v_mov_b32_e32 v9, s2
.LBB148_6:
	s_or_b64 exec, exec, s[6:7]
.LBB148_7:
	s_and_b64 exec, exec, s[0:1]
	s_cbranch_execnz .LBB148_13
.LBB148_8:
	s_endpgm
.LBB148_9:
                                        ; implicit-def: $vgpr21_vgpr22
                                        ; implicit-def: $vgpr9_vgpr10
	s_cbranch_execz .LBB148_7
; %bb.10:
	s_load_dwordx2 s[6:7], s[4:5], 0x0
	s_waitcnt lgkmcnt(0)
	v_cmp_gt_i64_e32 vcc, s[6:7], v[11:12]
	s_and_saveexec_b64 s[6:7], vcc
; %bb.11:
	s_mov_b32 s3, 0
	s_or_b64 s[0:1], s[0:1], exec
; %bb.12:
	s_or_b64 exec, exec, s[6:7]
	v_mov_b32_e32 v10, s3
	v_mov_b32_e32 v22, v12
	;; [unrolled: 1-line block ×4, first 2 shown]
	s_and_b64 exec, exec, s[0:1]
	s_cbranch_execz .LBB148_8
.LBB148_13:
	s_load_dwordx8 s[8:15], s[4:5], 0x30
	v_lshlrev_b64 v[11:12], 3, v[21:22]
	v_and_b32_e32 v0, 31, v0
	s_waitcnt lgkmcnt(0)
	v_mov_b32_e32 v14, s9
	v_add_co_u32_e32 v13, vcc, s8, v11
	v_addc_co_u32_e32 v14, vcc, v14, v12, vcc
	global_load_dwordx2 v[17:18], v[13:14], off
	v_add_co_u32_e32 v13, vcc, 8, v13
	v_addc_co_u32_e32 v14, vcc, 0, v14, vcc
	v_mov_b32_e32 v15, s11
	v_add_co_u32_e32 v11, vcc, s10, v11
	s_cmp_eq_u64 s[10:11], 0
	v_addc_co_u32_e32 v12, vcc, v15, v12, vcc
	s_cselect_b64 vcc, -1, 0
	v_cndmask_b32_e32 v12, v12, v14, vcc
	v_cndmask_b32_e32 v11, v11, v13, vcc
	global_load_dwordx2 v[13:14], v[11:12], off
	s_load_dword s0, s[4:5], 0x8
	s_load_dwordx2 s[8:9], s[4:5], 0x50
	v_mov_b32_e32 v19, s15
	s_waitcnt lgkmcnt(0)
	s_cmp_eq_u32 s0, 1
	s_waitcnt vmcnt(1)
	v_sub_co_u32_e32 v11, vcc, v17, v9
	v_subb_co_u32_e32 v12, vcc, v18, v10, vcc
	v_add_co_u32_e32 v11, vcc, v11, v0
	v_addc_co_u32_e32 v12, vcc, 0, v12, vcc
	v_lshlrev_b64 v[15:16], 7, v[11:12]
	s_waitcnt vmcnt(0)
	v_sub_co_u32_e32 v13, vcc, v13, v9
	v_subb_co_u32_e32 v14, vcc, v14, v10, vcc
	v_cmp_lt_i64_e64 s[0:1], v[11:12], v[13:14]
	v_add_co_u32_e32 v15, vcc, s14, v15
	v_addc_co_u32_e32 v16, vcc, v19, v16, vcc
	s_cbranch_scc1 .LBB148_25
; %bb.14:
	v_mov_b32_e32 v37, 0
	v_mov_b32_e32 v41, 0
	;; [unrolled: 1-line block ×16, first 2 shown]
	s_and_saveexec_b64 s[10:11], s[0:1]
	s_cbranch_execz .LBB148_24
; %bb.15:
	v_or_b32_e32 v19, 32, v0
	v_sub_co_u32_e32 v19, vcc, v19, v9
	v_subb_co_u32_e32 v20, vcc, 0, v10, vcc
	v_add_co_u32_e32 v19, vcc, v19, v17
	v_addc_co_u32_e32 v20, vcc, v20, v18, vcc
	v_cmp_gt_i64_e32 vcc, v[19:20], v[13:14]
	v_not_b32_e32 v24, v17
	v_cndmask_b32_e32 v20, v14, v20, vcc
	v_cndmask_b32_e32 v19, v13, v19, vcc
	v_sub_co_u32_e32 v25, vcc, v9, v0
	v_subbrev_co_u32_e32 v26, vcc, 0, v10, vcc
	v_not_b32_e32 v23, v18
	v_add_co_u32_e32 v24, vcc, v25, v24
	v_addc_co_u32_e32 v23, vcc, v26, v23, vcc
	v_add_co_u32_e32 v25, vcc, v24, v19
	v_addc_co_u32_e32 v26, vcc, v23, v20, vcc
	v_and_b32_e32 v19, 0x60, v25
	v_mov_b32_e32 v20, 0
	s_mov_b64 s[2:3], 0x60
	v_cmp_ne_u64_e32 vcc, s[2:3], v[19:20]
	v_mov_b32_e32 v29, 0
	v_mov_b32_e32 v27, 0
	;; [unrolled: 1-line block ×20, first 2 shown]
	s_and_saveexec_b64 s[14:15], vcc
	s_cbranch_execz .LBB148_19
; %bb.16:
	v_lshrrev_b32_e32 v19, 5, v25
	v_add_u32_e32 v19, 1, v19
	v_and_b32_e32 v23, 3, v19
	v_lshlrev_b64 v[19:20], 3, v[11:12]
	v_mov_b32_e32 v24, s13
	v_add_co_u32_e32 v43, vcc, s12, v19
	v_addc_co_u32_e32 v44, vcc, v24, v20, vcc
	v_sub_co_u32_e32 v45, vcc, 0, v23
	v_mov_b32_e32 v37, 0
	s_mov_b32 s18, 0
	v_mov_b32_e32 v20, v12
	v_mov_b32_e32 v41, 0
	v_mov_b32_e32 v31, 0
	v_mov_b32_e32 v35, 0
	v_mov_b32_e32 v33, 0
	v_mov_b32_e32 v39, 0
	v_mov_b32_e32 v27, 0
	v_mov_b32_e32 v29, 0
	v_mov_b32_e32 v24, v16
	s_mov_b64 s[16:17], 0
	v_subb_co_u32_e64 v46, s[2:3], 0, 0, vcc
	v_mov_b32_e32 v38, 0
	s_brev_b32 s19, 1
	s_movk_i32 s20, 0x1000
	v_mov_b32_e32 v19, v11
	v_mov_b32_e32 v42, 0
	;; [unrolled: 1-line block ×9, first 2 shown]
.LBB148_17:                             ; =>This Inner Loop Header: Depth=1
	global_load_dwordx2 v[67:68], v[43:44], off
	global_load_dwordx4 v[47:50], v[23:24], off offset:32
	global_load_dwordx4 v[51:54], v[23:24], off
	v_mov_b32_e32 v69, s9
	global_load_dwordx4 v[55:58], v[23:24], off offset:64
	global_load_dwordx4 v[59:62], v[23:24], off offset:96
	;; [unrolled: 1-line block ×3, first 2 shown]
	v_add_co_u32_e64 v45, s[6:7], 1, v45
	s_waitcnt vmcnt(5)
	v_sub_co_u32_e32 v67, vcc, v67, v9
	v_subb_co_u32_e32 v68, vcc, v68, v10, vcc
	v_lshlrev_b64 v[67:68], 6, v[67:68]
	v_add_co_u32_e32 v71, vcc, s8, v67
	v_addc_co_u32_e32 v72, vcc, v69, v68, vcc
	global_load_dwordx4 v[67:70], v[71:72], off
	s_waitcnt vmcnt(0)
	v_fma_f64 v[37:38], v[67:68], 0, v[37:38]
	v_fma_f64 v[33:34], v[67:68], 0, v[33:34]
	;; [unrolled: 1-line block ×12, first 2 shown]
	global_load_dwordx4 v[27:30], v[71:72], off offset:16
	v_fma_f64 v[41:42], v[69:70], s[18:19], v[41:42]
	v_fma_f64 v[35:36], v[69:70], s[18:19], v[35:36]
	;; [unrolled: 1-line block ×4, first 2 shown]
	s_waitcnt vmcnt(0)
	v_fma_f64 v[69:70], v[49:50], v[27:28], v[35:36]
	v_fma_f64 v[35:36], v[27:28], 0, v[51:52]
	;; [unrolled: 1-line block ×9, first 2 shown]
	global_load_dwordx4 v[31:34], v[23:24], off offset:16
	v_fma_f64 v[73:74], v[49:50], v[29:30], v[37:38]
	global_load_dwordx4 v[47:50], v[23:24], off offset:80
	global_load_dwordx4 v[51:54], v[23:24], off offset:112
	v_fma_f64 v[27:28], v[61:62], v[27:28], v[55:56]
	global_load_dwordx4 v[55:58], v[71:72], off offset:48
	v_fma_f64 v[59:60], v[61:62], v[29:30], v[35:36]
	;; [unrolled: 2-line block ×3, first 2 shown]
	v_fma_f64 v[61:62], v[29:30], s[18:19], v[69:70]
	v_fma_f64 v[39:40], v[29:30], s[18:19], v[39:40]
	v_add_co_u32_e32 v23, vcc, s20, v23
	v_fma_f64 v[27:28], v[29:30], s[18:19], v[27:28]
	s_mov_b64 s[2:3], vcc
	v_add_co_u32_e32 v19, vcc, 32, v19
	v_addc_co_u32_e32 v20, vcc, 0, v20, vcc
	v_addc_co_u32_e64 v46, vcc, 0, v46, s[6:7]
	v_cmp_eq_u64_e64 s[6:7], 0, v[45:46]
	v_add_co_u32_e32 v43, vcc, 0x100, v43
	v_addc_co_u32_e64 v24, s[2:3], 0, v24, s[2:3]
	s_or_b64 s[16:17], s[6:7], s[16:17]
	v_addc_co_u32_e32 v44, vcc, 0, v44, vcc
	s_waitcnt vmcnt(0)
	v_fma_f64 v[29:30], v[35:36], 0, v[67:68]
	v_fma_f64 v[41:42], v[31:32], v[35:36], v[41:42]
	;; [unrolled: 1-line block ×32, first 2 shown]
	s_andn2_b64 exec, exec, s[16:17]
	s_cbranch_execnz .LBB148_17
; %bb.18:
	s_or_b64 exec, exec, s[16:17]
.LBB148_19:
	s_or_b64 exec, exec, s[14:15]
	s_mov_b64 s[2:3], 0x5f
	v_cmp_lt_u64_e32 vcc, s[2:3], v[25:26]
	s_and_saveexec_b64 s[6:7], vcc
	s_cbranch_execz .LBB148_23
; %bb.20:
	v_lshlrev_b64 v[25:26], 3, v[19:20]
	v_mov_b32_e32 v43, s13
	v_add_co_u32_e32 v25, vcc, s12, v25
	v_addc_co_u32_e32 v26, vcc, v43, v26, vcc
	v_add_co_u32_e32 v25, vcc, 0x200, v25
	s_mov_b32 s16, 0
	v_addc_co_u32_e32 v26, vcc, 0, v26, vcc
	s_mov_b64 s[14:15], 0
	v_mov_b32_e32 v49, s9
	s_brev_b32 s17, 1
	s_movk_i32 s18, 0x1000
	s_movk_i32 s19, 0x2000
	;; [unrolled: 1-line block ×3, first 2 shown]
.LBB148_21:                             ; =>This Inner Loop Header: Depth=1
	global_load_dwordx2 v[43:44], v[25:26], off offset:-512
	s_waitcnt vmcnt(0)
	v_sub_co_u32_e32 v47, vcc, v43, v9
	v_subb_co_u32_e32 v48, vcc, v44, v10, vcc
	v_lshlrev_b64 v[47:48], 6, v[47:48]
	global_load_dwordx4 v[43:46], v[23:24], off offset:48
	global_load_dwordx4 v[50:53], v[23:24], off offset:32
	;; [unrolled: 1-line block ×3, first 2 shown]
	global_load_dwordx4 v[58:61], v[23:24], off
	v_add_co_u32_e32 v47, vcc, s8, v47
	v_addc_co_u32_e32 v48, vcc, v49, v48, vcc
	global_load_dwordx4 v[62:65], v[47:48], off offset:48
	global_load_dwordx4 v[66:69], v[47:48], off offset:32
	;; [unrolled: 1-line block ×3, first 2 shown]
	global_load_dwordx4 v[74:77], v[47:48], off
	s_waitcnt vmcnt(0)
	v_fma_f64 v[41:42], v[58:59], v[74:75], v[41:42]
	v_fma_f64 v[37:38], v[74:75], 0, v[37:38]
	;; [unrolled: 1-line block ×34, first 2 shown]
	global_load_dwordx4 v[35:38], v[23:24], off offset:112
	global_load_dwordx4 v[41:44], v[23:24], off offset:96
	;; [unrolled: 1-line block ×4, first 2 shown]
	s_waitcnt vmcnt(2)
	v_fma_f64 v[29:30], v[41:42], v[74:75], v[29:30]
	v_fma_f64 v[27:28], v[41:42], v[76:77], v[27:28]
	s_waitcnt vmcnt(0)
	v_fma_f64 v[31:32], v[50:51], v[74:75], v[39:40]
	v_fma_f64 v[33:34], v[50:51], v[76:77], v[33:34]
	;; [unrolled: 1-line block ×27, first 2 shown]
	global_load_dwordx2 v[27:28], v[25:26], off offset:-256
	v_fma_f64 v[47:48], v[47:48], v[64:65], v[31:32]
	v_add_co_u32_e32 v64, vcc, s18, v23
	v_addc_co_u32_e32 v65, vcc, 0, v24, vcc
	s_waitcnt vmcnt(0)
	v_sub_co_u32_e32 v43, vcc, v27, v9
	v_subb_co_u32_e32 v44, vcc, v28, v10, vcc
	v_add_co_u32_e32 v70, vcc, s19, v23
	v_lshlrev_b64 v[43:44], 6, v[43:44]
	v_addc_co_u32_e32 v71, vcc, 0, v24, vcc
	v_add_co_u32_e32 v68, vcc, s8, v43
	v_addc_co_u32_e32 v69, vcc, v49, v44, vcc
	global_load_dwordx4 v[27:30], v[70:71], off offset:-4096
	global_load_dwordx4 v[31:34], v[64:65], off offset:48
	global_load_dwordx4 v[35:38], v[64:65], off offset:32
	;; [unrolled: 1-line block ×6, first 2 shown]
	global_load_dwordx4 v[58:61], v[68:69], off
	s_waitcnt vmcnt(0)
	v_fma_f64 v[72:73], v[58:59], 0, v[80:81]
	v_fma_f64 v[68:69], v[27:28], v[58:59], v[78:79]
	;; [unrolled: 1-line block ×33, first 2 shown]
	global_load_dwordx4 v[27:30], v[64:65], off offset:112
	global_load_dwordx4 v[31:34], v[64:65], off offset:96
	;; [unrolled: 1-line block ×4, first 2 shown]
	s_waitcnt vmcnt(0)
	v_fma_f64 v[64:65], v[39:40], v[58:59], v[86:87]
	v_fma_f64 v[39:40], v[39:40], v[60:61], v[47:48]
	;; [unrolled: 1-line block ×30, first 2 shown]
	global_load_dwordx2 v[27:28], v[25:26], off
	v_fma_f64 v[82:83], v[45:46], s[16:17], v[31:32]
	s_waitcnt vmcnt(0)
	v_sub_co_u32_e32 v43, vcc, v27, v9
	v_subb_co_u32_e32 v44, vcc, v28, v10, vcc
	v_lshlrev_b64 v[43:44], 6, v[43:44]
	global_load_dwordx4 v[27:30], v[70:71], off
	global_load_dwordx4 v[35:38], v[70:71], off offset:48
	global_load_dwordx4 v[39:42], v[70:71], off offset:32
	;; [unrolled: 1-line block ×3, first 2 shown]
	v_add_co_u32_e32 v43, vcc, s8, v43
	v_addc_co_u32_e32 v44, vcc, v49, v44, vcc
	global_load_dwordx4 v[45:48], v[43:44], off offset:48
	global_load_dwordx4 v[50:53], v[43:44], off offset:32
	;; [unrolled: 1-line block ×3, first 2 shown]
	global_load_dwordx4 v[58:61], v[43:44], off
	s_waitcnt vmcnt(0)
	v_fma_f64 v[62:63], v[58:59], 0, v[72:73]
	v_fma_f64 v[43:44], v[27:28], v[58:59], v[68:69]
	;; [unrolled: 1-line block ×32, first 2 shown]
	global_load_dwordx4 v[62:65], v[70:71], off offset:112
	global_load_dwordx4 v[41:44], v[70:71], off offset:96
	global_load_dwordx4 v[27:30], v[70:71], off offset:80
	global_load_dwordx4 v[66:69], v[70:71], off offset:64
	v_fma_f64 v[70:71], v[58:59], 0, v[80:81]
	s_waitcnt vmcnt(0)
	v_fma_f64 v[37:38], v[66:67], v[58:59], v[78:79]
	v_fma_f64 v[66:67], v[66:67], v[60:61], v[70:71]
	;; [unrolled: 1-line block ×31, first 2 shown]
	global_load_dwordx2 v[37:38], v[25:26], off offset:256
	s_waitcnt vmcnt(0)
	v_sub_co_u32_e32 v37, vcc, v37, v9
	v_subb_co_u32_e32 v38, vcc, v38, v10, vcc
	v_add_co_u32_e32 v47, vcc, s20, v23
	v_lshlrev_b64 v[37:38], 6, v[37:38]
	v_addc_co_u32_e32 v48, vcc, 0, v24, vcc
	v_add_co_u32_e32 v37, vcc, s8, v37
	v_addc_co_u32_e32 v38, vcc, v49, v38, vcc
	global_load_dwordx4 v[50:53], v[47:48], off
	global_load_dwordx4 v[54:57], v[47:48], off offset:48
	global_load_dwordx4 v[58:61], v[47:48], off offset:32
	;; [unrolled: 1-line block ×6, first 2 shown]
	global_load_dwordx4 v[78:81], v[37:38], off
	v_add_co_u32_e32 v19, vcc, 0x80, v19
	v_addc_co_u32_e32 v20, vcc, 0, v20, vcc
	v_add_co_u32_e32 v25, vcc, 0x400, v25
	v_addc_co_u32_e32 v26, vcc, 0, v26, vcc
	v_cmp_ge_i64_e64 s[2:3], v[19:20], v[13:14]
	v_add_co_u32_e32 v23, vcc, 0x4000, v23
	v_addc_co_u32_e32 v24, vcc, 0, v24, vcc
	s_or_b64 s[14:15], s[2:3], s[14:15]
	s_waitcnt vmcnt(0)
	v_fma_f64 v[31:32], v[50:51], v[78:79], v[31:32]
	v_fma_f64 v[33:34], v[78:79], 0, v[33:34]
	;; [unrolled: 1-line block ×33, first 2 shown]
	global_load_dwordx4 v[50:53], v[47:48], off offset:112
	global_load_dwordx4 v[54:57], v[47:48], off offset:96
	;; [unrolled: 1-line block ×4, first 2 shown]
	s_waitcnt vmcnt(0)
	v_fma_f64 v[27:28], v[62:63], v[78:79], v[27:28]
	v_fma_f64 v[29:30], v[62:63], v[80:81], v[29:30]
	;; [unrolled: 1-line block ×31, first 2 shown]
	s_andn2_b64 exec, exec, s[14:15]
	s_cbranch_execnz .LBB148_21
; %bb.22:
	s_or_b64 exec, exec, s[14:15]
.LBB148_23:
	s_or_b64 exec, exec, s[6:7]
.LBB148_24:
	s_or_b64 exec, exec, s[10:11]
	s_cbranch_execz .LBB148_26
	s_branch .LBB148_37
.LBB148_25:
                                        ; implicit-def: $vgpr37_vgpr38
                                        ; implicit-def: $vgpr41_vgpr42
                                        ; implicit-def: $vgpr31_vgpr32
                                        ; implicit-def: $vgpr35_vgpr36
                                        ; implicit-def: $vgpr33_vgpr34
                                        ; implicit-def: $vgpr39_vgpr40
                                        ; implicit-def: $vgpr27_vgpr28
                                        ; implicit-def: $vgpr29_vgpr30
.LBB148_26:
	v_mov_b32_e32 v37, 0
	v_mov_b32_e32 v41, 0
	;; [unrolled: 1-line block ×16, first 2 shown]
	s_and_saveexec_b64 s[2:3], s[0:1]
	s_cbranch_execz .LBB148_36
; %bb.27:
	v_or_b32_e32 v19, 32, v0
	v_sub_co_u32_e32 v19, vcc, v19, v9
	v_subb_co_u32_e32 v20, vcc, 0, v10, vcc
	v_add_co_u32_e32 v19, vcc, v19, v17
	v_addc_co_u32_e32 v20, vcc, v20, v18, vcc
	v_cmp_gt_i64_e32 vcc, v[19:20], v[13:14]
	v_not_b32_e32 v17, v17
	v_cndmask_b32_e32 v20, v14, v20, vcc
	v_cndmask_b32_e32 v19, v13, v19, vcc
	v_sub_co_u32_e32 v23, vcc, v9, v0
	v_subbrev_co_u32_e32 v24, vcc, 0, v10, vcc
	v_not_b32_e32 v18, v18
	v_add_co_u32_e32 v17, vcc, v23, v17
	v_addc_co_u32_e32 v18, vcc, v24, v18, vcc
	v_add_co_u32_e32 v17, vcc, v17, v19
	v_addc_co_u32_e32 v18, vcc, v18, v20, vcc
	v_and_b32_e32 v19, 0x60, v17
	v_mov_b32_e32 v20, 0
	s_mov_b64 s[0:1], 0x60
	v_cmp_ne_u64_e32 vcc, s[0:1], v[19:20]
	v_mov_b32_e32 v29, 0
	v_mov_b32_e32 v27, 0
	;; [unrolled: 1-line block ×16, first 2 shown]
	s_and_saveexec_b64 s[0:1], vcc
	s_cbranch_execz .LBB148_31
; %bb.28:
	v_lshrrev_b32_e32 v19, 5, v17
	v_add_u32_e32 v19, 1, v19
	v_and_b32_e32 v23, 3, v19
	v_lshlrev_b64 v[19:20], 3, v[11:12]
	v_mov_b32_e32 v24, s13
	v_add_co_u32_e32 v19, vcc, s12, v19
	v_addc_co_u32_e32 v20, vcc, v24, v20, vcc
	v_sub_co_u32_e32 v23, vcc, 0, v23
	v_subb_co_u32_e64 v24, s[10:11], 0, 0, vcc
	v_mov_b32_e32 v37, 0
	s_mov_b32 s10, 0
	v_mov_b32_e32 v41, 0
	v_mov_b32_e32 v31, 0
	;; [unrolled: 1-line block ×7, first 2 shown]
	s_mov_b64 s[6:7], 0
	v_mov_b32_e32 v38, 0
	s_brev_b32 s11, 1
	v_mov_b32_e32 v42, 0
	v_mov_b32_e32 v32, 0
	;; [unrolled: 1-line block ×7, first 2 shown]
	s_movk_i32 s14, 0x1000
.LBB148_29:                             ; =>This Inner Loop Header: Depth=1
	global_load_dwordx2 v[25:26], v[19:20], off
	v_mov_b32_e32 v59, s9
	global_load_dwordx4 v[43:46], v[15:16], off offset:48
	global_load_dwordx4 v[47:50], v[15:16], off offset:32
	;; [unrolled: 1-line block ×3, first 2 shown]
	global_load_dwordx4 v[55:58], v[15:16], off
	s_waitcnt vmcnt(4)
	v_sub_co_u32_e32 v25, vcc, v25, v9
	v_subb_co_u32_e32 v26, vcc, v26, v10, vcc
	v_lshlrev_b64 v[25:26], 6, v[25:26]
	v_add_co_u32_e32 v25, vcc, s8, v25
	v_addc_co_u32_e32 v26, vcc, v59, v26, vcc
	global_load_dwordx4 v[59:62], v[25:26], off offset:48
	global_load_dwordx4 v[63:66], v[25:26], off offset:32
	;; [unrolled: 1-line block ×3, first 2 shown]
	global_load_dwordx4 v[71:74], v[25:26], off
	s_waitcnt vmcnt(0)
	v_fma_f64 v[25:26], v[55:56], v[71:72], v[41:42]
	v_fma_f64 v[37:38], v[71:72], 0, v[37:38]
	;; [unrolled: 1-line block ×35, first 2 shown]
	global_load_dwordx4 v[25:28], v[15:16], off offset:112
	global_load_dwordx4 v[29:32], v[15:16], off offset:96
	;; [unrolled: 1-line block ×4, first 2 shown]
	v_add_co_u32_e32 v15, vcc, s14, v15
	v_addc_co_u32_e32 v16, vcc, 0, v16, vcc
	v_add_co_u32_e32 v11, vcc, 32, v11
	v_fma_f64 v[45:46], v[63:64], 0, v[45:46]
	v_addc_co_u32_e32 v12, vcc, 0, v12, vcc
	v_add_co_u32_e32 v19, vcc, 0x100, v19
	v_addc_co_u32_e32 v20, vcc, 0, v20, vcc
	v_add_co_u32_e32 v23, vcc, 1, v23
	v_addc_co_u32_e32 v24, vcc, 0, v24, vcc
	v_cmp_eq_u64_e32 vcc, 0, v[23:24]
	s_or_b64 s[6:7], vcc, s[6:7]
	s_waitcnt vmcnt(1)
	v_fma_f64 v[45:46], v[35:36], v[65:66], v[45:46]
	s_waitcnt vmcnt(0)
	v_fma_f64 v[41:42], v[37:38], v[63:64], v[41:42]
	v_fma_f64 v[37:38], v[37:38], v[65:66], v[47:48]
	;; [unrolled: 1-line block ×27, first 2 shown]
	s_andn2_b64 exec, exec, s[6:7]
	s_cbranch_execnz .LBB148_29
; %bb.30:
	s_or_b64 exec, exec, s[6:7]
.LBB148_31:
	s_or_b64 exec, exec, s[0:1]
	s_mov_b64 s[0:1], 0x5f
	v_cmp_lt_u64_e32 vcc, s[0:1], v[17:18]
	s_and_saveexec_b64 s[6:7], vcc
	s_cbranch_execz .LBB148_35
; %bb.32:
	v_lshlrev_b64 v[17:18], 3, v[11:12]
	v_mov_b32_e32 v19, s13
	v_add_co_u32_e32 v17, vcc, s12, v17
	v_addc_co_u32_e32 v18, vcc, v19, v18, vcc
	v_add_co_u32_e32 v17, vcc, 0x200, v17
	s_mov_b32 s12, 0
	v_addc_co_u32_e32 v18, vcc, 0, v18, vcc
	s_mov_b64 s[10:11], 0
	v_mov_b32_e32 v43, s9
	s_brev_b32 s13, 1
	s_movk_i32 s9, 0x1000
	s_movk_i32 s14, 0x2000
	;; [unrolled: 1-line block ×3, first 2 shown]
.LBB148_33:                             ; =>This Inner Loop Header: Depth=1
	global_load_dwordx2 v[19:20], v[17:18], off offset:-512
	global_load_dwordx4 v[23:26], v[15:16], off offset:48
	global_load_dwordx4 v[44:47], v[15:16], off offset:32
	;; [unrolled: 1-line block ×3, first 2 shown]
	global_load_dwordx4 v[52:55], v[15:16], off
	s_waitcnt vmcnt(4)
	v_sub_co_u32_e32 v19, vcc, v19, v9
	v_subb_co_u32_e32 v20, vcc, v20, v10, vcc
	v_lshlrev_b64 v[19:20], 6, v[19:20]
	v_add_co_u32_e32 v19, vcc, s8, v19
	v_addc_co_u32_e32 v20, vcc, v43, v20, vcc
	global_load_dwordx4 v[56:59], v[19:20], off offset:48
	global_load_dwordx4 v[60:63], v[19:20], off offset:32
	;; [unrolled: 1-line block ×3, first 2 shown]
	global_load_dwordx4 v[68:71], v[19:20], off
	s_waitcnt vmcnt(0)
	v_fma_f64 v[31:32], v[68:69], 0, v[31:32]
	v_fma_f64 v[35:36], v[54:55], v[68:69], v[35:36]
	;; [unrolled: 1-line block ×33, first 2 shown]
	global_load_dwordx4 v[23:26], v[15:16], off offset:112
	global_load_dwordx4 v[27:30], v[15:16], off offset:96
	;; [unrolled: 1-line block ×4, first 2 shown]
	s_waitcnt vmcnt(1)
	v_fma_f64 v[39:40], v[31:32], v[60:61], v[39:40]
	s_waitcnt vmcnt(0)
	v_fma_f64 v[19:20], v[35:36], v[60:61], v[19:20]
	v_fma_f64 v[35:36], v[35:36], v[62:63], v[41:42]
	;; [unrolled: 1-line block ×30, first 2 shown]
	global_load_dwordx2 v[23:24], v[17:18], off offset:-256
	v_add_co_u32_e32 v58, vcc, s9, v15
	v_addc_co_u32_e32 v59, vcc, 0, v16, vcc
	s_waitcnt vmcnt(0)
	v_sub_co_u32_e32 v39, vcc, v23, v9
	v_subb_co_u32_e32 v40, vcc, v24, v10, vcc
	v_add_co_u32_e32 v72, vcc, s14, v15
	v_lshlrev_b64 v[39:40], 6, v[39:40]
	v_addc_co_u32_e32 v73, vcc, 0, v16, vcc
	v_add_co_u32_e32 v74, vcc, s8, v39
	v_addc_co_u32_e32 v75, vcc, v43, v40, vcc
	global_load_dwordx4 v[23:26], v[72:73], off offset:-4096
	global_load_dwordx4 v[27:30], v[58:59], off offset:48
	global_load_dwordx4 v[31:34], v[58:59], off offset:32
	;; [unrolled: 1-line block ×6, first 2 shown]
	global_load_dwordx4 v[52:55], v[74:75], off
	s_waitcnt vmcnt(0)
	v_fma_f64 v[60:61], v[52:53], 0, v[60:61]
	v_fma_f64 v[19:20], v[23:24], v[52:53], v[19:20]
	;; [unrolled: 1-line block ×32, first 2 shown]
	global_load_dwordx4 v[23:26], v[58:59], off offset:112
	global_load_dwordx4 v[27:30], v[58:59], off offset:96
	;; [unrolled: 1-line block ×4, first 2 shown]
	v_fma_f64 v[50:51], v[44:45], 0, v[52:53]
	v_fma_f64 v[52:53], v[44:45], 0, v[56:57]
	s_waitcnt vmcnt(0)
	v_fma_f64 v[19:20], v[35:36], v[44:45], v[19:20]
	v_fma_f64 v[35:36], v[35:36], v[46:47], v[50:51]
	v_fma_f64 v[50:51], v[37:38], v[44:45], v[54:55]
	v_fma_f64 v[37:38], v[37:38], v[46:47], v[52:53]
	v_fma_f64 v[52:53], v[31:32], v[44:45], v[60:61]
	v_fma_f64 v[54:55], v[44:45], 0, v[62:63]
	v_fma_f64 v[19:20], v[46:47], s[12:13], v[19:20]
	v_fma_f64 v[35:36], v[39:40], 0, v[35:36]
	v_fma_f64 v[50:51], v[46:47], s[12:13], v[50:51]
	v_fma_f64 v[52:53], v[46:47], s[12:13], v[52:53]
	v_fma_f64 v[31:32], v[31:32], v[46:47], v[54:55]
	v_fma_f64 v[54:55], v[33:34], v[44:45], v[64:65]
	v_fma_f64 v[44:45], v[44:45], 0, v[48:49]
	v_fma_f64 v[19:20], v[27:28], v[39:40], v[19:20]
	v_fma_f64 v[56:57], v[27:28], v[41:42], v[35:36]
	v_fma_f64 v[27:28], v[29:30], v[39:40], v[50:51]
	v_fma_f64 v[54:55], v[46:47], s[12:13], v[54:55]
	v_fma_f64 v[33:34], v[33:34], v[46:47], v[44:45]
	v_fma_f64 v[19:20], v[41:42], s[12:13], v[19:20]
	v_fma_f64 v[58:59], v[41:42], s[12:13], v[27:28]
	v_fma_f64 v[27:28], v[39:40], 0, v[37:38]
	v_fma_f64 v[60:61], v[29:30], v[41:42], v[27:28]
	v_fma_f64 v[27:28], v[23:24], v[39:40], v[52:53]
	v_fma_f64 v[62:63], v[41:42], s[12:13], v[27:28]
	v_fma_f64 v[27:28], v[39:40], 0, v[31:32]
	v_fma_f64 v[64:65], v[23:24], v[41:42], v[27:28]
	v_fma_f64 v[23:24], v[25:26], v[39:40], v[54:55]
	v_fma_f64 v[66:67], v[41:42], s[12:13], v[23:24]
	v_fma_f64 v[23:24], v[39:40], 0, v[33:34]
	v_fma_f64 v[68:69], v[25:26], v[41:42], v[23:24]
	global_load_dwordx2 v[23:24], v[17:18], off
	s_waitcnt vmcnt(0)
	v_sub_co_u32_e32 v39, vcc, v23, v9
	v_subb_co_u32_e32 v40, vcc, v24, v10, vcc
	v_lshlrev_b64 v[39:40], 6, v[39:40]
	global_load_dwordx4 v[23:26], v[72:73], off
	global_load_dwordx4 v[27:30], v[72:73], off offset:48
	global_load_dwordx4 v[31:34], v[72:73], off offset:32
	;; [unrolled: 1-line block ×3, first 2 shown]
	v_add_co_u32_e32 v70, vcc, s8, v39
	v_addc_co_u32_e32 v71, vcc, v43, v40, vcc
	global_load_dwordx4 v[39:42], v[70:71], off offset:48
	global_load_dwordx4 v[44:47], v[70:71], off offset:32
	global_load_dwordx4 v[48:51], v[70:71], off offset:16
	global_load_dwordx4 v[52:55], v[70:71], off
	s_waitcnt vmcnt(0)
	v_fma_f64 v[56:57], v[52:53], 0, v[56:57]
	v_fma_f64 v[19:20], v[23:24], v[52:53], v[19:20]
	;; [unrolled: 1-line block ×33, first 2 shown]
	global_load_dwordx4 v[33:36], v[72:73], off offset:112
	global_load_dwordx4 v[25:28], v[72:73], off offset:96
	;; [unrolled: 1-line block ×4, first 2 shown]
	s_waitcnt vmcnt(0)
	v_fma_f64 v[19:20], v[48:49], v[44:45], v[19:20]
	v_fma_f64 v[23:24], v[48:49], v[46:47], v[23:24]
	;; [unrolled: 1-line block ×29, first 2 shown]
	global_load_dwordx2 v[37:38], v[17:18], off offset:256
	v_fma_f64 v[29:30], v[41:42], s[12:13], v[29:30]
	v_fma_f64 v[33:34], v[41:42], s[12:13], v[33:34]
	s_waitcnt vmcnt(0)
	v_sub_co_u32_e32 v56, vcc, v37, v9
	v_subb_co_u32_e32 v57, vcc, v38, v10, vcc
	v_add_co_u32_e32 v37, vcc, s15, v15
	v_lshlrev_b64 v[56:57], 6, v[56:57]
	v_addc_co_u32_e32 v38, vcc, 0, v16, vcc
	v_add_co_u32_e32 v72, vcc, s8, v56
	v_addc_co_u32_e32 v73, vcc, v43, v57, vcc
	global_load_dwordx4 v[39:42], v[37:38], off
	global_load_dwordx4 v[44:47], v[37:38], off offset:48
	global_load_dwordx4 v[48:51], v[37:38], off offset:32
	;; [unrolled: 1-line block ×6, first 2 shown]
	global_load_dwordx4 v[68:71], v[72:73], off
	v_add_co_u32_e32 v11, vcc, 0x80, v11
	v_addc_co_u32_e32 v12, vcc, 0, v12, vcc
	v_add_co_u32_e32 v17, vcc, 0x400, v17
	v_addc_co_u32_e32 v18, vcc, 0, v18, vcc
	v_cmp_ge_i64_e64 s[0:1], v[11:12], v[13:14]
	v_add_co_u32_e32 v15, vcc, 0x4000, v15
	v_addc_co_u32_e32 v16, vcc, 0, v16, vcc
	s_or_b64 s[10:11], s[0:1], s[10:11]
	s_waitcnt vmcnt(0)
	v_fma_f64 v[23:24], v[68:69], 0, v[23:24]
	v_fma_f64 v[19:20], v[39:40], v[68:69], v[19:20]
	;; [unrolled: 1-line block ×32, first 2 shown]
	global_load_dwordx4 v[23:26], v[37:38], off offset:112
	global_load_dwordx4 v[27:30], v[37:38], off offset:96
	;; [unrolled: 1-line block ×4, first 2 shown]
	v_fma_f64 v[37:38], v[60:61], 0, v[48:49]
	v_fma_f64 v[46:47], v[60:61], 0, v[50:51]
	s_waitcnt vmcnt(0)
	v_fma_f64 v[19:20], v[39:40], v[60:61], v[19:20]
	v_fma_f64 v[37:38], v[39:40], v[62:63], v[37:38]
	;; [unrolled: 1-line block ×30, first 2 shown]
	s_andn2_b64 exec, exec, s[10:11]
	s_cbranch_execnz .LBB148_33
; %bb.34:
	s_or_b64 exec, exec, s[10:11]
.LBB148_35:
	s_or_b64 exec, exec, s[6:7]
.LBB148_36:
	s_or_b64 exec, exec, s[2:3]
.LBB148_37:
	v_mov_b32_dpp v9, v41 row_shr:1 row_mask:0xf bank_mask:0xf
	v_mov_b32_dpp v10, v42 row_shr:1 row_mask:0xf bank_mask:0xf
	v_add_f64 v[9:10], v[41:42], v[9:10]
	v_mov_b32_dpp v11, v37 row_shr:1 row_mask:0xf bank_mask:0xf
	v_mov_b32_dpp v12, v38 row_shr:1 row_mask:0xf bank_mask:0xf
	v_add_f64 v[11:12], v[37:38], v[11:12]
	v_mov_b32_dpp v13, v35 row_shr:1 row_mask:0xf bank_mask:0xf
	v_cmp_eq_u32_e32 vcc, 31, v0
	v_mov_b32_dpp v14, v9 row_shr:2 row_mask:0xf bank_mask:0xf
	v_mov_b32_dpp v15, v10 row_shr:2 row_mask:0xf bank_mask:0xf
	v_add_f64 v[9:10], v[9:10], v[14:15]
	v_mov_b32_dpp v14, v36 row_shr:1 row_mask:0xf bank_mask:0xf
	v_mov_b32_dpp v16, v11 row_shr:2 row_mask:0xf bank_mask:0xf
	;; [unrolled: 1-line block ×4, first 2 shown]
	v_add_f64 v[13:14], v[35:36], v[13:14]
	v_add_f64 v[11:12], v[11:12], v[16:17]
	v_mov_b32_dpp v16, v32 row_shr:1 row_mask:0xf bank_mask:0xf
	v_add_f64 v[15:16], v[31:32], v[15:16]
	v_mov_b32_dpp v17, v9 row_shr:4 row_mask:0xf bank_mask:0xe
	v_mov_b32_dpp v18, v10 row_shr:4 row_mask:0xf bank_mask:0xe
	v_add_f64 v[9:10], v[9:10], v[17:18]
	v_mov_b32_dpp v17, v13 row_shr:2 row_mask:0xf bank_mask:0xf
	v_mov_b32_dpp v18, v14 row_shr:2 row_mask:0xf bank_mask:0xf
	;; [unrolled: 1-line block ×4, first 2 shown]
	v_add_f64 v[11:12], v[11:12], v[19:20]
	v_add_f64 v[13:14], v[13:14], v[17:18]
	v_mov_b32_dpp v18, v15 row_shr:2 row_mask:0xf bank_mask:0xf
	v_mov_b32_dpp v19, v16 row_shr:2 row_mask:0xf bank_mask:0xf
	v_add_f64 v[15:16], v[15:16], v[18:19]
	v_mov_b32_dpp v17, v9 row_shr:8 row_mask:0xf bank_mask:0xc
	v_mov_b32_dpp v18, v10 row_shr:8 row_mask:0xf bank_mask:0xc
	;; [unrolled: 3-line block ×3, first 2 shown]
	v_mov_b32_dpp v20, v14 row_shr:4 row_mask:0xf bank_mask:0xe
	v_add_f64 v[13:14], v[13:14], v[19:20]
	v_mov_b32_dpp v19, v15 row_shr:4 row_mask:0xf bank_mask:0xe
	v_mov_b32_dpp v20, v16 row_shr:4 row_mask:0xf bank_mask:0xe
	v_add_f64 v[15:16], v[15:16], v[19:20]
	v_mov_b32_dpp v19, v39 row_shr:1 row_mask:0xf bank_mask:0xf
	;; [unrolled: 3-line block ×3, first 2 shown]
	v_add_f64 v[11:12], v[11:12], v[17:18]
	v_mov_b32_dpp v17, v13 row_shr:8 row_mask:0xf bank_mask:0xc
	v_mov_b32_dpp v18, v14 row_shr:8 row_mask:0xf bank_mask:0xc
	v_add_f64 v[13:14], v[13:14], v[17:18]
	v_mov_b32_dpp v17, v15 row_shr:8 row_mask:0xf bank_mask:0xc
	v_mov_b32_dpp v18, v16 row_shr:8 row_mask:0xf bank_mask:0xc
	v_add_f64 v[15:16], v[15:16], v[17:18]
	v_mov_b32_dpp v17, v19 row_shr:2 row_mask:0xf bank_mask:0xf
	v_mov_b32_dpp v18, v20 row_shr:2 row_mask:0xf bank_mask:0xf
	v_add_f64 v[31:32], v[19:20], v[17:18]
	v_mov_b32_dpp v25, v9 row_bcast:15 row_mask:0xa bank_mask:0xf
	v_mov_b32_dpp v26, v10 row_bcast:15 row_mask:0xa bank_mask:0xf
	;; [unrolled: 1-line block ×7, first 2 shown]
	v_mov_b32_dpp v35, v31 row_shr:4 row_mask:0xf bank_mask:0xe
	v_mov_b32_dpp v36, v32 row_shr:4 row_mask:0xf bank_mask:0xe
	v_add_f64 v[31:32], v[31:32], v[35:36]
	v_mov_b32_dpp v35, v33 row_shr:1 row_mask:0xf bank_mask:0xf
	v_mov_b32_dpp v36, v34 row_shr:1 row_mask:0xf bank_mask:0xf
	v_add_f64 v[33:34], v[33:34], v[35:36]
	;; [unrolled: 3-line block ×4, first 2 shown]
	v_mov_b32_dpp v35, v31 row_shr:8 row_mask:0xf bank_mask:0xc
	v_mov_b32_dpp v36, v33 row_shr:2 row_mask:0xf bank_mask:0xf
	;; [unrolled: 1-line block ×3, first 2 shown]
	v_add_f64 v[33:34], v[33:34], v[36:37]
	v_mov_b32_dpp v36, v29 row_shr:2 row_mask:0xf bank_mask:0xf
	v_mov_b32_dpp v37, v30 row_shr:2 row_mask:0xf bank_mask:0xf
	v_add_f64 v[29:30], v[29:30], v[36:37]
	v_mov_b32_dpp v36, v27 row_shr:2 row_mask:0xf bank_mask:0xf
	v_mov_b32_dpp v37, v28 row_shr:2 row_mask:0xf bank_mask:0xf
	v_add_f64 v[27:28], v[27:28], v[36:37]
	v_mov_b32_dpp v36, v32 row_shr:8 row_mask:0xf bank_mask:0xc
	v_mov_b32_dpp v37, v33 row_shr:4 row_mask:0xf bank_mask:0xe
	v_mov_b32_dpp v38, v34 row_shr:4 row_mask:0xf bank_mask:0xe
	v_add_f64 v[33:34], v[33:34], v[37:38]
	v_mov_b32_dpp v37, v29 row_shr:4 row_mask:0xf bank_mask:0xe
	v_mov_b32_dpp v38, v30 row_shr:4 row_mask:0xf bank_mask:0xe
	v_add_f64 v[37:38], v[29:30], v[37:38]
	v_mov_b32_dpp v29, v27 row_shr:4 row_mask:0xf bank_mask:0xe
	v_mov_b32_dpp v30, v28 row_shr:4 row_mask:0xf bank_mask:0xe
	v_add_f64 v[39:40], v[27:28], v[29:30]
	v_add_f64 v[27:28], v[31:32], v[35:36]
	v_mov_b32_dpp v29, v33 row_shr:8 row_mask:0xf bank_mask:0xc
	v_mov_b32_dpp v30, v34 row_shr:8 row_mask:0xf bank_mask:0xc
	v_add_f64 v[29:30], v[33:34], v[29:30]
	v_mov_b32_dpp v31, v37 row_shr:8 row_mask:0xf bank_mask:0xc
	v_mov_b32_dpp v32, v38 row_shr:8 row_mask:0xf bank_mask:0xc
	;; [unrolled: 3-line block ×3, first 2 shown]
	v_add_f64 v[33:34], v[39:40], v[33:34]
	v_mov_b32_dpp v18, v16 row_bcast:15 row_mask:0xa bank_mask:0xf
	v_mov_b32_dpp v41, v27 row_bcast:15 row_mask:0xa bank_mask:0xf
	;; [unrolled: 1-line block ×9, first 2 shown]
	s_and_b64 exec, exec, vcc
	s_cbranch_execz .LBB148_8
; %bb.38:
	v_add_f64 v[11:12], v[11:12], v[23:24]
	v_add_f64 v[23:24], v[13:14], v[19:20]
	;; [unrolled: 1-line block ×8, first 2 shown]
	v_mul_f64 v[19:20], v[11:12], -v[7:8]
	v_mul_f64 v[11:12], v[5:6], v[11:12]
	v_mul_f64 v[29:30], v[13:14], -v[7:8]
	v_mul_f64 v[31:32], v[5:6], v[13:14]
	;; [unrolled: 2-line block ×4, first 2 shown]
	v_cmp_eq_f64_e32 vcc, 0, v[1:2]
	v_cmp_eq_f64_e64 s[0:1], 0, v[3:4]
	v_fma_f64 v[17:18], v[5:6], v[9:10], v[19:20]
	v_fma_f64 v[19:20], v[7:8], v[9:10], v[11:12]
	;; [unrolled: 1-line block ×8, first 2 shown]
	s_load_dwordx2 s[2:3], s[4:5], 0x68
	v_lshlrev_b64 v[21:22], 6, v[21:22]
	s_and_b64 s[0:1], vcc, s[0:1]
	s_and_saveexec_b64 s[4:5], s[0:1]
	s_xor_b64 s[0:1], exec, s[4:5]
	s_cbranch_execz .LBB148_40
; %bb.39:
	s_waitcnt lgkmcnt(0)
	v_mov_b32_e32 v1, s3
	v_add_co_u32_e32 v0, vcc, s2, v21
	v_addc_co_u32_e32 v1, vcc, v1, v22, vcc
	global_store_dwordx4 v[0:1], v[17:20], off
	global_store_dwordx4 v[0:1], v[13:16], off offset:16
	global_store_dwordx4 v[0:1], v[9:12], off offset:32
	;; [unrolled: 1-line block ×3, first 2 shown]
                                        ; implicit-def: $vgpr3_vgpr4
                                        ; implicit-def: $vgpr17_vgpr18
                                        ; implicit-def: $vgpr21_vgpr22
                                        ; implicit-def: $vgpr13_vgpr14
                                        ; implicit-def: $vgpr9_vgpr10
                                        ; implicit-def: $vgpr5_vgpr6
.LBB148_40:
	s_andn2_saveexec_b64 s[0:1], s[0:1]
	s_cbranch_execz .LBB148_8
; %bb.41:
	s_waitcnt lgkmcnt(0)
	v_mov_b32_e32 v0, s3
	v_add_co_u32_e32 v37, vcc, s2, v21
	v_addc_co_u32_e32 v38, vcc, v0, v22, vcc
	global_load_dwordx4 v[21:24], v[37:38], off
	global_load_dwordx4 v[25:28], v[37:38], off offset:16
	global_load_dwordx4 v[29:32], v[37:38], off offset:32
	;; [unrolled: 1-line block ×3, first 2 shown]
	s_waitcnt vmcnt(3)
	v_fma_f64 v[17:18], v[1:2], v[21:22], v[17:18]
	v_fma_f64 v[19:20], v[3:4], v[21:22], v[19:20]
	s_waitcnt vmcnt(2)
	v_fma_f64 v[13:14], v[1:2], v[25:26], v[13:14]
	v_fma_f64 v[15:16], v[3:4], v[25:26], v[15:16]
	s_waitcnt vmcnt(1)
	v_fma_f64 v[21:22], v[1:2], v[29:30], v[9:10]
	v_fma_f64 v[25:26], v[3:4], v[29:30], v[11:12]
	s_waitcnt vmcnt(0)
	v_fma_f64 v[29:30], v[1:2], v[33:34], v[5:6]
	v_fma_f64 v[33:34], v[3:4], v[33:34], v[7:8]
	v_fma_f64 v[5:6], -v[3:4], v[23:24], v[17:18]
	v_fma_f64 v[7:8], v[1:2], v[23:24], v[19:20]
	v_fma_f64 v[9:10], -v[3:4], v[27:28], v[13:14]
	v_fma_f64 v[11:12], v[1:2], v[27:28], v[15:16]
	;; [unrolled: 2-line block ×4, first 2 shown]
	global_store_dwordx4 v[37:38], v[5:8], off
	global_store_dwordx4 v[37:38], v[9:12], off offset:16
	global_store_dwordx4 v[37:38], v[13:16], off offset:32
	;; [unrolled: 1-line block ×3, first 2 shown]
	s_endpgm
	.section	.rodata,"a",@progbits
	.p2align	6, 0x0
	.amdhsa_kernel _ZN9rocsparseL18bsrxmvn_4x4_kernelILj128ELj32E21rocsparse_complex_numIdElldS2_S2_EEvT3_20rocsparse_direction_NS_24const_host_device_scalarIT1_EES3_PKS3_PKT2_SC_S9_PKT4_PKT5_S7_PT6_21rocsparse_index_base_b
		.amdhsa_group_segment_fixed_size 0
		.amdhsa_private_segment_fixed_size 0
		.amdhsa_kernarg_size 120
		.amdhsa_user_sgpr_count 6
		.amdhsa_user_sgpr_private_segment_buffer 1
		.amdhsa_user_sgpr_dispatch_ptr 0
		.amdhsa_user_sgpr_queue_ptr 0
		.amdhsa_user_sgpr_kernarg_segment_ptr 1
		.amdhsa_user_sgpr_dispatch_id 0
		.amdhsa_user_sgpr_flat_scratch_init 0
		.amdhsa_user_sgpr_private_segment_size 0
		.amdhsa_uses_dynamic_stack 0
		.amdhsa_system_sgpr_private_segment_wavefront_offset 0
		.amdhsa_system_sgpr_workgroup_id_x 1
		.amdhsa_system_sgpr_workgroup_id_y 0
		.amdhsa_system_sgpr_workgroup_id_z 0
		.amdhsa_system_sgpr_workgroup_info 0
		.amdhsa_system_vgpr_workitem_id 0
		.amdhsa_next_free_vgpr 88
		.amdhsa_next_free_sgpr 21
		.amdhsa_reserve_vcc 1
		.amdhsa_reserve_flat_scratch 0
		.amdhsa_float_round_mode_32 0
		.amdhsa_float_round_mode_16_64 0
		.amdhsa_float_denorm_mode_32 3
		.amdhsa_float_denorm_mode_16_64 3
		.amdhsa_dx10_clamp 1
		.amdhsa_ieee_mode 1
		.amdhsa_fp16_overflow 0
		.amdhsa_exception_fp_ieee_invalid_op 0
		.amdhsa_exception_fp_denorm_src 0
		.amdhsa_exception_fp_ieee_div_zero 0
		.amdhsa_exception_fp_ieee_overflow 0
		.amdhsa_exception_fp_ieee_underflow 0
		.amdhsa_exception_fp_ieee_inexact 0
		.amdhsa_exception_int_div_zero 0
	.end_amdhsa_kernel
	.section	.text._ZN9rocsparseL18bsrxmvn_4x4_kernelILj128ELj32E21rocsparse_complex_numIdElldS2_S2_EEvT3_20rocsparse_direction_NS_24const_host_device_scalarIT1_EES3_PKS3_PKT2_SC_S9_PKT4_PKT5_S7_PT6_21rocsparse_index_base_b,"axG",@progbits,_ZN9rocsparseL18bsrxmvn_4x4_kernelILj128ELj32E21rocsparse_complex_numIdElldS2_S2_EEvT3_20rocsparse_direction_NS_24const_host_device_scalarIT1_EES3_PKS3_PKT2_SC_S9_PKT4_PKT5_S7_PT6_21rocsparse_index_base_b,comdat
.Lfunc_end148:
	.size	_ZN9rocsparseL18bsrxmvn_4x4_kernelILj128ELj32E21rocsparse_complex_numIdElldS2_S2_EEvT3_20rocsparse_direction_NS_24const_host_device_scalarIT1_EES3_PKS3_PKT2_SC_S9_PKT4_PKT5_S7_PT6_21rocsparse_index_base_b, .Lfunc_end148-_ZN9rocsparseL18bsrxmvn_4x4_kernelILj128ELj32E21rocsparse_complex_numIdElldS2_S2_EEvT3_20rocsparse_direction_NS_24const_host_device_scalarIT1_EES3_PKS3_PKT2_SC_S9_PKT4_PKT5_S7_PT6_21rocsparse_index_base_b
                                        ; -- End function
	.set _ZN9rocsparseL18bsrxmvn_4x4_kernelILj128ELj32E21rocsparse_complex_numIdElldS2_S2_EEvT3_20rocsparse_direction_NS_24const_host_device_scalarIT1_EES3_PKS3_PKT2_SC_S9_PKT4_PKT5_S7_PT6_21rocsparse_index_base_b.num_vgpr, 88
	.set _ZN9rocsparseL18bsrxmvn_4x4_kernelILj128ELj32E21rocsparse_complex_numIdElldS2_S2_EEvT3_20rocsparse_direction_NS_24const_host_device_scalarIT1_EES3_PKS3_PKT2_SC_S9_PKT4_PKT5_S7_PT6_21rocsparse_index_base_b.num_agpr, 0
	.set _ZN9rocsparseL18bsrxmvn_4x4_kernelILj128ELj32E21rocsparse_complex_numIdElldS2_S2_EEvT3_20rocsparse_direction_NS_24const_host_device_scalarIT1_EES3_PKS3_PKT2_SC_S9_PKT4_PKT5_S7_PT6_21rocsparse_index_base_b.numbered_sgpr, 21
	.set _ZN9rocsparseL18bsrxmvn_4x4_kernelILj128ELj32E21rocsparse_complex_numIdElldS2_S2_EEvT3_20rocsparse_direction_NS_24const_host_device_scalarIT1_EES3_PKS3_PKT2_SC_S9_PKT4_PKT5_S7_PT6_21rocsparse_index_base_b.num_named_barrier, 0
	.set _ZN9rocsparseL18bsrxmvn_4x4_kernelILj128ELj32E21rocsparse_complex_numIdElldS2_S2_EEvT3_20rocsparse_direction_NS_24const_host_device_scalarIT1_EES3_PKS3_PKT2_SC_S9_PKT4_PKT5_S7_PT6_21rocsparse_index_base_b.private_seg_size, 0
	.set _ZN9rocsparseL18bsrxmvn_4x4_kernelILj128ELj32E21rocsparse_complex_numIdElldS2_S2_EEvT3_20rocsparse_direction_NS_24const_host_device_scalarIT1_EES3_PKS3_PKT2_SC_S9_PKT4_PKT5_S7_PT6_21rocsparse_index_base_b.uses_vcc, 1
	.set _ZN9rocsparseL18bsrxmvn_4x4_kernelILj128ELj32E21rocsparse_complex_numIdElldS2_S2_EEvT3_20rocsparse_direction_NS_24const_host_device_scalarIT1_EES3_PKS3_PKT2_SC_S9_PKT4_PKT5_S7_PT6_21rocsparse_index_base_b.uses_flat_scratch, 0
	.set _ZN9rocsparseL18bsrxmvn_4x4_kernelILj128ELj32E21rocsparse_complex_numIdElldS2_S2_EEvT3_20rocsparse_direction_NS_24const_host_device_scalarIT1_EES3_PKS3_PKT2_SC_S9_PKT4_PKT5_S7_PT6_21rocsparse_index_base_b.has_dyn_sized_stack, 0
	.set _ZN9rocsparseL18bsrxmvn_4x4_kernelILj128ELj32E21rocsparse_complex_numIdElldS2_S2_EEvT3_20rocsparse_direction_NS_24const_host_device_scalarIT1_EES3_PKS3_PKT2_SC_S9_PKT4_PKT5_S7_PT6_21rocsparse_index_base_b.has_recursion, 0
	.set _ZN9rocsparseL18bsrxmvn_4x4_kernelILj128ELj32E21rocsparse_complex_numIdElldS2_S2_EEvT3_20rocsparse_direction_NS_24const_host_device_scalarIT1_EES3_PKS3_PKT2_SC_S9_PKT4_PKT5_S7_PT6_21rocsparse_index_base_b.has_indirect_call, 0
	.section	.AMDGPU.csdata,"",@progbits
; Kernel info:
; codeLenInByte = 9756
; TotalNumSgprs: 25
; NumVgprs: 88
; ScratchSize: 0
; MemoryBound: 0
; FloatMode: 240
; IeeeMode: 1
; LDSByteSize: 0 bytes/workgroup (compile time only)
; SGPRBlocks: 3
; VGPRBlocks: 21
; NumSGPRsForWavesPerEU: 25
; NumVGPRsForWavesPerEU: 88
; Occupancy: 2
; WaveLimiterHint : 1
; COMPUTE_PGM_RSRC2:SCRATCH_EN: 0
; COMPUTE_PGM_RSRC2:USER_SGPR: 6
; COMPUTE_PGM_RSRC2:TRAP_HANDLER: 0
; COMPUTE_PGM_RSRC2:TGID_X_EN: 1
; COMPUTE_PGM_RSRC2:TGID_Y_EN: 0
; COMPUTE_PGM_RSRC2:TGID_Z_EN: 0
; COMPUTE_PGM_RSRC2:TIDIG_COMP_CNT: 0
	.section	.text._ZN9rocsparseL18bsrxmvn_4x4_kernelILj128ELj64E21rocsparse_complex_numIdElldS2_S2_EEvT3_20rocsparse_direction_NS_24const_host_device_scalarIT1_EES3_PKS3_PKT2_SC_S9_PKT4_PKT5_S7_PT6_21rocsparse_index_base_b,"axG",@progbits,_ZN9rocsparseL18bsrxmvn_4x4_kernelILj128ELj64E21rocsparse_complex_numIdElldS2_S2_EEvT3_20rocsparse_direction_NS_24const_host_device_scalarIT1_EES3_PKS3_PKT2_SC_S9_PKT4_PKT5_S7_PT6_21rocsparse_index_base_b,comdat
	.globl	_ZN9rocsparseL18bsrxmvn_4x4_kernelILj128ELj64E21rocsparse_complex_numIdElldS2_S2_EEvT3_20rocsparse_direction_NS_24const_host_device_scalarIT1_EES3_PKS3_PKT2_SC_S9_PKT4_PKT5_S7_PT6_21rocsparse_index_base_b ; -- Begin function _ZN9rocsparseL18bsrxmvn_4x4_kernelILj128ELj64E21rocsparse_complex_numIdElldS2_S2_EEvT3_20rocsparse_direction_NS_24const_host_device_scalarIT1_EES3_PKS3_PKT2_SC_S9_PKT4_PKT5_S7_PT6_21rocsparse_index_base_b
	.p2align	8
	.type	_ZN9rocsparseL18bsrxmvn_4x4_kernelILj128ELj64E21rocsparse_complex_numIdElldS2_S2_EEvT3_20rocsparse_direction_NS_24const_host_device_scalarIT1_EES3_PKS3_PKT2_SC_S9_PKT4_PKT5_S7_PT6_21rocsparse_index_base_b,@function
_ZN9rocsparseL18bsrxmvn_4x4_kernelILj128ELj64E21rocsparse_complex_numIdElldS2_S2_EEvT3_20rocsparse_direction_NS_24const_host_device_scalarIT1_EES3_PKS3_PKT2_SC_S9_PKT4_PKT5_S7_PT6_21rocsparse_index_base_b: ; @_ZN9rocsparseL18bsrxmvn_4x4_kernelILj128ELj64E21rocsparse_complex_numIdElldS2_S2_EEvT3_20rocsparse_direction_NS_24const_host_device_scalarIT1_EES3_PKS3_PKT2_SC_S9_PKT4_PKT5_S7_PT6_21rocsparse_index_base_b
; %bb.0:
	s_load_dwordx2 s[0:1], s[4:5], 0x10
	s_load_dwordx2 s[2:3], s[4:5], 0x70
	s_add_u32 s7, s4, 16
	s_addc_u32 s10, s5, 0
	s_add_u32 s11, s4, 0x58
	s_addc_u32 s12, s5, 0
	s_waitcnt lgkmcnt(0)
	s_bitcmp1_b32 s3, 0
	s_cselect_b32 s1, s10, s1
	s_cselect_b32 s0, s7, s0
	v_mov_b32_e32 v1, s0
	v_mov_b32_e32 v2, s1
	flat_load_dwordx4 v[5:8], v[1:2]
	s_load_dwordx2 s[8:9], s[4:5], 0x58
	s_waitcnt lgkmcnt(0)
	s_cselect_b32 s0, s12, s9
	s_cselect_b32 s1, s11, s8
	v_mov_b32_e32 v1, s1
	v_mov_b32_e32 v2, s0
	flat_load_dwordx4 v[1:4], v[1:2]
	s_waitcnt vmcnt(0)
	v_cmp_eq_f64_e32 vcc, 0, v[5:6]
	v_cmp_eq_f64_e64 s[0:1], 0, v[7:8]
	s_and_b64 s[10:11], vcc, s[0:1]
	s_mov_b64 s[0:1], -1
	s_and_saveexec_b64 s[8:9], s[10:11]
	s_cbranch_execz .LBB149_2
; %bb.1:
	s_waitcnt lgkmcnt(0)
	v_cmp_neq_f64_e32 vcc, 1.0, v[1:2]
	v_cmp_neq_f64_e64 s[0:1], 0, v[3:4]
	s_or_b64 s[0:1], vcc, s[0:1]
	s_orn2_b64 s[0:1], s[0:1], exec
.LBB149_2:
	s_or_b64 exec, exec, s[8:9]
	s_and_saveexec_b64 s[8:9], s[0:1]
	s_cbranch_execz .LBB149_8
; %bb.3:
	s_load_dwordx2 s[8:9], s[4:5], 0x28
	v_lshrrev_b32_e32 v9, 6, v0
	v_lshl_or_b32 v11, s6, 1, v9
	v_mov_b32_e32 v12, 0
	s_mov_b64 s[0:1], 0
	s_waitcnt lgkmcnt(0)
	s_cmp_lg_u64 s[8:9], 0
	s_cbranch_scc0 .LBB149_9
; %bb.4:
	s_load_dwordx2 s[6:7], s[4:5], 0x20
                                        ; implicit-def: $vgpr21_vgpr22
                                        ; implicit-def: $vgpr9_vgpr10
	s_waitcnt lgkmcnt(0)
	v_cmp_gt_i64_e32 vcc, s[6:7], v[11:12]
	s_and_saveexec_b64 s[6:7], vcc
	s_xor_b64 s[6:7], exec, s[6:7]
	s_cbranch_execz .LBB149_6
; %bb.5:
	v_lshlrev_b64 v[9:10], 3, v[11:12]
	v_mov_b32_e32 v13, s9
	v_add_co_u32_e32 v9, vcc, s8, v9
	v_addc_co_u32_e32 v10, vcc, v13, v10, vcc
	global_load_dwordx2 v[9:10], v[9:10], off
	s_mov_b32 s3, 0
	s_mov_b64 s[0:1], exec
	s_waitcnt vmcnt(0)
	v_subrev_co_u32_e32 v21, vcc, s2, v9
	v_subbrev_co_u32_e32 v22, vcc, 0, v10, vcc
	v_mov_b32_e32 v10, s3
	v_mov_b32_e32 v9, s2
.LBB149_6:
	s_or_b64 exec, exec, s[6:7]
.LBB149_7:
	s_and_b64 exec, exec, s[0:1]
	s_cbranch_execnz .LBB149_13
.LBB149_8:
	s_endpgm
.LBB149_9:
                                        ; implicit-def: $vgpr21_vgpr22
                                        ; implicit-def: $vgpr9_vgpr10
	s_cbranch_execz .LBB149_7
; %bb.10:
	s_load_dwordx2 s[6:7], s[4:5], 0x0
	s_waitcnt lgkmcnt(0)
	v_cmp_gt_i64_e32 vcc, s[6:7], v[11:12]
	s_and_saveexec_b64 s[6:7], vcc
; %bb.11:
	s_mov_b32 s3, 0
	s_or_b64 s[0:1], s[0:1], exec
; %bb.12:
	s_or_b64 exec, exec, s[6:7]
	v_mov_b32_e32 v10, s3
	v_mov_b32_e32 v22, v12
	;; [unrolled: 1-line block ×4, first 2 shown]
	s_and_b64 exec, exec, s[0:1]
	s_cbranch_execz .LBB149_8
.LBB149_13:
	s_load_dwordx8 s[8:15], s[4:5], 0x30
	v_lshlrev_b64 v[11:12], 3, v[21:22]
	v_and_b32_e32 v0, 63, v0
	s_waitcnt lgkmcnt(0)
	v_mov_b32_e32 v14, s9
	v_add_co_u32_e32 v13, vcc, s8, v11
	v_addc_co_u32_e32 v14, vcc, v14, v12, vcc
	global_load_dwordx2 v[17:18], v[13:14], off
	v_add_co_u32_e32 v13, vcc, 8, v13
	v_addc_co_u32_e32 v14, vcc, 0, v14, vcc
	v_mov_b32_e32 v15, s11
	v_add_co_u32_e32 v11, vcc, s10, v11
	s_cmp_eq_u64 s[10:11], 0
	v_addc_co_u32_e32 v12, vcc, v15, v12, vcc
	s_cselect_b64 vcc, -1, 0
	v_cndmask_b32_e32 v12, v12, v14, vcc
	v_cndmask_b32_e32 v11, v11, v13, vcc
	global_load_dwordx2 v[13:14], v[11:12], off
	s_load_dword s0, s[4:5], 0x8
	s_load_dwordx2 s[8:9], s[4:5], 0x50
	v_mov_b32_e32 v19, s15
	s_waitcnt lgkmcnt(0)
	s_cmp_eq_u32 s0, 1
	s_waitcnt vmcnt(1)
	v_sub_co_u32_e32 v11, vcc, v17, v9
	v_subb_co_u32_e32 v12, vcc, v18, v10, vcc
	v_add_co_u32_e32 v11, vcc, v11, v0
	v_addc_co_u32_e32 v12, vcc, 0, v12, vcc
	v_lshlrev_b64 v[15:16], 7, v[11:12]
	s_waitcnt vmcnt(0)
	v_sub_co_u32_e32 v13, vcc, v13, v9
	v_subb_co_u32_e32 v14, vcc, v14, v10, vcc
	v_cmp_lt_i64_e64 s[0:1], v[11:12], v[13:14]
	v_add_co_u32_e32 v15, vcc, s14, v15
	v_addc_co_u32_e32 v16, vcc, v19, v16, vcc
	s_cbranch_scc1 .LBB149_25
; %bb.14:
	v_mov_b32_e32 v37, 0
	v_mov_b32_e32 v41, 0
	;; [unrolled: 1-line block ×16, first 2 shown]
	s_and_saveexec_b64 s[10:11], s[0:1]
	s_cbranch_execz .LBB149_24
; %bb.15:
	v_or_b32_e32 v19, 64, v0
	v_sub_co_u32_e32 v19, vcc, v19, v9
	v_subb_co_u32_e32 v20, vcc, 0, v10, vcc
	v_add_co_u32_e32 v19, vcc, v19, v17
	v_addc_co_u32_e32 v20, vcc, v20, v18, vcc
	v_cmp_gt_i64_e32 vcc, v[19:20], v[13:14]
	v_not_b32_e32 v24, v17
	v_cndmask_b32_e32 v20, v14, v20, vcc
	v_cndmask_b32_e32 v19, v13, v19, vcc
	v_sub_co_u32_e32 v25, vcc, v9, v0
	v_subbrev_co_u32_e32 v26, vcc, 0, v10, vcc
	v_not_b32_e32 v23, v18
	v_add_co_u32_e32 v24, vcc, v25, v24
	v_addc_co_u32_e32 v23, vcc, v26, v23, vcc
	v_add_co_u32_e32 v27, vcc, v24, v19
	v_addc_co_u32_e32 v28, vcc, v23, v20, vcc
	v_and_b32_e32 v19, 0xc0, v27
	v_mov_b32_e32 v20, 0
	s_mov_b64 s[2:3], 0xc0
	v_cmp_ne_u64_e32 vcc, s[2:3], v[19:20]
	v_mov_b32_e32 v29, 0
	v_mov_b32_e32 v25, 0
	v_mov_b32_e32 v39, 0
	v_mov_b32_e32 v31, 0
	v_mov_b32_e32 v35, 0
	v_mov_b32_e32 v33, 0
	v_mov_b32_e32 v41, 0
	v_mov_b32_e32 v37, 0
	v_mov_b32_e32 v24, v16
	v_mov_b32_e32 v20, v12
	v_mov_b32_e32 v30, 0
	v_mov_b32_e32 v26, 0
	v_mov_b32_e32 v40, 0
	v_mov_b32_e32 v32, 0
	v_mov_b32_e32 v36, 0
	v_mov_b32_e32 v34, 0
	v_mov_b32_e32 v42, 0
	v_mov_b32_e32 v38, 0
	v_mov_b32_e32 v23, v15
	v_mov_b32_e32 v19, v11
	s_and_saveexec_b64 s[14:15], vcc
	s_cbranch_execz .LBB149_19
; %bb.16:
	v_lshrrev_b32_e32 v19, 6, v27
	v_add_u32_e32 v19, 1, v19
	v_and_b32_e32 v23, 3, v19
	v_lshlrev_b64 v[19:20], 3, v[11:12]
	v_mov_b32_e32 v24, s13
	v_add_co_u32_e32 v43, vcc, s12, v19
	v_addc_co_u32_e32 v44, vcc, v24, v20, vcc
	v_sub_co_u32_e32 v45, vcc, 0, v23
	v_mov_b32_e32 v37, 0
	s_mov_b32 s18, 0
	v_mov_b32_e32 v20, v12
	v_mov_b32_e32 v41, 0
	;; [unrolled: 1-line block ×9, first 2 shown]
	s_mov_b64 s[16:17], 0
	v_subb_co_u32_e64 v46, s[2:3], 0, 0, vcc
	v_mov_b32_e32 v38, 0
	s_brev_b32 s19, 1
	s_movk_i32 s20, 0x2000
	v_mov_b32_e32 v19, v11
	v_mov_b32_e32 v42, 0
	;; [unrolled: 1-line block ×9, first 2 shown]
.LBB149_17:                             ; =>This Inner Loop Header: Depth=1
	global_load_dwordx2 v[67:68], v[43:44], off
	global_load_dwordx4 v[47:50], v[23:24], off offset:32
	global_load_dwordx4 v[51:54], v[23:24], off
	v_mov_b32_e32 v69, s9
	global_load_dwordx4 v[55:58], v[23:24], off offset:64
	global_load_dwordx4 v[59:62], v[23:24], off offset:96
	global_load_dwordx4 v[63:66], v[23:24], off offset:48
	v_add_co_u32_e64 v45, s[6:7], 1, v45
	s_waitcnt vmcnt(5)
	v_sub_co_u32_e32 v67, vcc, v67, v9
	v_subb_co_u32_e32 v68, vcc, v68, v10, vcc
	v_lshlrev_b64 v[67:68], 6, v[67:68]
	v_add_co_u32_e32 v71, vcc, s8, v67
	v_addc_co_u32_e32 v72, vcc, v69, v68, vcc
	global_load_dwordx4 v[67:70], v[71:72], off
	s_waitcnt vmcnt(0)
	v_fma_f64 v[31:32], v[67:68], 0, v[31:32]
	v_fma_f64 v[29:30], v[59:60], v[67:68], v[29:30]
	;; [unrolled: 1-line block ×10, first 2 shown]
	global_load_dwordx4 v[29:32], v[71:72], off offset:16
	v_fma_f64 v[37:38], v[51:52], v[69:70], v[37:38]
	v_fma_f64 v[41:42], v[69:70], s[18:19], v[41:42]
	;; [unrolled: 1-line block ×6, first 2 shown]
	s_waitcnt vmcnt(0)
	v_fma_f64 v[33:34], v[29:30], 0, v[37:38]
	v_fma_f64 v[37:38], v[29:30], 0, v[47:48]
	;; [unrolled: 1-line block ×8, first 2 shown]
	global_load_dwordx4 v[33:36], v[23:24], off offset:16
	global_load_dwordx4 v[47:50], v[23:24], off offset:80
	v_fma_f64 v[55:56], v[57:58], v[29:30], v[39:40]
	global_load_dwordx4 v[51:54], v[23:24], off offset:112
	v_fma_f64 v[29:30], v[61:62], v[29:30], v[67:68]
	v_fma_f64 v[25:26], v[61:62], v[31:32], v[25:26]
	;; [unrolled: 1-line block ×4, first 2 shown]
	global_load_dwordx4 v[37:40], v[71:72], off offset:32
	v_fma_f64 v[61:62], v[31:32], s[18:19], v[69:70]
	v_fma_f64 v[67:68], v[31:32], s[18:19], v[55:56]
	global_load_dwordx4 v[55:58], v[71:72], off offset:48
	v_fma_f64 v[29:30], v[31:32], s[18:19], v[29:30]
	v_add_co_u32_e32 v23, vcc, s20, v23
	s_mov_b64 s[2:3], vcc
	v_add_co_u32_e32 v19, vcc, 64, v19
	v_addc_co_u32_e32 v20, vcc, 0, v20, vcc
	v_addc_co_u32_e64 v46, vcc, 0, v46, s[6:7]
	v_cmp_eq_u64_e64 s[6:7], 0, v[45:46]
	v_add_co_u32_e32 v43, vcc, 0x200, v43
	v_addc_co_u32_e64 v24, s[2:3], 0, v24, s[2:3]
	s_or_b64 s[16:17], s[6:7], s[16:17]
	v_addc_co_u32_e32 v44, vcc, 0, v44, vcc
	s_waitcnt vmcnt(1)
	v_fma_f64 v[31:32], v[37:38], 0, v[59:60]
	v_fma_f64 v[41:42], v[33:34], v[37:38], v[41:42]
	;; [unrolled: 1-line block ×16, first 2 shown]
	s_waitcnt vmcnt(0)
	v_fma_f64 v[31:32], v[55:56], 0, v[31:32]
	v_fma_f64 v[33:34], v[35:36], v[55:56], v[33:34]
	;; [unrolled: 1-line block ×16, first 2 shown]
	s_andn2_b64 exec, exec, s[16:17]
	s_cbranch_execnz .LBB149_17
; %bb.18:
	s_or_b64 exec, exec, s[16:17]
.LBB149_19:
	s_or_b64 exec, exec, s[14:15]
	s_mov_b64 s[2:3], 0xbf
	v_cmp_lt_u64_e32 vcc, s[2:3], v[27:28]
	s_and_saveexec_b64 s[6:7], vcc
	s_cbranch_execz .LBB149_23
; %bb.20:
	v_lshlrev_b64 v[27:28], 3, v[19:20]
	v_mov_b32_e32 v43, s13
	v_add_co_u32_e32 v27, vcc, s12, v27
	v_addc_co_u32_e32 v28, vcc, v43, v28, vcc
	v_add_co_u32_e32 v27, vcc, 0x400, v27
	s_mov_b32 s16, 0
	v_addc_co_u32_e32 v28, vcc, 0, v28, vcc
	s_mov_b64 s[14:15], 0
	v_mov_b32_e32 v49, s9
	s_brev_b32 s17, 1
	s_movk_i32 s18, 0x2000
	s_movk_i32 s19, 0x4000
	;; [unrolled: 1-line block ×3, first 2 shown]
.LBB149_21:                             ; =>This Inner Loop Header: Depth=1
	global_load_dwordx2 v[43:44], v[27:28], off offset:-1024
	s_waitcnt vmcnt(0)
	v_sub_co_u32_e32 v47, vcc, v43, v9
	v_subb_co_u32_e32 v48, vcc, v44, v10, vcc
	v_lshlrev_b64 v[47:48], 6, v[47:48]
	global_load_dwordx4 v[43:46], v[23:24], off offset:48
	global_load_dwordx4 v[50:53], v[23:24], off offset:32
	;; [unrolled: 1-line block ×3, first 2 shown]
	global_load_dwordx4 v[58:61], v[23:24], off
	v_add_co_u32_e32 v47, vcc, s8, v47
	v_addc_co_u32_e32 v48, vcc, v49, v48, vcc
	global_load_dwordx4 v[62:65], v[47:48], off offset:48
	global_load_dwordx4 v[66:69], v[47:48], off offset:32
	;; [unrolled: 1-line block ×3, first 2 shown]
	global_load_dwordx4 v[74:77], v[47:48], off
	s_waitcnt vmcnt(0)
	v_fma_f64 v[41:42], v[58:59], v[74:75], v[41:42]
	v_fma_f64 v[35:36], v[50:51], v[74:75], v[35:36]
	;; [unrolled: 1-line block ×33, first 2 shown]
	global_load_dwordx4 v[33:36], v[23:24], off offset:112
	global_load_dwordx4 v[41:44], v[23:24], off offset:96
	;; [unrolled: 1-line block ×4, first 2 shown]
	v_fma_f64 v[80:81], v[56:57], v[64:65], v[37:38]
	s_waitcnt vmcnt(2)
	v_fma_f64 v[29:30], v[41:42], v[74:75], v[29:30]
	v_fma_f64 v[25:26], v[41:42], v[76:77], v[25:26]
	s_waitcnt vmcnt(0)
	v_fma_f64 v[37:38], v[50:51], v[74:75], v[39:40]
	v_fma_f64 v[31:32], v[50:51], v[76:77], v[31:32]
	;; [unrolled: 1-line block ×25, first 2 shown]
	v_add_co_u32_e32 v62, vcc, s18, v23
	v_addc_co_u32_e32 v63, vcc, 0, v24, vcc
	v_fma_f64 v[88:89], v[47:48], v[64:65], v[31:32]
	v_fma_f64 v[66:67], v[64:65], s[16:17], v[29:30]
	global_load_dwordx2 v[29:30], v[27:28], off offset:-512
	v_fma_f64 v[86:87], v[64:65], s[16:17], v[37:38]
	s_waitcnt vmcnt(0)
	v_sub_co_u32_e32 v45, vcc, v29, v9
	v_subb_co_u32_e32 v46, vcc, v30, v10, vcc
	v_lshlrev_b64 v[45:46], 6, v[45:46]
	global_load_dwordx4 v[29:32], v[62:63], off
	global_load_dwordx4 v[33:36], v[62:63], off offset:48
	global_load_dwordx4 v[37:40], v[62:63], off offset:32
	;; [unrolled: 1-line block ×3, first 2 shown]
	v_add_co_u32_e32 v64, vcc, s8, v45
	v_addc_co_u32_e32 v65, vcc, v49, v46, vcc
	global_load_dwordx4 v[45:48], v[64:65], off offset:48
	global_load_dwordx4 v[50:53], v[64:65], off offset:32
	;; [unrolled: 1-line block ×3, first 2 shown]
	global_load_dwordx4 v[58:61], v[64:65], off
	s_waitcnt vmcnt(0)
	v_fma_f64 v[68:69], v[58:59], 0, v[80:81]
	v_fma_f64 v[64:65], v[29:30], v[58:59], v[78:79]
	v_fma_f64 v[25:26], v[58:59], 0, v[25:26]
	v_fma_f64 v[29:30], v[29:30], v[60:61], v[68:69]
	v_fma_f64 v[64:65], v[60:61], s[16:17], v[64:65]
	v_fma_f64 v[29:30], v[54:55], 0, v[29:30]
	v_fma_f64 v[64:65], v[31:32], v[54:55], v[64:65]
	v_fma_f64 v[29:30], v[31:32], v[56:57], v[29:30]
	v_fma_f64 v[64:65], v[56:57], s[16:17], v[64:65]
	v_fma_f64 v[29:30], v[50:51], 0, v[29:30]
	v_fma_f64 v[31:32], v[41:42], v[50:51], v[64:65]
	v_fma_f64 v[64:65], v[58:59], 0, v[88:89]
	v_fma_f64 v[29:30], v[41:42], v[52:53], v[29:30]
	v_fma_f64 v[31:32], v[52:53], s[16:17], v[31:32]
	v_fma_f64 v[29:30], v[45:46], 0, v[29:30]
	v_fma_f64 v[31:32], v[43:44], v[45:46], v[31:32]
	v_fma_f64 v[70:71], v[43:44], v[47:48], v[29:30]
	v_fma_f64 v[29:30], v[37:38], v[58:59], v[82:83]
	v_fma_f64 v[68:69], v[47:48], s[16:17], v[31:32]
	v_fma_f64 v[31:32], v[58:59], 0, v[84:85]
	v_fma_f64 v[29:30], v[60:61], s[16:17], v[29:30]
	v_fma_f64 v[31:32], v[37:38], v[60:61], v[31:32]
	v_fma_f64 v[29:30], v[39:40], v[54:55], v[29:30]
	v_fma_f64 v[31:32], v[54:55], 0, v[31:32]
	v_fma_f64 v[29:30], v[56:57], s[16:17], v[29:30]
	v_fma_f64 v[31:32], v[39:40], v[56:57], v[31:32]
	v_fma_f64 v[29:30], v[33:34], v[50:51], v[29:30]
	v_fma_f64 v[31:32], v[50:51], 0, v[31:32]
	v_fma_f64 v[29:30], v[52:53], s[16:17], v[29:30]
	v_fma_f64 v[31:32], v[33:34], v[52:53], v[31:32]
	v_fma_f64 v[29:30], v[35:36], v[45:46], v[29:30]
	v_fma_f64 v[72:73], v[47:48], s[16:17], v[29:30]
	v_fma_f64 v[29:30], v[45:46], 0, v[31:32]
	v_fma_f64 v[74:75], v[35:36], v[47:48], v[29:30]
	global_load_dwordx4 v[29:32], v[62:63], off offset:112
	global_load_dwordx4 v[33:36], v[62:63], off offset:96
	;; [unrolled: 1-line block ×4, first 2 shown]
	s_waitcnt vmcnt(2)
	v_fma_f64 v[25:26], v[33:34], v[60:61], v[25:26]
	s_waitcnt vmcnt(0)
	v_fma_f64 v[62:63], v[41:42], v[58:59], v[86:87]
	v_fma_f64 v[41:42], v[41:42], v[60:61], v[64:65]
	v_fma_f64 v[25:26], v[54:55], 0, v[25:26]
	v_fma_f64 v[62:63], v[60:61], s[16:17], v[62:63]
	v_fma_f64 v[41:42], v[54:55], 0, v[41:42]
	v_fma_f64 v[25:26], v[35:36], v[56:57], v[25:26]
	v_fma_f64 v[62:63], v[43:44], v[54:55], v[62:63]
	v_fma_f64 v[41:42], v[43:44], v[56:57], v[41:42]
	v_fma_f64 v[25:26], v[50:51], 0, v[25:26]
	v_fma_f64 v[62:63], v[56:57], s[16:17], v[62:63]
	v_fma_f64 v[41:42], v[50:51], 0, v[41:42]
	v_fma_f64 v[25:26], v[29:30], v[52:53], v[25:26]
	v_fma_f64 v[43:44], v[37:38], v[50:51], v[62:63]
	v_fma_f64 v[37:38], v[37:38], v[52:53], v[41:42]
	v_fma_f64 v[25:26], v[45:46], 0, v[25:26]
	v_fma_f64 v[43:44], v[52:53], s[16:17], v[43:44]
	v_fma_f64 v[37:38], v[45:46], 0, v[37:38]
	v_fma_f64 v[41:42], v[39:40], v[45:46], v[43:44]
	v_fma_f64 v[80:81], v[39:40], v[47:48], v[37:38]
	v_fma_f64 v[37:38], v[33:34], v[58:59], v[66:67]
	v_fma_f64 v[78:79], v[47:48], s[16:17], v[41:42]
	v_fma_f64 v[37:38], v[60:61], s[16:17], v[37:38]
	v_fma_f64 v[33:34], v[35:36], v[54:55], v[37:38]
	v_fma_f64 v[33:34], v[56:57], s[16:17], v[33:34]
	v_fma_f64 v[33:34], v[29:30], v[50:51], v[33:34]
	v_fma_f64 v[33:34], v[52:53], s[16:17], v[33:34]
	v_fma_f64 v[29:30], v[31:32], v[45:46], v[33:34]
	v_fma_f64 v[82:83], v[47:48], s[16:17], v[29:30]
	v_fma_f64 v[47:48], v[31:32], v[47:48], v[25:26]
	global_load_dwordx2 v[25:26], v[27:28], off
	s_waitcnt vmcnt(0)
	v_sub_co_u32_e32 v25, vcc, v25, v9
	v_subb_co_u32_e32 v26, vcc, v26, v10, vcc
	v_add_co_u32_e32 v84, vcc, s19, v23
	v_lshlrev_b64 v[25:26], 6, v[25:26]
	v_addc_co_u32_e32 v85, vcc, 0, v24, vcc
	v_add_co_u32_e32 v25, vcc, s8, v25
	v_addc_co_u32_e32 v26, vcc, v49, v26, vcc
	global_load_dwordx4 v[29:32], v[84:85], off
	global_load_dwordx4 v[35:38], v[84:85], off offset:48
	global_load_dwordx4 v[39:42], v[84:85], off offset:32
	;; [unrolled: 1-line block ×6, first 2 shown]
	global_load_dwordx4 v[62:65], v[25:26], off
	s_waitcnt vmcnt(0)
	v_fma_f64 v[25:26], v[29:30], v[62:63], v[68:69]
	v_fma_f64 v[33:34], v[62:63], 0, v[70:71]
	;; [unrolled: 1-line block ×18, first 2 shown]
	global_load_dwordx4 v[43:46], v[84:85], off offset:112
	global_load_dwordx4 v[66:69], v[84:85], off offset:96
	;; [unrolled: 1-line block ×4, first 2 shown]
	v_fma_f64 v[29:30], v[39:40], v[64:65], v[29:30]
	v_fma_f64 v[25:26], v[64:65], s[16:17], v[25:26]
	;; [unrolled: 1-line block ×16, first 2 shown]
	s_waitcnt vmcnt(2)
	v_fma_f64 v[37:38], v[66:67], v[62:63], v[82:83]
	v_fma_f64 v[41:42], v[66:67], v[64:65], v[41:42]
	s_waitcnt vmcnt(0)
	v_fma_f64 v[25:26], v[74:75], v[62:63], v[78:79]
	v_fma_f64 v[29:30], v[74:75], v[64:65], v[29:30]
	;; [unrolled: 1-line block ×28, first 2 shown]
	global_load_dwordx2 v[37:38], v[27:28], off offset:512
	s_waitcnt vmcnt(0)
	v_sub_co_u32_e32 v37, vcc, v37, v9
	v_subb_co_u32_e32 v38, vcc, v38, v10, vcc
	v_add_co_u32_e32 v47, vcc, s20, v23
	v_lshlrev_b64 v[37:38], 6, v[37:38]
	v_addc_co_u32_e32 v48, vcc, 0, v24, vcc
	v_add_co_u32_e32 v37, vcc, s8, v37
	v_addc_co_u32_e32 v38, vcc, v49, v38, vcc
	global_load_dwordx4 v[50:53], v[47:48], off
	global_load_dwordx4 v[54:57], v[47:48], off offset:48
	global_load_dwordx4 v[58:61], v[47:48], off offset:32
	;; [unrolled: 1-line block ×6, first 2 shown]
	global_load_dwordx4 v[78:81], v[37:38], off
	v_add_co_u32_e32 v19, vcc, 0x100, v19
	v_addc_co_u32_e32 v20, vcc, 0, v20, vcc
	v_add_co_u32_e32 v27, vcc, 0x800, v27
	v_addc_co_u32_e32 v28, vcc, 0, v28, vcc
	v_cmp_ge_i64_e64 s[2:3], v[19:20], v[13:14]
	v_add_co_u32_e32 v23, vcc, 0x8000, v23
	v_addc_co_u32_e32 v24, vcc, 0, v24, vcc
	s_or_b64 s[14:15], s[2:3], s[14:15]
	s_waitcnt vmcnt(0)
	v_fma_f64 v[31:32], v[50:51], v[78:79], v[31:32]
	v_fma_f64 v[33:34], v[78:79], 0, v[33:34]
	v_fma_f64 v[29:30], v[78:79], 0, v[29:30]
	v_fma_f64 v[31:32], v[80:81], s[16:17], v[31:32]
	v_fma_f64 v[33:34], v[50:51], v[80:81], v[33:34]
	v_fma_f64 v[31:32], v[52:53], v[74:75], v[31:32]
	v_fma_f64 v[33:34], v[74:75], 0, v[33:34]
	v_fma_f64 v[31:32], v[76:77], s[16:17], v[31:32]
	v_fma_f64 v[33:34], v[52:53], v[76:77], v[33:34]
	v_fma_f64 v[31:32], v[62:63], v[70:71], v[31:32]
	v_fma_f64 v[33:34], v[70:71], 0, v[33:34]
	v_fma_f64 v[31:32], v[72:73], s[16:17], v[31:32]
	v_fma_f64 v[33:34], v[62:63], v[72:73], v[33:34]
	v_fma_f64 v[31:32], v[64:65], v[66:67], v[31:32]
	v_fma_f64 v[41:42], v[68:69], s[16:17], v[31:32]
	v_fma_f64 v[31:32], v[66:67], 0, v[33:34]
	v_fma_f64 v[33:34], v[78:79], 0, v[39:40]
	v_fma_f64 v[37:38], v[64:65], v[68:69], v[31:32]
	v_fma_f64 v[31:32], v[58:59], v[78:79], v[35:36]
	v_fma_f64 v[33:34], v[58:59], v[80:81], v[33:34]
	v_fma_f64 v[31:32], v[80:81], s[16:17], v[31:32]
	v_fma_f64 v[33:34], v[74:75], 0, v[33:34]
	v_fma_f64 v[31:32], v[60:61], v[74:75], v[31:32]
	v_fma_f64 v[33:34], v[60:61], v[76:77], v[33:34]
	v_fma_f64 v[31:32], v[76:77], s[16:17], v[31:32]
	v_fma_f64 v[33:34], v[70:71], 0, v[33:34]
	v_fma_f64 v[31:32], v[54:55], v[70:71], v[31:32]
	v_fma_f64 v[33:34], v[54:55], v[72:73], v[33:34]
	v_fma_f64 v[31:32], v[72:73], s[16:17], v[31:32]
	v_fma_f64 v[31:32], v[56:57], v[66:67], v[31:32]
	v_fma_f64 v[35:36], v[68:69], s[16:17], v[31:32]
	v_fma_f64 v[31:32], v[66:67], 0, v[33:34]
	v_fma_f64 v[33:34], v[56:57], v[68:69], v[31:32]
	global_load_dwordx4 v[50:53], v[47:48], off offset:112
	global_load_dwordx4 v[54:57], v[47:48], off offset:96
	;; [unrolled: 1-line block ×4, first 2 shown]
	s_waitcnt vmcnt(0)
	v_fma_f64 v[25:26], v[62:63], v[78:79], v[25:26]
	v_fma_f64 v[29:30], v[62:63], v[80:81], v[29:30]
	;; [unrolled: 1-line block ×31, first 2 shown]
	s_andn2_b64 exec, exec, s[14:15]
	s_cbranch_execnz .LBB149_21
; %bb.22:
	s_or_b64 exec, exec, s[14:15]
.LBB149_23:
	s_or_b64 exec, exec, s[6:7]
.LBB149_24:
	s_or_b64 exec, exec, s[10:11]
	s_cbranch_execz .LBB149_26
	s_branch .LBB149_37
.LBB149_25:
                                        ; implicit-def: $vgpr37_vgpr38
                                        ; implicit-def: $vgpr41_vgpr42
                                        ; implicit-def: $vgpr33_vgpr34
                                        ; implicit-def: $vgpr35_vgpr36
                                        ; implicit-def: $vgpr31_vgpr32
                                        ; implicit-def: $vgpr39_vgpr40
                                        ; implicit-def: $vgpr25_vgpr26
                                        ; implicit-def: $vgpr29_vgpr30
.LBB149_26:
	v_mov_b32_e32 v37, 0
	v_mov_b32_e32 v41, 0
	v_mov_b32_e32 v33, 0
	v_mov_b32_e32 v35, 0
	v_mov_b32_e32 v31, 0
	v_mov_b32_e32 v39, 0
	v_mov_b32_e32 v25, 0
	v_mov_b32_e32 v29, 0
	v_mov_b32_e32 v38, 0
	v_mov_b32_e32 v42, 0
	v_mov_b32_e32 v34, 0
	v_mov_b32_e32 v36, 0
	v_mov_b32_e32 v32, 0
	v_mov_b32_e32 v40, 0
	v_mov_b32_e32 v26, 0
	v_mov_b32_e32 v30, 0
	s_and_saveexec_b64 s[2:3], s[0:1]
	s_cbranch_execz .LBB149_36
; %bb.27:
	v_or_b32_e32 v19, 64, v0
	v_sub_co_u32_e32 v19, vcc, v19, v9
	v_subb_co_u32_e32 v20, vcc, 0, v10, vcc
	v_add_co_u32_e32 v19, vcc, v19, v17
	v_addc_co_u32_e32 v20, vcc, v20, v18, vcc
	v_cmp_gt_i64_e32 vcc, v[19:20], v[13:14]
	v_not_b32_e32 v17, v17
	v_cndmask_b32_e32 v20, v14, v20, vcc
	v_cndmask_b32_e32 v19, v13, v19, vcc
	v_sub_co_u32_e32 v23, vcc, v9, v0
	v_subbrev_co_u32_e32 v24, vcc, 0, v10, vcc
	v_not_b32_e32 v18, v18
	v_add_co_u32_e32 v17, vcc, v23, v17
	v_addc_co_u32_e32 v18, vcc, v24, v18, vcc
	v_add_co_u32_e32 v17, vcc, v17, v19
	v_addc_co_u32_e32 v18, vcc, v18, v20, vcc
	v_and_b32_e32 v19, 0xc0, v17
	v_mov_b32_e32 v20, 0
	s_mov_b64 s[0:1], 0xc0
	v_cmp_ne_u64_e32 vcc, s[0:1], v[19:20]
	v_mov_b32_e32 v29, 0
	v_mov_b32_e32 v25, 0
	;; [unrolled: 1-line block ×16, first 2 shown]
	s_and_saveexec_b64 s[0:1], vcc
	s_cbranch_execz .LBB149_31
; %bb.28:
	v_lshrrev_b32_e32 v19, 6, v17
	v_add_u32_e32 v19, 1, v19
	v_and_b32_e32 v23, 3, v19
	v_lshlrev_b64 v[19:20], 3, v[11:12]
	v_mov_b32_e32 v24, s13
	v_add_co_u32_e32 v19, vcc, s12, v19
	v_addc_co_u32_e32 v20, vcc, v24, v20, vcc
	v_sub_co_u32_e32 v23, vcc, 0, v23
	v_subb_co_u32_e64 v24, s[10:11], 0, 0, vcc
	v_mov_b32_e32 v37, 0
	s_mov_b32 s10, 0
	v_mov_b32_e32 v41, 0
	v_mov_b32_e32 v33, 0
	;; [unrolled: 1-line block ×7, first 2 shown]
	s_mov_b64 s[6:7], 0
	v_mov_b32_e32 v38, 0
	s_brev_b32 s11, 1
	v_mov_b32_e32 v42, 0
	v_mov_b32_e32 v34, 0
	;; [unrolled: 1-line block ×7, first 2 shown]
	s_movk_i32 s14, 0x2000
.LBB149_29:                             ; =>This Inner Loop Header: Depth=1
	global_load_dwordx2 v[27:28], v[19:20], off
	v_mov_b32_e32 v59, s9
	global_load_dwordx4 v[43:46], v[15:16], off offset:48
	global_load_dwordx4 v[47:50], v[15:16], off offset:32
	;; [unrolled: 1-line block ×3, first 2 shown]
	global_load_dwordx4 v[55:58], v[15:16], off
	s_waitcnt vmcnt(4)
	v_sub_co_u32_e32 v27, vcc, v27, v9
	v_subb_co_u32_e32 v28, vcc, v28, v10, vcc
	v_lshlrev_b64 v[27:28], 6, v[27:28]
	v_add_co_u32_e32 v27, vcc, s8, v27
	v_addc_co_u32_e32 v28, vcc, v59, v28, vcc
	global_load_dwordx4 v[59:62], v[27:28], off offset:48
	global_load_dwordx4 v[63:66], v[27:28], off offset:32
	;; [unrolled: 1-line block ×3, first 2 shown]
	global_load_dwordx4 v[71:74], v[27:28], off
	s_waitcnt vmcnt(0)
	v_fma_f64 v[27:28], v[55:56], v[71:72], v[41:42]
	v_fma_f64 v[37:38], v[71:72], 0, v[37:38]
	;; [unrolled: 1-line block ×35, first 2 shown]
	global_load_dwordx4 v[25:28], v[15:16], off offset:112
	global_load_dwordx4 v[29:32], v[15:16], off offset:96
	;; [unrolled: 1-line block ×4, first 2 shown]
	v_add_co_u32_e32 v15, vcc, s14, v15
	v_addc_co_u32_e32 v16, vcc, 0, v16, vcc
	v_add_co_u32_e32 v11, vcc, 64, v11
	v_addc_co_u32_e32 v12, vcc, 0, v12, vcc
	;; [unrolled: 2-line block ×4, first 2 shown]
	v_cmp_eq_u64_e32 vcc, 0, v[23:24]
	s_or_b64 s[6:7], vcc, s[6:7]
	s_waitcnt vmcnt(1)
	v_fma_f64 v[43:44], v[33:34], v[65:66], v[43:44]
	s_waitcnt vmcnt(0)
	v_fma_f64 v[41:42], v[37:38], v[63:64], v[41:42]
	v_fma_f64 v[37:38], v[37:38], v[65:66], v[47:48]
	;; [unrolled: 1-line block ×28, first 2 shown]
	s_andn2_b64 exec, exec, s[6:7]
	s_cbranch_execnz .LBB149_29
; %bb.30:
	s_or_b64 exec, exec, s[6:7]
.LBB149_31:
	s_or_b64 exec, exec, s[0:1]
	s_mov_b64 s[0:1], 0xbf
	v_cmp_lt_u64_e32 vcc, s[0:1], v[17:18]
	s_and_saveexec_b64 s[6:7], vcc
	s_cbranch_execz .LBB149_35
; %bb.32:
	v_lshlrev_b64 v[17:18], 3, v[11:12]
	v_mov_b32_e32 v19, s13
	v_add_co_u32_e32 v17, vcc, s12, v17
	v_addc_co_u32_e32 v18, vcc, v19, v18, vcc
	v_add_co_u32_e32 v17, vcc, 0x400, v17
	s_mov_b32 s12, 0
	v_addc_co_u32_e32 v18, vcc, 0, v18, vcc
	s_mov_b64 s[10:11], 0
	v_mov_b32_e32 v43, s9
	s_brev_b32 s13, 1
	s_movk_i32 s9, 0x2000
	s_movk_i32 s14, 0x4000
	;; [unrolled: 1-line block ×3, first 2 shown]
.LBB149_33:                             ; =>This Inner Loop Header: Depth=1
	global_load_dwordx2 v[19:20], v[17:18], off offset:-1024
	global_load_dwordx4 v[44:47], v[15:16], off offset:48
	global_load_dwordx4 v[48:51], v[15:16], off offset:32
	;; [unrolled: 1-line block ×3, first 2 shown]
	global_load_dwordx4 v[56:59], v[15:16], off
	s_waitcnt vmcnt(4)
	v_sub_co_u32_e32 v19, vcc, v19, v9
	v_subb_co_u32_e32 v20, vcc, v20, v10, vcc
	v_lshlrev_b64 v[19:20], 6, v[19:20]
	v_add_co_u32_e32 v19, vcc, s8, v19
	v_addc_co_u32_e32 v20, vcc, v43, v20, vcc
	global_load_dwordx4 v[60:63], v[19:20], off offset:48
	global_load_dwordx4 v[64:67], v[19:20], off offset:32
	;; [unrolled: 1-line block ×3, first 2 shown]
	global_load_dwordx4 v[72:75], v[19:20], off
	s_waitcnt vmcnt(0)
	v_fma_f64 v[23:24], v[72:73], 0, v[37:38]
	v_fma_f64 v[27:28], v[58:59], v[72:73], v[35:36]
	;; [unrolled: 1-line block ×34, first 2 shown]
	global_load_dwordx4 v[23:26], v[15:16], off offset:112
	global_load_dwordx4 v[27:30], v[15:16], off offset:96
	;; [unrolled: 1-line block ×4, first 2 shown]
	v_fma_f64 v[46:47], v[64:65], 0, v[46:47]
	s_waitcnt vmcnt(0)
	v_fma_f64 v[19:20], v[35:36], v[64:65], v[19:20]
	v_fma_f64 v[35:36], v[35:36], v[66:67], v[39:40]
	;; [unrolled: 1-line block ×29, first 2 shown]
	global_load_dwordx2 v[23:24], v[17:18], off offset:-512
	v_add_co_u32_e32 v62, vcc, s9, v15
	v_addc_co_u32_e32 v63, vcc, 0, v16, vcc
	s_waitcnt vmcnt(0)
	v_sub_co_u32_e32 v39, vcc, v23, v9
	v_subb_co_u32_e32 v40, vcc, v24, v10, vcc
	v_lshlrev_b64 v[39:40], 6, v[39:40]
	global_load_dwordx4 v[23:26], v[62:63], off
	global_load_dwordx4 v[27:30], v[62:63], off offset:48
	global_load_dwordx4 v[31:34], v[62:63], off offset:32
	;; [unrolled: 1-line block ×3, first 2 shown]
	v_add_co_u32_e32 v72, vcc, s8, v39
	v_addc_co_u32_e32 v73, vcc, v43, v40, vcc
	global_load_dwordx4 v[39:42], v[72:73], off offset:48
	global_load_dwordx4 v[44:47], v[72:73], off offset:32
	;; [unrolled: 1-line block ×3, first 2 shown]
	global_load_dwordx4 v[52:55], v[72:73], off
	s_waitcnt vmcnt(0)
	v_fma_f64 v[56:57], v[52:53], 0, v[56:57]
	v_fma_f64 v[19:20], v[23:24], v[52:53], v[19:20]
	;; [unrolled: 1-line block ×32, first 2 shown]
	global_load_dwordx4 v[23:26], v[62:63], off offset:112
	global_load_dwordx4 v[27:30], v[62:63], off offset:96
	;; [unrolled: 1-line block ×4, first 2 shown]
	v_fma_f64 v[50:51], v[44:45], 0, v[52:53]
	v_fma_f64 v[52:53], v[44:45], 0, v[56:57]
	s_waitcnt vmcnt(0)
	v_fma_f64 v[19:20], v[35:36], v[44:45], v[19:20]
	v_fma_f64 v[35:36], v[35:36], v[46:47], v[50:51]
	;; [unrolled: 1-line block ×30, first 2 shown]
	global_load_dwordx2 v[23:24], v[17:18], off
	s_waitcnt vmcnt(0)
	v_sub_co_u32_e32 v39, vcc, v23, v9
	v_subb_co_u32_e32 v40, vcc, v24, v10, vcc
	v_add_co_u32_e32 v70, vcc, s14, v15
	v_lshlrev_b64 v[39:40], 6, v[39:40]
	v_addc_co_u32_e32 v71, vcc, 0, v16, vcc
	v_add_co_u32_e32 v72, vcc, s8, v39
	v_addc_co_u32_e32 v73, vcc, v43, v40, vcc
	global_load_dwordx4 v[23:26], v[70:71], off
	global_load_dwordx4 v[27:30], v[70:71], off offset:48
	global_load_dwordx4 v[31:34], v[70:71], off offset:32
	;; [unrolled: 1-line block ×6, first 2 shown]
	global_load_dwordx4 v[52:55], v[72:73], off
	s_waitcnt vmcnt(0)
	v_fma_f64 v[56:57], v[52:53], 0, v[56:57]
	v_fma_f64 v[19:20], v[23:24], v[52:53], v[19:20]
	;; [unrolled: 1-line block ×33, first 2 shown]
	global_load_dwordx4 v[33:36], v[70:71], off offset:112
	global_load_dwordx4 v[25:28], v[70:71], off offset:96
	;; [unrolled: 1-line block ×4, first 2 shown]
	s_waitcnt vmcnt(0)
	v_fma_f64 v[19:20], v[48:49], v[44:45], v[19:20]
	v_fma_f64 v[23:24], v[48:49], v[46:47], v[23:24]
	;; [unrolled: 1-line block ×29, first 2 shown]
	global_load_dwordx2 v[37:38], v[17:18], off offset:512
	v_fma_f64 v[29:30], v[41:42], s[12:13], v[29:30]
	v_fma_f64 v[33:34], v[41:42], s[12:13], v[33:34]
	s_waitcnt vmcnt(0)
	v_sub_co_u32_e32 v56, vcc, v37, v9
	v_subb_co_u32_e32 v57, vcc, v38, v10, vcc
	v_add_co_u32_e32 v37, vcc, s15, v15
	v_lshlrev_b64 v[56:57], 6, v[56:57]
	v_addc_co_u32_e32 v38, vcc, 0, v16, vcc
	v_add_co_u32_e32 v72, vcc, s8, v56
	v_addc_co_u32_e32 v73, vcc, v43, v57, vcc
	global_load_dwordx4 v[39:42], v[37:38], off
	global_load_dwordx4 v[44:47], v[37:38], off offset:48
	global_load_dwordx4 v[48:51], v[37:38], off offset:32
	global_load_dwordx4 v[52:55], v[37:38], off offset:16
	global_load_dwordx4 v[56:59], v[72:73], off offset:48
	global_load_dwordx4 v[60:63], v[72:73], off offset:32
	global_load_dwordx4 v[64:67], v[72:73], off offset:16
	global_load_dwordx4 v[68:71], v[72:73], off
	v_add_co_u32_e32 v11, vcc, 0x100, v11
	v_addc_co_u32_e32 v12, vcc, 0, v12, vcc
	v_add_co_u32_e32 v17, vcc, 0x800, v17
	v_addc_co_u32_e32 v18, vcc, 0, v18, vcc
	v_cmp_ge_i64_e64 s[0:1], v[11:12], v[13:14]
	v_add_co_u32_e32 v15, vcc, 0x8000, v15
	v_addc_co_u32_e32 v16, vcc, 0, v16, vcc
	s_or_b64 s[10:11], s[0:1], s[10:11]
	s_waitcnt vmcnt(0)
	v_fma_f64 v[23:24], v[68:69], 0, v[23:24]
	v_fma_f64 v[19:20], v[39:40], v[68:69], v[19:20]
	;; [unrolled: 1-line block ×32, first 2 shown]
	global_load_dwordx4 v[23:26], v[37:38], off offset:112
	global_load_dwordx4 v[27:30], v[37:38], off offset:96
	;; [unrolled: 1-line block ×4, first 2 shown]
	v_fma_f64 v[37:38], v[60:61], 0, v[48:49]
	v_fma_f64 v[46:47], v[60:61], 0, v[50:51]
	;; [unrolled: 1-line block ×3, first 2 shown]
	s_waitcnt vmcnt(1)
	v_fma_f64 v[50:51], v[33:34], v[62:63], v[35:36]
	s_waitcnt vmcnt(0)
	v_fma_f64 v[19:20], v[39:40], v[60:61], v[19:20]
	v_fma_f64 v[37:38], v[39:40], v[62:63], v[37:38]
	;; [unrolled: 1-line block ×28, first 2 shown]
	s_andn2_b64 exec, exec, s[10:11]
	s_cbranch_execnz .LBB149_33
; %bb.34:
	s_or_b64 exec, exec, s[10:11]
.LBB149_35:
	s_or_b64 exec, exec, s[6:7]
.LBB149_36:
	s_or_b64 exec, exec, s[2:3]
.LBB149_37:
	v_mov_b32_dpp v9, v41 row_shr:1 row_mask:0xf bank_mask:0xf
	v_mov_b32_dpp v10, v42 row_shr:1 row_mask:0xf bank_mask:0xf
	v_add_f64 v[9:10], v[41:42], v[9:10]
	v_mov_b32_dpp v11, v37 row_shr:1 row_mask:0xf bank_mask:0xf
	v_mov_b32_dpp v12, v38 row_shr:1 row_mask:0xf bank_mask:0xf
	v_add_f64 v[11:12], v[37:38], v[11:12]
	v_mov_b32_dpp v15, v33 row_shr:1 row_mask:0xf bank_mask:0xf
	v_mov_b32_dpp v37, v31 row_shr:1 row_mask:0xf bank_mask:0xf
	;; [unrolled: 1-line block ×3, first 2 shown]
	v_add_f64 v[31:32], v[31:32], v[37:38]
	v_mov_b32_dpp v13, v9 row_shr:2 row_mask:0xf bank_mask:0xf
	v_mov_b32_dpp v14, v10 row_shr:2 row_mask:0xf bank_mask:0xf
	v_add_f64 v[9:10], v[9:10], v[13:14]
	v_mov_b32_dpp v13, v11 row_shr:2 row_mask:0xf bank_mask:0xf
	v_mov_b32_dpp v14, v12 row_shr:2 row_mask:0xf bank_mask:0xf
	v_add_f64 v[11:12], v[11:12], v[13:14]
	v_mov_b32_dpp v13, v35 row_shr:1 row_mask:0xf bank_mask:0xf
	v_mov_b32_dpp v14, v36 row_shr:1 row_mask:0xf bank_mask:0xf
	v_add_f64 v[13:14], v[35:36], v[13:14]
	v_mov_b32_dpp v37, v29 row_shr:1 row_mask:0xf bank_mask:0xf
	v_mov_b32_dpp v16, v9 row_shr:4 row_mask:0xf bank_mask:0xe
	v_mov_b32_dpp v17, v10 row_shr:4 row_mask:0xf bank_mask:0xe
	v_add_f64 v[9:10], v[9:10], v[16:17]
	v_mov_b32_dpp v16, v11 row_shr:4 row_mask:0xf bank_mask:0xe
	v_mov_b32_dpp v17, v12 row_shr:4 row_mask:0xf bank_mask:0xe
	v_add_f64 v[11:12], v[11:12], v[16:17]
	v_mov_b32_dpp v16, v34 row_shr:1 row_mask:0xf bank_mask:0xf
	v_add_f64 v[15:16], v[33:34], v[15:16]
	v_mov_b32_dpp v17, v13 row_shr:2 row_mask:0xf bank_mask:0xf
	v_mov_b32_dpp v18, v14 row_shr:2 row_mask:0xf bank_mask:0xf
	;; [unrolled: 1-line block ×4, first 2 shown]
	v_add_f64 v[9:10], v[9:10], v[19:20]
	v_add_f64 v[13:14], v[13:14], v[17:18]
	v_mov_b32_dpp v19, v11 row_shr:8 row_mask:0xf bank_mask:0xc
	v_mov_b32_dpp v17, v15 row_shr:2 row_mask:0xf bank_mask:0xf
	;; [unrolled: 1-line block ×3, first 2 shown]
	v_add_f64 v[15:16], v[15:16], v[17:18]
	v_mov_b32_dpp v20, v12 row_shr:8 row_mask:0xf bank_mask:0xc
	v_add_f64 v[11:12], v[11:12], v[19:20]
	v_mov_b32_dpp v17, v9 row_bcast:15 row_mask:0xa bank_mask:0xf
	v_mov_b32_dpp v18, v10 row_bcast:15 row_mask:0xa bank_mask:0xf
	v_add_f64 v[9:10], v[9:10], v[17:18]
	v_mov_b32_dpp v19, v14 row_shr:4 row_mask:0xf bank_mask:0xe
	v_mov_b32_dpp v18, v13 row_shr:4 row_mask:0xf bank_mask:0xe
	v_add_f64 v[13:14], v[13:14], v[18:19]
	v_mov_b32_dpp v19, v16 row_shr:4 row_mask:0xf bank_mask:0xe
	v_mov_b32_dpp v18, v15 row_shr:4 row_mask:0xf bank_mask:0xe
	v_add_f64 v[15:16], v[15:16], v[18:19]
	v_mov_b32_dpp v19, v40 row_shr:1 row_mask:0xf bank_mask:0xf
	v_mov_b32_dpp v18, v39 row_shr:1 row_mask:0xf bank_mask:0xf
	v_add_f64 v[19:20], v[39:40], v[18:19]
	v_mov_b32_dpp v17, v11 row_bcast:15 row_mask:0xa bank_mask:0xf
	v_mov_b32_dpp v23, v13 row_shr:8 row_mask:0xf bank_mask:0xc
	v_mov_b32_dpp v24, v14 row_shr:8 row_mask:0xf bank_mask:0xc
	v_add_f64 v[13:14], v[13:14], v[23:24]
	v_mov_b32_dpp v23, v15 row_shr:8 row_mask:0xf bank_mask:0xc
	v_mov_b32_dpp v24, v16 row_shr:8 row_mask:0xf bank_mask:0xc
	v_add_f64 v[15:16], v[15:16], v[23:24]
	;; [unrolled: 3-line block ×3, first 2 shown]
	v_mov_b32_dpp v18, v12 row_bcast:15 row_mask:0xa bank_mask:0xf
	v_add_f64 v[11:12], v[11:12], v[17:18]
	v_mov_b32_dpp v17, v13 row_bcast:15 row_mask:0xa bank_mask:0xf
	v_mov_b32_dpp v18, v14 row_bcast:15 row_mask:0xa bank_mask:0xf
	v_add_f64 v[13:14], v[13:14], v[17:18]
	v_mov_b32_dpp v17, v15 row_bcast:15 row_mask:0xa bank_mask:0xf
	v_mov_b32_dpp v18, v16 row_bcast:15 row_mask:0xa bank_mask:0xf
	v_add_f64 v[15:16], v[15:16], v[17:18]
	v_mov_b32_dpp v17, v19 row_shr:4 row_mask:0xf bank_mask:0xe
	v_mov_b32_dpp v18, v20 row_shr:4 row_mask:0xf bank_mask:0xe
	v_add_f64 v[33:34], v[19:20], v[17:18]
	v_mov_b32_dpp v38, v30 row_shr:1 row_mask:0xf bank_mask:0xf
	v_add_f64 v[29:30], v[29:30], v[37:38]
	v_mov_b32_dpp v37, v25 row_shr:1 row_mask:0xf bank_mask:0xf
	v_mov_b32_dpp v38, v26 row_shr:1 row_mask:0xf bank_mask:0xf
	v_add_f64 v[25:26], v[25:26], v[37:38]
	v_mov_b32_dpp v27, v9 row_bcast:31 row_mask:0xc bank_mask:0xf
	v_mov_b32_dpp v28, v10 row_bcast:31 row_mask:0xc bank_mask:0xf
	v_mov_b32_dpp v35, v33 row_shr:8 row_mask:0xf bank_mask:0xc
	v_mov_b32_dpp v36, v34 row_shr:8 row_mask:0xf bank_mask:0xc
	v_add_f64 v[33:34], v[33:34], v[35:36]
	v_mov_b32_dpp v35, v31 row_shr:2 row_mask:0xf bank_mask:0xf
	v_mov_b32_dpp v36, v32 row_shr:2 row_mask:0xf bank_mask:0xf
	v_add_f64 v[31:32], v[31:32], v[35:36]
	;; [unrolled: 3-line block ×4, first 2 shown]
	v_mov_b32_dpp v35, v33 row_bcast:15 row_mask:0xa bank_mask:0xf
	v_mov_b32_dpp v36, v31 row_shr:4 row_mask:0xf bank_mask:0xe
	v_mov_b32_dpp v37, v32 row_shr:4 row_mask:0xf bank_mask:0xe
	v_add_f64 v[31:32], v[31:32], v[36:37]
	v_mov_b32_dpp v36, v29 row_shr:4 row_mask:0xf bank_mask:0xe
	v_mov_b32_dpp v37, v30 row_shr:4 row_mask:0xf bank_mask:0xe
	v_add_f64 v[29:30], v[29:30], v[36:37]
	;; [unrolled: 3-line block ×3, first 2 shown]
	v_mov_b32_dpp v36, v34 row_bcast:15 row_mask:0xa bank_mask:0xf
	v_mov_b32_dpp v37, v31 row_shr:8 row_mask:0xf bank_mask:0xc
	v_mov_b32_dpp v38, v32 row_shr:8 row_mask:0xf bank_mask:0xc
	v_add_f64 v[31:32], v[31:32], v[37:38]
	v_mov_b32_dpp v37, v29 row_shr:8 row_mask:0xf bank_mask:0xc
	v_mov_b32_dpp v38, v30 row_shr:8 row_mask:0xf bank_mask:0xc
	v_add_f64 v[37:38], v[29:30], v[37:38]
	;; [unrolled: 3-line block ×3, first 2 shown]
	v_add_f64 v[25:26], v[33:34], v[35:36]
	v_mov_b32_dpp v29, v31 row_bcast:15 row_mask:0xa bank_mask:0xf
	v_mov_b32_dpp v30, v32 row_bcast:15 row_mask:0xa bank_mask:0xf
	v_add_f64 v[29:30], v[31:32], v[29:30]
	v_mov_b32_dpp v31, v37 row_bcast:15 row_mask:0xa bank_mask:0xf
	v_mov_b32_dpp v32, v38 row_bcast:15 row_mask:0xa bank_mask:0xf
	;; [unrolled: 3-line block ×4, first 2 shown]
	v_mov_b32_dpp v19, v13 row_bcast:31 row_mask:0xc bank_mask:0xf
	v_mov_b32_dpp v20, v14 row_bcast:31 row_mask:0xc bank_mask:0xf
	;; [unrolled: 1-line block ×12, first 2 shown]
	v_cmp_eq_u32_e32 vcc, 63, v0
	s_and_b64 exec, exec, vcc
	s_cbranch_execz .LBB149_8
; %bb.38:
	v_add_f64 v[11:12], v[11:12], v[23:24]
	v_add_f64 v[23:24], v[13:14], v[19:20]
	;; [unrolled: 1-line block ×8, first 2 shown]
	v_mul_f64 v[19:20], v[11:12], -v[7:8]
	v_mul_f64 v[11:12], v[5:6], v[11:12]
	v_mul_f64 v[29:30], v[13:14], -v[7:8]
	v_mul_f64 v[31:32], v[5:6], v[13:14]
	;; [unrolled: 2-line block ×4, first 2 shown]
	v_cmp_eq_f64_e32 vcc, 0, v[1:2]
	v_cmp_eq_f64_e64 s[0:1], 0, v[3:4]
	v_fma_f64 v[17:18], v[5:6], v[9:10], v[19:20]
	v_fma_f64 v[19:20], v[7:8], v[9:10], v[11:12]
	;; [unrolled: 1-line block ×8, first 2 shown]
	s_load_dwordx2 s[2:3], s[4:5], 0x68
	v_lshlrev_b64 v[21:22], 6, v[21:22]
	s_and_b64 s[0:1], vcc, s[0:1]
	s_and_saveexec_b64 s[4:5], s[0:1]
	s_xor_b64 s[0:1], exec, s[4:5]
	s_cbranch_execz .LBB149_40
; %bb.39:
	s_waitcnt lgkmcnt(0)
	v_mov_b32_e32 v1, s3
	v_add_co_u32_e32 v0, vcc, s2, v21
	v_addc_co_u32_e32 v1, vcc, v1, v22, vcc
	global_store_dwordx4 v[0:1], v[17:20], off
	global_store_dwordx4 v[0:1], v[13:16], off offset:16
	global_store_dwordx4 v[0:1], v[9:12], off offset:32
	;; [unrolled: 1-line block ×3, first 2 shown]
                                        ; implicit-def: $vgpr3_vgpr4
                                        ; implicit-def: $vgpr17_vgpr18
                                        ; implicit-def: $vgpr21_vgpr22
                                        ; implicit-def: $vgpr13_vgpr14
                                        ; implicit-def: $vgpr9_vgpr10
                                        ; implicit-def: $vgpr5_vgpr6
.LBB149_40:
	s_andn2_saveexec_b64 s[0:1], s[0:1]
	s_cbranch_execz .LBB149_8
; %bb.41:
	s_waitcnt lgkmcnt(0)
	v_mov_b32_e32 v0, s3
	v_add_co_u32_e32 v37, vcc, s2, v21
	v_addc_co_u32_e32 v38, vcc, v0, v22, vcc
	global_load_dwordx4 v[21:24], v[37:38], off
	global_load_dwordx4 v[25:28], v[37:38], off offset:16
	global_load_dwordx4 v[29:32], v[37:38], off offset:32
	;; [unrolled: 1-line block ×3, first 2 shown]
	s_waitcnt vmcnt(3)
	v_fma_f64 v[17:18], v[1:2], v[21:22], v[17:18]
	v_fma_f64 v[19:20], v[3:4], v[21:22], v[19:20]
	s_waitcnt vmcnt(2)
	v_fma_f64 v[13:14], v[1:2], v[25:26], v[13:14]
	v_fma_f64 v[15:16], v[3:4], v[25:26], v[15:16]
	s_waitcnt vmcnt(1)
	v_fma_f64 v[21:22], v[1:2], v[29:30], v[9:10]
	v_fma_f64 v[25:26], v[3:4], v[29:30], v[11:12]
	s_waitcnt vmcnt(0)
	v_fma_f64 v[29:30], v[1:2], v[33:34], v[5:6]
	v_fma_f64 v[33:34], v[3:4], v[33:34], v[7:8]
	v_fma_f64 v[5:6], -v[3:4], v[23:24], v[17:18]
	v_fma_f64 v[7:8], v[1:2], v[23:24], v[19:20]
	v_fma_f64 v[9:10], -v[3:4], v[27:28], v[13:14]
	v_fma_f64 v[11:12], v[1:2], v[27:28], v[15:16]
	;; [unrolled: 2-line block ×4, first 2 shown]
	global_store_dwordx4 v[37:38], v[5:8], off
	global_store_dwordx4 v[37:38], v[9:12], off offset:16
	global_store_dwordx4 v[37:38], v[13:16], off offset:32
	global_store_dwordx4 v[37:38], v[17:20], off offset:48
	s_endpgm
	.section	.rodata,"a",@progbits
	.p2align	6, 0x0
	.amdhsa_kernel _ZN9rocsparseL18bsrxmvn_4x4_kernelILj128ELj64E21rocsparse_complex_numIdElldS2_S2_EEvT3_20rocsparse_direction_NS_24const_host_device_scalarIT1_EES3_PKS3_PKT2_SC_S9_PKT4_PKT5_S7_PT6_21rocsparse_index_base_b
		.amdhsa_group_segment_fixed_size 0
		.amdhsa_private_segment_fixed_size 0
		.amdhsa_kernarg_size 120
		.amdhsa_user_sgpr_count 6
		.amdhsa_user_sgpr_private_segment_buffer 1
		.amdhsa_user_sgpr_dispatch_ptr 0
		.amdhsa_user_sgpr_queue_ptr 0
		.amdhsa_user_sgpr_kernarg_segment_ptr 1
		.amdhsa_user_sgpr_dispatch_id 0
		.amdhsa_user_sgpr_flat_scratch_init 0
		.amdhsa_user_sgpr_private_segment_size 0
		.amdhsa_uses_dynamic_stack 0
		.amdhsa_system_sgpr_private_segment_wavefront_offset 0
		.amdhsa_system_sgpr_workgroup_id_x 1
		.amdhsa_system_sgpr_workgroup_id_y 0
		.amdhsa_system_sgpr_workgroup_id_z 0
		.amdhsa_system_sgpr_workgroup_info 0
		.amdhsa_system_vgpr_workitem_id 0
		.amdhsa_next_free_vgpr 90
		.amdhsa_next_free_sgpr 21
		.amdhsa_reserve_vcc 1
		.amdhsa_reserve_flat_scratch 0
		.amdhsa_float_round_mode_32 0
		.amdhsa_float_round_mode_16_64 0
		.amdhsa_float_denorm_mode_32 3
		.amdhsa_float_denorm_mode_16_64 3
		.amdhsa_dx10_clamp 1
		.amdhsa_ieee_mode 1
		.amdhsa_fp16_overflow 0
		.amdhsa_exception_fp_ieee_invalid_op 0
		.amdhsa_exception_fp_denorm_src 0
		.amdhsa_exception_fp_ieee_div_zero 0
		.amdhsa_exception_fp_ieee_overflow 0
		.amdhsa_exception_fp_ieee_underflow 0
		.amdhsa_exception_fp_ieee_inexact 0
		.amdhsa_exception_int_div_zero 0
	.end_amdhsa_kernel
	.section	.text._ZN9rocsparseL18bsrxmvn_4x4_kernelILj128ELj64E21rocsparse_complex_numIdElldS2_S2_EEvT3_20rocsparse_direction_NS_24const_host_device_scalarIT1_EES3_PKS3_PKT2_SC_S9_PKT4_PKT5_S7_PT6_21rocsparse_index_base_b,"axG",@progbits,_ZN9rocsparseL18bsrxmvn_4x4_kernelILj128ELj64E21rocsparse_complex_numIdElldS2_S2_EEvT3_20rocsparse_direction_NS_24const_host_device_scalarIT1_EES3_PKS3_PKT2_SC_S9_PKT4_PKT5_S7_PT6_21rocsparse_index_base_b,comdat
.Lfunc_end149:
	.size	_ZN9rocsparseL18bsrxmvn_4x4_kernelILj128ELj64E21rocsparse_complex_numIdElldS2_S2_EEvT3_20rocsparse_direction_NS_24const_host_device_scalarIT1_EES3_PKS3_PKT2_SC_S9_PKT4_PKT5_S7_PT6_21rocsparse_index_base_b, .Lfunc_end149-_ZN9rocsparseL18bsrxmvn_4x4_kernelILj128ELj64E21rocsparse_complex_numIdElldS2_S2_EEvT3_20rocsparse_direction_NS_24const_host_device_scalarIT1_EES3_PKS3_PKT2_SC_S9_PKT4_PKT5_S7_PT6_21rocsparse_index_base_b
                                        ; -- End function
	.set _ZN9rocsparseL18bsrxmvn_4x4_kernelILj128ELj64E21rocsparse_complex_numIdElldS2_S2_EEvT3_20rocsparse_direction_NS_24const_host_device_scalarIT1_EES3_PKS3_PKT2_SC_S9_PKT4_PKT5_S7_PT6_21rocsparse_index_base_b.num_vgpr, 90
	.set _ZN9rocsparseL18bsrxmvn_4x4_kernelILj128ELj64E21rocsparse_complex_numIdElldS2_S2_EEvT3_20rocsparse_direction_NS_24const_host_device_scalarIT1_EES3_PKS3_PKT2_SC_S9_PKT4_PKT5_S7_PT6_21rocsparse_index_base_b.num_agpr, 0
	.set _ZN9rocsparseL18bsrxmvn_4x4_kernelILj128ELj64E21rocsparse_complex_numIdElldS2_S2_EEvT3_20rocsparse_direction_NS_24const_host_device_scalarIT1_EES3_PKS3_PKT2_SC_S9_PKT4_PKT5_S7_PT6_21rocsparse_index_base_b.numbered_sgpr, 21
	.set _ZN9rocsparseL18bsrxmvn_4x4_kernelILj128ELj64E21rocsparse_complex_numIdElldS2_S2_EEvT3_20rocsparse_direction_NS_24const_host_device_scalarIT1_EES3_PKS3_PKT2_SC_S9_PKT4_PKT5_S7_PT6_21rocsparse_index_base_b.num_named_barrier, 0
	.set _ZN9rocsparseL18bsrxmvn_4x4_kernelILj128ELj64E21rocsparse_complex_numIdElldS2_S2_EEvT3_20rocsparse_direction_NS_24const_host_device_scalarIT1_EES3_PKS3_PKT2_SC_S9_PKT4_PKT5_S7_PT6_21rocsparse_index_base_b.private_seg_size, 0
	.set _ZN9rocsparseL18bsrxmvn_4x4_kernelILj128ELj64E21rocsparse_complex_numIdElldS2_S2_EEvT3_20rocsparse_direction_NS_24const_host_device_scalarIT1_EES3_PKS3_PKT2_SC_S9_PKT4_PKT5_S7_PT6_21rocsparse_index_base_b.uses_vcc, 1
	.set _ZN9rocsparseL18bsrxmvn_4x4_kernelILj128ELj64E21rocsparse_complex_numIdElldS2_S2_EEvT3_20rocsparse_direction_NS_24const_host_device_scalarIT1_EES3_PKS3_PKT2_SC_S9_PKT4_PKT5_S7_PT6_21rocsparse_index_base_b.uses_flat_scratch, 0
	.set _ZN9rocsparseL18bsrxmvn_4x4_kernelILj128ELj64E21rocsparse_complex_numIdElldS2_S2_EEvT3_20rocsparse_direction_NS_24const_host_device_scalarIT1_EES3_PKS3_PKT2_SC_S9_PKT4_PKT5_S7_PT6_21rocsparse_index_base_b.has_dyn_sized_stack, 0
	.set _ZN9rocsparseL18bsrxmvn_4x4_kernelILj128ELj64E21rocsparse_complex_numIdElldS2_S2_EEvT3_20rocsparse_direction_NS_24const_host_device_scalarIT1_EES3_PKS3_PKT2_SC_S9_PKT4_PKT5_S7_PT6_21rocsparse_index_base_b.has_recursion, 0
	.set _ZN9rocsparseL18bsrxmvn_4x4_kernelILj128ELj64E21rocsparse_complex_numIdElldS2_S2_EEvT3_20rocsparse_direction_NS_24const_host_device_scalarIT1_EES3_PKS3_PKT2_SC_S9_PKT4_PKT5_S7_PT6_21rocsparse_index_base_b.has_indirect_call, 0
	.section	.AMDGPU.csdata,"",@progbits
; Kernel info:
; codeLenInByte = 9960
; TotalNumSgprs: 25
; NumVgprs: 90
; ScratchSize: 0
; MemoryBound: 0
; FloatMode: 240
; IeeeMode: 1
; LDSByteSize: 0 bytes/workgroup (compile time only)
; SGPRBlocks: 3
; VGPRBlocks: 22
; NumSGPRsForWavesPerEU: 25
; NumVGPRsForWavesPerEU: 90
; Occupancy: 2
; WaveLimiterHint : 1
; COMPUTE_PGM_RSRC2:SCRATCH_EN: 0
; COMPUTE_PGM_RSRC2:USER_SGPR: 6
; COMPUTE_PGM_RSRC2:TRAP_HANDLER: 0
; COMPUTE_PGM_RSRC2:TGID_X_EN: 1
; COMPUTE_PGM_RSRC2:TGID_Y_EN: 0
; COMPUTE_PGM_RSRC2:TGID_Z_EN: 0
; COMPUTE_PGM_RSRC2:TIDIG_COMP_CNT: 0
	.section	.text._ZN9rocsparseL18bsrxmvn_4x4_kernelILj128ELj4EdiifddEEvT3_20rocsparse_direction_NS_24const_host_device_scalarIT1_EES1_PKS1_PKT2_SA_S7_PKT4_PKT5_S5_PT6_21rocsparse_index_base_b,"axG",@progbits,_ZN9rocsparseL18bsrxmvn_4x4_kernelILj128ELj4EdiifddEEvT3_20rocsparse_direction_NS_24const_host_device_scalarIT1_EES1_PKS1_PKT2_SA_S7_PKT4_PKT5_S5_PT6_21rocsparse_index_base_b,comdat
	.globl	_ZN9rocsparseL18bsrxmvn_4x4_kernelILj128ELj4EdiifddEEvT3_20rocsparse_direction_NS_24const_host_device_scalarIT1_EES1_PKS1_PKT2_SA_S7_PKT4_PKT5_S5_PT6_21rocsparse_index_base_b ; -- Begin function _ZN9rocsparseL18bsrxmvn_4x4_kernelILj128ELj4EdiifddEEvT3_20rocsparse_direction_NS_24const_host_device_scalarIT1_EES1_PKS1_PKT2_SA_S7_PKT4_PKT5_S5_PT6_21rocsparse_index_base_b
	.p2align	8
	.type	_ZN9rocsparseL18bsrxmvn_4x4_kernelILj128ELj4EdiifddEEvT3_20rocsparse_direction_NS_24const_host_device_scalarIT1_EES1_PKS1_PKT2_SA_S7_PKT4_PKT5_S5_PT6_21rocsparse_index_base_b,@function
_ZN9rocsparseL18bsrxmvn_4x4_kernelILj128ELj4EdiifddEEvT3_20rocsparse_direction_NS_24const_host_device_scalarIT1_EES1_PKS1_PKT2_SA_S7_PKT4_PKT5_S5_PT6_21rocsparse_index_base_b: ; @_ZN9rocsparseL18bsrxmvn_4x4_kernelILj128ELj4EdiifddEEvT3_20rocsparse_direction_NS_24const_host_device_scalarIT1_EES1_PKS1_PKT2_SA_S7_PKT4_PKT5_S5_PT6_21rocsparse_index_base_b
; %bb.0:
	s_load_dwordx2 s[16:17], s[4:5], 0x58
	s_load_dwordx2 s[8:9], s[4:5], 0x8
	;; [unrolled: 1-line block ×3, first 2 shown]
	s_waitcnt lgkmcnt(0)
	s_bitcmp1_b32 s17, 0
	s_cselect_b64 s[10:11], -1, 0
	v_mov_b32_e32 v2, s8
	s_xor_b64 s[2:3], s[10:11], -1
	s_and_b64 vcc, exec, s[10:11]
	v_mov_b32_e32 v3, s9
	s_cbranch_vccnz .LBB150_2
; %bb.1:
	v_mov_b32_e32 v1, s8
	v_mov_b32_e32 v2, s9
	flat_load_dwordx2 v[2:3], v[1:2]
.LBB150_2:
	v_mov_b32_e32 v9, s1
	s_andn2_b64 vcc, exec, s[2:3]
	v_mov_b32_e32 v8, s0
	s_cbranch_vccnz .LBB150_4
; %bb.3:
	v_mov_b32_e32 v5, s1
	v_mov_b32_e32 v4, s0
	flat_load_dwordx2 v[8:9], v[4:5]
.LBB150_4:
	s_waitcnt vmcnt(0) lgkmcnt(0)
	v_cmp_neq_f64_e32 vcc, 0, v[2:3]
	v_cmp_neq_f64_e64 s[0:1], 1.0, v[8:9]
	s_mov_b64 s[2:3], 0
	s_or_b64 s[0:1], vcc, s[0:1]
	s_and_saveexec_b64 s[8:9], s[0:1]
	s_cbranch_execz .LBB150_10
; %bb.5:
	s_load_dwordx2 s[8:9], s[4:5], 0x18
	s_load_dwordx2 s[0:1], s[4:5], 0x0
	v_lshrrev_b32_e32 v1, 2, v0
	v_lshl_or_b32 v10, s6, 5, v1
	s_mov_b64 s[6:7], 0
	s_waitcnt lgkmcnt(0)
	s_cmp_lg_u64 s[8:9], 0
	s_cbranch_scc0 .LBB150_11
; %bb.6:
	s_load_dword s2, s[4:5], 0x10
                                        ; implicit-def: $vgpr1
	s_waitcnt lgkmcnt(0)
	v_cmp_gt_i32_e32 vcc, s2, v10
	s_and_saveexec_b64 s[2:3], vcc
	s_xor_b64 s[2:3], exec, s[2:3]
	s_cbranch_execz .LBB150_8
; %bb.7:
	v_ashrrev_i32_e32 v11, 31, v10
	v_lshlrev_b64 v[4:5], 2, v[10:11]
	v_mov_b32_e32 v1, s9
	v_add_co_u32_e32 v4, vcc, s8, v4
	v_addc_co_u32_e32 v5, vcc, v1, v5, vcc
	global_load_dword v1, v[4:5], off
	s_mov_b64 s[6:7], exec
	s_waitcnt vmcnt(0)
	v_subrev_u32_e32 v1, s16, v1
.LBB150_8:
	s_or_b64 exec, exec, s[2:3]
	s_mov_b64 s[2:3], s[6:7]
	s_branch .LBB150_12
.LBB150_9:
	v_cmp_gt_i32_e32 vcc, s0, v10
	s_andn2_b64 s[2:3], s[2:3], exec
	s_and_b64 s[6:7], vcc, exec
	s_or_b64 s[2:3], s[2:3], s[6:7]
	s_and_b64 exec, exec, s[2:3]
	s_cbranch_execnz .LBB150_13
.LBB150_10:
	s_endpgm
.LBB150_11:
                                        ; implicit-def: $vgpr1
	s_cbranch_execnz .LBB150_9
.LBB150_12:
	v_mov_b32_e32 v10, v1
	s_and_b64 exec, exec, s[2:3]
	s_cbranch_execz .LBB150_10
.LBB150_13:
	s_load_dwordx8 s[8:15], s[4:5], 0x20
	v_ashrrev_i32_e32 v11, 31, v10
	v_lshlrev_b64 v[4:5], 2, v[10:11]
	v_and_b32_e32 v21, 3, v0
	s_load_dwordx2 s[6:7], s[4:5], 0x40
	s_waitcnt lgkmcnt(0)
	v_mov_b32_e32 v1, s9
	v_add_co_u32_e32 v6, vcc, s8, v4
	v_addc_co_u32_e32 v7, vcc, v1, v5, vcc
	v_add_co_u32_e32 v1, vcc, 4, v6
	global_load_dword v23, v[6:7], off
	v_addc_co_u32_e32 v6, vcc, 0, v7, vcc
	v_mov_b32_e32 v7, s11
	v_add_co_u32_e32 v4, vcc, s10, v4
	s_cmp_eq_u64 s[10:11], 0
	v_addc_co_u32_e32 v5, vcc, v7, v5, vcc
	s_cselect_b64 vcc, -1, 0
	v_cndmask_b32_e32 v5, v5, v6, vcc
	v_cndmask_b32_e32 v4, v4, v1, vcc
	global_load_dword v1, v[4:5], off
	v_mov_b32_e32 v6, s15
	s_cmp_eq_u32 s1, 1
	s_waitcnt vmcnt(1)
	v_subrev_u32_e32 v0, s16, v23
	v_add_u32_e32 v0, v0, v21
	s_waitcnt vmcnt(0)
	v_subrev_u32_e32 v22, s16, v1
	v_ashrrev_i32_e32 v1, 31, v0
	v_lshlrev_b64 v[4:5], 6, v[0:1]
	v_cmp_lt_i32_e64 s[0:1], v0, v22
	v_add_co_u32_e32 v4, vcc, s14, v4
	v_addc_co_u32_e32 v5, vcc, v6, v5, vcc
	s_cbranch_scc1 .LBB150_25
; %bb.14:
	v_mov_b32_e32 v19, 0
	v_mov_b32_e32 v17, 0
	;; [unrolled: 1-line block ×8, first 2 shown]
	s_and_saveexec_b64 s[8:9], s[0:1]
	s_cbranch_execz .LBB150_24
; %bb.15:
	v_add_u32_e32 v1, v23, v21
	v_subrev_u32_e32 v1, s16, v1
	v_add_u32_e32 v1, 4, v1
	v_max_i32_e32 v1, v1, v22
	v_not_b32_e32 v6, v23
	v_add3_u32 v1, s16, v1, v6
	v_sub_u32_e32 v1, v1, v21
	v_and_b32_e32 v6, 12, v1
	v_cmp_ne_u32_e32 vcc, 12, v6
	v_mov_b32_e32 v13, 0
	v_mov_b32_e32 v15, 0
	v_mov_b32_e32 v17, 0
	v_mov_b32_e32 v19, 0
	v_mov_b32_e32 v7, v5
	v_mov_b32_e32 v14, 0
	v_mov_b32_e32 v16, 0
	v_mov_b32_e32 v18, 0
	v_mov_b32_e32 v20, 0
	v_mov_b32_e32 v11, v0
	v_mov_b32_e32 v6, v4
	s_and_saveexec_b64 s[10:11], vcc
	s_cbranch_execz .LBB150_19
; %bb.16:
	v_lshrrev_b32_e32 v6, 2, v1
	v_add_u32_e32 v6, 1, v6
	v_and_b32_e32 v6, 3, v6
	v_sub_u32_e32 v24, 0, v6
	v_mov_b32_e32 v19, 0
	v_mov_b32_e32 v7, v5
	;; [unrolled: 1-line block ×6, first 2 shown]
	s_mov_b64 s[14:15], 0
	v_mov_b32_e32 v25, s13
	v_mov_b32_e32 v26, s7
	v_mov_b32_e32 v6, v4
	v_mov_b32_e32 v18, 0
	v_mov_b32_e32 v16, 0
	v_mov_b32_e32 v14, 0
	v_mov_b32_e32 v11, v0
.LBB150_17:                             ; =>This Inner Loop Header: Depth=1
	v_ashrrev_i32_e32 v12, 31, v11
	v_lshlrev_b64 v[27:28], 2, v[11:12]
	v_add_co_u32_e64 v24, s[2:3], 1, v24
	v_add_co_u32_e32 v43, vcc, s12, v27
	v_addc_co_u32_e32 v44, vcc, v25, v28, vcc
	global_load_dword v12, v[43:44], off
	global_load_dwordx4 v[27:30], v[6:7], off
	global_load_dwordx4 v[31:34], v[6:7], off offset:16
	global_load_dwordx4 v[35:38], v[6:7], off offset:32
	;; [unrolled: 1-line block ×3, first 2 shown]
	s_or_b64 s[14:15], s[2:3], s[14:15]
	v_add_u32_e32 v11, 4, v11
	s_waitcnt vmcnt(4)
	v_subrev_u32_e32 v12, s16, v12
	v_lshlrev_b32_e32 v43, 2, v12
	v_ashrrev_i32_e32 v44, 31, v43
	v_lshlrev_b64 v[43:44], 3, v[43:44]
	s_waitcnt vmcnt(2)
	v_cvt_f64_f32_e32 v[53:54], v31
	v_add_co_u32_e32 v51, vcc, s6, v43
	v_addc_co_u32_e32 v52, vcc, v26, v44, vcc
	global_load_dwordx4 v[43:46], v[51:52], off
	global_load_dwordx4 v[47:50], v[51:52], off offset:16
	v_cvt_f64_f32_e32 v[51:52], v27
	s_waitcnt vmcnt(3)
	v_cvt_f64_f32_e32 v[55:56], v35
	s_waitcnt vmcnt(2)
	v_cvt_f64_f32_e32 v[57:58], v39
	v_cvt_f64_f32_e32 v[27:28], v28
	;; [unrolled: 1-line block ×5, first 2 shown]
	v_add_co_u32_e32 v6, vcc, 0x100, v6
	v_addc_co_u32_e32 v7, vcc, 0, v7, vcc
	s_waitcnt vmcnt(1)
	v_fma_f64 v[12:13], v[51:52], v[43:44], v[13:14]
	v_fma_f64 v[14:15], v[53:54], v[43:44], v[15:16]
	;; [unrolled: 1-line block ×8, first 2 shown]
	v_cvt_f64_f32_e32 v[27:28], v29
	v_cvt_f64_f32_e32 v[31:32], v33
	;; [unrolled: 1-line block ×4, first 2 shown]
	s_waitcnt vmcnt(0)
	v_fma_f64 v[12:13], v[27:28], v[47:48], v[12:13]
	v_fma_f64 v[27:28], v[31:32], v[47:48], v[14:15]
	;; [unrolled: 1-line block ×4, first 2 shown]
	v_cvt_f64_f32_e32 v[14:15], v30
	v_cvt_f64_f32_e32 v[16:17], v34
	v_cvt_f64_f32_e32 v[29:30], v38
	v_cvt_f64_f32_e32 v[33:34], v42
	v_fma_f64 v[13:14], v[14:15], v[49:50], v[12:13]
	v_fma_f64 v[15:16], v[16:17], v[49:50], v[27:28]
	;; [unrolled: 1-line block ×4, first 2 shown]
	s_andn2_b64 exec, exec, s[14:15]
	s_cbranch_execnz .LBB150_17
; %bb.18:
	s_or_b64 exec, exec, s[14:15]
.LBB150_19:
	s_or_b64 exec, exec, s[10:11]
	v_cmp_lt_u32_e32 vcc, 11, v1
	s_and_saveexec_b64 s[2:3], vcc
	s_cbranch_execz .LBB150_23
; %bb.20:
	s_mov_b64 s[10:11], 0
	v_mov_b32_e32 v1, s13
	v_mov_b32_e32 v24, s7
.LBB150_21:                             ; =>This Inner Loop Header: Depth=1
	v_ashrrev_i32_e32 v12, 31, v11
	v_lshlrev_b64 v[25:26], 2, v[11:12]
	v_add_u32_e32 v11, 16, v11
	v_add_co_u32_e32 v49, vcc, s12, v25
	v_addc_co_u32_e32 v50, vcc, v1, v26, vcc
	global_load_dword v12, v[49:50], off
	global_load_dwordx4 v[25:28], v[6:7], off offset:48
	global_load_dwordx4 v[29:32], v[6:7], off offset:32
	;; [unrolled: 1-line block ×3, first 2 shown]
	global_load_dwordx4 v[37:40], v[6:7], off
	s_waitcnt vmcnt(4)
	v_subrev_u32_e32 v12, s16, v12
	v_lshlrev_b32_e32 v41, 2, v12
	v_ashrrev_i32_e32 v42, 31, v41
	v_lshlrev_b64 v[41:42], 3, v[41:42]
	s_waitcnt vmcnt(0)
	v_cvt_f64_f32_e32 v[51:52], v37
	v_add_co_u32_e32 v53, vcc, s6, v41
	v_addc_co_u32_e32 v54, vcc, v24, v42, vcc
	global_load_dwordx4 v[41:44], v[53:54], off offset:16
	global_load_dwordx4 v[45:48], v[53:54], off
	v_cvt_f64_f32_e32 v[37:38], v38
	s_waitcnt vmcnt(0)
	v_fma_f64 v[12:13], v[51:52], v[45:46], v[13:14]
	v_fma_f64 v[12:13], v[37:38], v[47:48], v[12:13]
	v_cvt_f64_f32_e32 v[37:38], v39
	v_fma_f64 v[12:13], v[37:38], v[41:42], v[12:13]
	v_cvt_f64_f32_e32 v[37:38], v40
	;; [unrolled: 2-line block ×7, first 2 shown]
	v_cvt_f64_f32_e32 v[14:15], v30
	v_fma_f64 v[12:13], v[12:13], v[45:46], v[17:18]
	v_fma_f64 v[12:13], v[14:15], v[47:48], v[12:13]
	v_cvt_f64_f32_e32 v[14:15], v31
	v_fma_f64 v[12:13], v[14:15], v[41:42], v[12:13]
	v_cvt_f64_f32_e32 v[14:15], v32
	;; [unrolled: 2-line block ×3, first 2 shown]
	v_cvt_f64_f32_e32 v[14:15], v26
	v_fma_f64 v[12:13], v[12:13], v[45:46], v[19:20]
	v_fma_f64 v[12:13], v[14:15], v[47:48], v[12:13]
	v_cvt_f64_f32_e32 v[14:15], v27
	v_fma_f64 v[12:13], v[14:15], v[41:42], v[12:13]
	v_cvt_f64_f32_e32 v[14:15], v28
	v_fma_f64 v[41:42], v[14:15], v[43:44], v[12:13]
	global_load_dword v12, v[49:50], off offset:16
	s_waitcnt vmcnt(0)
	v_subrev_u32_e32 v12, s16, v12
	v_lshlrev_b32_e32 v33, 2, v12
	v_ashrrev_i32_e32 v34, 31, v33
	global_load_dwordx4 v[12:15], v[6:7], off offset:304
	global_load_dwordx4 v[16:19], v[6:7], off offset:288
	;; [unrolled: 1-line block ×4, first 2 shown]
	v_lshlrev_b64 v[33:34], 3, v[33:34]
	v_add_co_u32_e32 v45, vcc, s6, v33
	v_addc_co_u32_e32 v46, vcc, v24, v34, vcc
	global_load_dwordx4 v[33:36], v[45:46], off offset:16
	global_load_dwordx4 v[37:40], v[45:46], off
	s_waitcnt vmcnt(2)
	v_cvt_f64_f32_e32 v[43:44], v29
	v_cvt_f64_f32_e32 v[29:30], v30
	s_waitcnt vmcnt(0)
	v_fma_f64 v[43:44], v[43:44], v[37:38], v[51:52]
	v_fma_f64 v[29:30], v[29:30], v[39:40], v[43:44]
	v_cvt_f64_f32_e32 v[43:44], v31
	v_cvt_f64_f32_e32 v[31:32], v32
	v_fma_f64 v[29:30], v[43:44], v[33:34], v[29:30]
	v_fma_f64 v[43:44], v[31:32], v[35:36], v[29:30]
	v_cvt_f64_f32_e32 v[29:30], v25
	v_cvt_f64_f32_e32 v[25:26], v26
	;; [unrolled: 4-line block ×7, first 2 shown]
	v_fma_f64 v[12:13], v[16:17], v[33:34], v[12:13]
	v_fma_f64 v[41:42], v[14:15], v[35:36], v[12:13]
	global_load_dword v12, v[49:50], off offset:32
	s_waitcnt vmcnt(0)
	v_subrev_u32_e32 v12, s16, v12
	v_lshlrev_b32_e32 v33, 2, v12
	v_ashrrev_i32_e32 v34, 31, v33
	global_load_dwordx4 v[12:15], v[6:7], off offset:560
	global_load_dwordx4 v[16:19], v[6:7], off offset:544
	;; [unrolled: 1-line block ×4, first 2 shown]
	v_lshlrev_b64 v[33:34], 3, v[33:34]
	v_add_co_u32_e32 v53, vcc, s6, v33
	v_addc_co_u32_e32 v54, vcc, v24, v34, vcc
	global_load_dwordx4 v[33:36], v[53:54], off offset:16
	global_load_dwordx4 v[37:40], v[53:54], off
	s_waitcnt vmcnt(2)
	v_cvt_f64_f32_e32 v[51:52], v29
	v_cvt_f64_f32_e32 v[29:30], v30
	s_waitcnt vmcnt(0)
	v_fma_f64 v[43:44], v[51:52], v[37:38], v[43:44]
	v_fma_f64 v[29:30], v[29:30], v[39:40], v[43:44]
	v_cvt_f64_f32_e32 v[43:44], v31
	v_cvt_f64_f32_e32 v[31:32], v32
	v_fma_f64 v[29:30], v[43:44], v[33:34], v[29:30]
	v_fma_f64 v[43:44], v[31:32], v[35:36], v[29:30]
	v_cvt_f64_f32_e32 v[29:30], v25
	v_cvt_f64_f32_e32 v[25:26], v26
	;; [unrolled: 4-line block ×7, first 2 shown]
	v_fma_f64 v[12:13], v[16:17], v[33:34], v[12:13]
	v_fma_f64 v[41:42], v[14:15], v[35:36], v[12:13]
	global_load_dword v12, v[49:50], off offset:48
	s_waitcnt vmcnt(0)
	v_subrev_u32_e32 v12, s16, v12
	v_lshlrev_b32_e32 v33, 2, v12
	v_ashrrev_i32_e32 v34, 31, v33
	global_load_dwordx4 v[25:28], v[6:7], off offset:816
	global_load_dwordx4 v[17:20], v[6:7], off offset:800
	global_load_dwordx4 v[29:32], v[6:7], off offset:784
	global_load_dwordx4 v[12:15], v[6:7], off offset:768
	v_lshlrev_b64 v[33:34], 3, v[33:34]
	v_add_co_u32_e32 v51, vcc, s6, v33
	v_addc_co_u32_e32 v52, vcc, v24, v34, vcc
	global_load_dwordx4 v[33:36], v[51:52], off offset:16
	global_load_dwordx4 v[37:40], v[51:52], off
	v_add_co_u32_e32 v6, vcc, 0x400, v6
	v_addc_co_u32_e32 v7, vcc, 0, v7, vcc
	v_cmp_ge_i32_e32 vcc, v11, v22
	s_or_b64 s[10:11], vcc, s[10:11]
	s_waitcnt vmcnt(2)
	v_cvt_f64_f32_e32 v[49:50], v12
	v_cvt_f64_f32_e32 v[12:13], v13
	s_waitcnt vmcnt(0)
	v_fma_f64 v[43:44], v[49:50], v[37:38], v[43:44]
	v_fma_f64 v[12:13], v[12:13], v[39:40], v[43:44]
	v_cvt_f64_f32_e32 v[43:44], v14
	v_cvt_f64_f32_e32 v[14:15], v15
	v_fma_f64 v[12:13], v[43:44], v[33:34], v[12:13]
	v_fma_f64 v[13:14], v[14:15], v[35:36], v[12:13]
	v_cvt_f64_f32_e32 v[15:16], v29
	v_cvt_f64_f32_e32 v[29:30], v30
	v_fma_f64 v[15:16], v[15:16], v[37:38], v[45:46]
	v_fma_f64 v[15:16], v[29:30], v[39:40], v[15:16]
	v_cvt_f64_f32_e32 v[29:30], v31
	v_fma_f64 v[15:16], v[29:30], v[33:34], v[15:16]
	v_cvt_f64_f32_e32 v[29:30], v32
	;; [unrolled: 2-line block ×3, first 2 shown]
	v_cvt_f64_f32_e32 v[17:18], v18
	v_fma_f64 v[29:30], v[29:30], v[37:38], v[47:48]
	v_fma_f64 v[17:18], v[17:18], v[39:40], v[29:30]
	v_cvt_f64_f32_e32 v[29:30], v19
	v_cvt_f64_f32_e32 v[19:20], v20
	v_fma_f64 v[17:18], v[29:30], v[33:34], v[17:18]
	v_fma_f64 v[17:18], v[19:20], v[35:36], v[17:18]
	v_cvt_f64_f32_e32 v[19:20], v25
	;; [unrolled: 4-line block ×3, first 2 shown]
	v_fma_f64 v[19:20], v[25:26], v[33:34], v[19:20]
	v_cvt_f64_f32_e32 v[25:26], v28
	v_fma_f64 v[19:20], v[25:26], v[35:36], v[19:20]
	s_andn2_b64 exec, exec, s[10:11]
	s_cbranch_execnz .LBB150_21
; %bb.22:
	s_or_b64 exec, exec, s[10:11]
.LBB150_23:
	s_or_b64 exec, exec, s[2:3]
.LBB150_24:
	s_or_b64 exec, exec, s[8:9]
	s_cbranch_execz .LBB150_26
	s_branch .LBB150_37
.LBB150_25:
                                        ; implicit-def: $vgpr19_vgpr20
                                        ; implicit-def: $vgpr17_vgpr18
                                        ; implicit-def: $vgpr15_vgpr16
                                        ; implicit-def: $vgpr13_vgpr14
.LBB150_26:
	v_mov_b32_e32 v19, 0
	v_mov_b32_e32 v17, 0
	;; [unrolled: 1-line block ×8, first 2 shown]
	s_and_saveexec_b64 s[2:3], s[0:1]
	s_cbranch_execz .LBB150_36
; %bb.27:
	v_add_u32_e32 v1, v23, v21
	v_subrev_u32_e32 v1, s16, v1
	v_add_u32_e32 v1, 4, v1
	v_max_i32_e32 v1, v1, v22
	v_not_b32_e32 v6, v23
	v_add3_u32 v1, s16, v1, v6
	v_sub_u32_e32 v6, v1, v21
	v_and_b32_e32 v1, 12, v6
	v_mov_b32_e32 v13, 0
	v_mov_b32_e32 v15, 0
	;; [unrolled: 1-line block ×8, first 2 shown]
	v_cmp_ne_u32_e32 vcc, 12, v1
	s_and_saveexec_b64 s[8:9], vcc
	s_cbranch_execz .LBB150_31
; %bb.28:
	v_lshrrev_b32_e32 v1, 2, v6
	v_add_u32_e32 v1, 1, v1
	v_and_b32_e32 v1, 3, v1
	v_mov_b32_e32 v19, 0
	v_mov_b32_e32 v17, 0
	;; [unrolled: 1-line block ×4, first 2 shown]
	v_sub_u32_e32 v7, 0, v1
	v_mov_b32_e32 v20, 0
	s_mov_b64 s[10:11], 0
	v_mov_b32_e32 v11, s13
	v_mov_b32_e32 v18, 0
	;; [unrolled: 1-line block ×5, first 2 shown]
.LBB150_29:                             ; =>This Inner Loop Header: Depth=1
	v_ashrrev_i32_e32 v1, 31, v0
	v_lshlrev_b64 v[23:24], 2, v[0:1]
	v_add_co_u32_e64 v7, s[0:1], 1, v7
	v_add_co_u32_e32 v27, vcc, s12, v23
	v_addc_co_u32_e32 v28, vcc, v11, v24, vcc
	global_load_dword v1, v[27:28], off
	global_load_dwordx4 v[23:26], v[4:5], off
	s_or_b64 s[10:11], s[0:1], s[10:11]
	v_add_u32_e32 v0, 4, v0
	s_waitcnt vmcnt(1)
	v_subrev_u32_e32 v1, s16, v1
	v_lshlrev_b32_e32 v27, 2, v1
	v_ashrrev_i32_e32 v28, 31, v27
	v_lshlrev_b64 v[27:28], 3, v[27:28]
	s_waitcnt vmcnt(0)
	v_cvt_f64_f32_e32 v[49:50], v25
	v_add_co_u32_e32 v47, vcc, s6, v27
	v_addc_co_u32_e32 v48, vcc, v12, v28, vcc
	global_load_dwordx4 v[27:30], v[47:48], off
	global_load_dwordx4 v[31:34], v[4:5], off offset:16
	global_load_dwordx4 v[35:38], v[4:5], off offset:32
	;; [unrolled: 1-line block ×4, first 2 shown]
	v_cvt_f64_f32_e32 v[47:48], v23
	v_cvt_f64_f32_e32 v[23:24], v24
	;; [unrolled: 1-line block ×3, first 2 shown]
	v_add_co_u32_e32 v4, vcc, 0x100, v4
	v_addc_co_u32_e32 v5, vcc, 0, v5, vcc
	s_waitcnt vmcnt(4)
	v_fma_f64 v[13:14], v[47:48], v[27:28], v[13:14]
	v_fma_f64 v[15:16], v[23:24], v[27:28], v[15:16]
	;; [unrolled: 1-line block ×4, first 2 shown]
	s_waitcnt vmcnt(3)
	v_cvt_f64_f32_e32 v[23:24], v31
	v_cvt_f64_f32_e32 v[25:26], v32
	;; [unrolled: 1-line block ×4, first 2 shown]
	v_fma_f64 v[13:14], v[23:24], v[29:30], v[13:14]
	v_fma_f64 v[15:16], v[25:26], v[29:30], v[15:16]
	;; [unrolled: 1-line block ×4, first 2 shown]
	s_waitcnt vmcnt(2)
	v_cvt_f64_f32_e32 v[23:24], v35
	v_cvt_f64_f32_e32 v[25:26], v36
	v_cvt_f64_f32_e32 v[27:28], v37
	v_cvt_f64_f32_e32 v[29:30], v38
	s_waitcnt vmcnt(1)
	v_fma_f64 v[13:14], v[23:24], v[39:40], v[13:14]
	v_fma_f64 v[15:16], v[25:26], v[39:40], v[15:16]
	;; [unrolled: 1-line block ×4, first 2 shown]
	s_waitcnt vmcnt(0)
	v_cvt_f64_f32_e32 v[23:24], v43
	v_cvt_f64_f32_e32 v[25:26], v44
	;; [unrolled: 1-line block ×4, first 2 shown]
	v_fma_f64 v[13:14], v[23:24], v[41:42], v[13:14]
	v_fma_f64 v[15:16], v[25:26], v[41:42], v[15:16]
	;; [unrolled: 1-line block ×4, first 2 shown]
	s_andn2_b64 exec, exec, s[10:11]
	s_cbranch_execnz .LBB150_29
; %bb.30:
	s_or_b64 exec, exec, s[10:11]
.LBB150_31:
	s_or_b64 exec, exec, s[8:9]
	v_cmp_lt_u32_e32 vcc, 11, v6
	s_and_saveexec_b64 s[8:9], vcc
	s_cbranch_execz .LBB150_35
; %bb.32:
	s_mov_b64 s[10:11], 0
	v_mov_b32_e32 v11, s13
	v_mov_b32_e32 v12, s7
.LBB150_33:                             ; =>This Inner Loop Header: Depth=1
	global_load_dwordx4 v[23:26], v[4:5], off
	global_load_dwordx4 v[27:30], v[4:5], off offset:16
	v_ashrrev_i32_e32 v1, 31, v0
	v_lshlrev_b64 v[6:7], 2, v[0:1]
	v_add_u32_e32 v0, 16, v0
	v_add_co_u32_e32 v6, vcc, s12, v6
	v_addc_co_u32_e32 v7, vcc, v11, v7, vcc
	global_load_dword v1, v[6:7], off
	v_cmp_ge_i32_e64 s[0:1], v0, v22
	s_or_b64 s[10:11], s[0:1], s[10:11]
	s_waitcnt vmcnt(2)
	v_cvt_f64_f32_e32 v[31:32], v23
	v_cvt_f64_f32_e32 v[33:34], v24
	;; [unrolled: 1-line block ×4, first 2 shown]
	global_load_dwordx4 v[23:26], v[4:5], off offset:32
	s_waitcnt vmcnt(2)
	v_cvt_f64_f32_e32 v[39:40], v27
	v_cvt_f64_f32_e32 v[27:28], v28
	;; [unrolled: 1-line block ×4, first 2 shown]
	s_waitcnt vmcnt(1)
	v_subrev_u32_e32 v1, s16, v1
	s_waitcnt vmcnt(0)
	v_cvt_f64_f32_e32 v[43:44], v23
	v_lshlrev_b32_e32 v23, 2, v1
	v_cvt_f64_f32_e32 v[45:46], v24
	v_ashrrev_i32_e32 v24, 31, v23
	v_lshlrev_b64 v[23:24], 3, v[23:24]
	v_cvt_f64_f32_e32 v[47:48], v25
	v_add_co_u32_e32 v51, vcc, s6, v23
	v_addc_co_u32_e32 v52, vcc, v12, v24, vcc
	v_cvt_f64_f32_e32 v[49:50], v26
	global_load_dwordx4 v[23:26], v[51:52], off
	global_load_dword v1, v[6:7], off offset:16
	s_waitcnt vmcnt(1)
	v_fma_f64 v[13:14], v[31:32], v[23:24], v[13:14]
	v_fma_f64 v[15:16], v[33:34], v[23:24], v[15:16]
	;; [unrolled: 1-line block ×4, first 2 shown]
	s_waitcnt vmcnt(0)
	v_subrev_u32_e32 v1, s16, v1
	v_fma_f64 v[23:24], v[39:40], v[25:26], v[13:14]
	v_fma_f64 v[27:28], v[27:28], v[25:26], v[15:16]
	global_load_dwordx4 v[13:16], v[4:5], off offset:48
	v_fma_f64 v[17:18], v[41:42], v[25:26], v[17:18]
	v_fma_f64 v[19:20], v[29:30], v[25:26], v[19:20]
	s_waitcnt vmcnt(0)
	v_cvt_f64_f32_e32 v[25:26], v13
	v_cvt_f64_f32_e32 v[29:30], v14
	;; [unrolled: 1-line block ×4, first 2 shown]
	global_load_dwordx4 v[13:16], v[4:5], off offset:256
	s_waitcnt vmcnt(0)
	v_cvt_f64_f32_e32 v[35:36], v13
	v_cvt_f64_f32_e32 v[37:38], v14
	;; [unrolled: 1-line block ×4, first 2 shown]
	global_load_dwordx4 v[13:16], v[51:52], off offset:16
	s_waitcnt vmcnt(0)
	v_fma_f64 v[23:24], v[43:44], v[13:14], v[23:24]
	v_fma_f64 v[27:28], v[45:46], v[13:14], v[27:28]
	;; [unrolled: 1-line block ×4, first 2 shown]
	global_load_dwordx4 v[17:20], v[4:5], off offset:272
	v_fma_f64 v[23:24], v[25:26], v[15:16], v[23:24]
	v_fma_f64 v[25:26], v[29:30], v[15:16], v[27:28]
	;; [unrolled: 1-line block ×4, first 2 shown]
	global_load_dwordx4 v[13:16], v[4:5], off offset:288
	s_waitcnt vmcnt(1)
	v_cvt_f64_f32_e32 v[33:34], v19
	v_cvt_f64_f32_e32 v[43:44], v20
	;; [unrolled: 1-line block ×4, first 2 shown]
	s_waitcnt vmcnt(0)
	v_cvt_f64_f32_e32 v[45:46], v13
	v_lshlrev_b32_e32 v13, 2, v1
	v_cvt_f64_f32_e32 v[47:48], v14
	v_ashrrev_i32_e32 v14, 31, v13
	v_lshlrev_b64 v[13:14], 3, v[13:14]
	v_cvt_f64_f32_e32 v[49:50], v15
	v_add_co_u32_e32 v53, vcc, s6, v13
	v_addc_co_u32_e32 v54, vcc, v12, v14, vcc
	v_cvt_f64_f32_e32 v[51:52], v16
	global_load_dwordx4 v[13:16], v[53:54], off
	global_load_dword v1, v[6:7], off offset:32
	s_waitcnt vmcnt(1)
	v_fma_f64 v[19:20], v[35:36], v[13:14], v[23:24]
	v_fma_f64 v[23:24], v[37:38], v[13:14], v[25:26]
	;; [unrolled: 1-line block ×4, first 2 shown]
	s_waitcnt vmcnt(0)
	v_subrev_u32_e32 v1, s16, v1
	v_fma_f64 v[27:28], v[29:30], v[15:16], v[19:20]
	v_fma_f64 v[23:24], v[17:18], v[15:16], v[23:24]
	;; [unrolled: 1-line block ×3, first 2 shown]
	global_load_dwordx4 v[17:20], v[4:5], off offset:304
	v_fma_f64 v[29:30], v[43:44], v[15:16], v[13:14]
	global_load_dwordx4 v[13:16], v[4:5], off offset:512
	s_waitcnt vmcnt(1)
	v_cvt_f64_f32_e32 v[33:34], v19
	v_cvt_f64_f32_e32 v[35:36], v20
	s_waitcnt vmcnt(0)
	v_cvt_f64_f32_e32 v[37:38], v13
	v_cvt_f64_f32_e32 v[39:40], v14
	;; [unrolled: 1-line block ×4, first 2 shown]
	global_load_dwordx4 v[13:16], v[53:54], off offset:16
	v_cvt_f64_f32_e32 v[31:32], v17
	v_cvt_f64_f32_e32 v[17:18], v18
	s_waitcnt vmcnt(0)
	v_fma_f64 v[19:20], v[45:46], v[13:14], v[27:28]
	v_fma_f64 v[23:24], v[47:48], v[13:14], v[23:24]
	;; [unrolled: 1-line block ×6, first 2 shown]
	global_load_dwordx4 v[17:20], v[4:5], off offset:528
	v_fma_f64 v[25:26], v[33:34], v[15:16], v[25:26]
	v_fma_f64 v[31:32], v[35:36], v[15:16], v[13:14]
	global_load_dwordx4 v[13:16], v[4:5], off offset:544
	s_waitcnt vmcnt(1)
	v_cvt_f64_f32_e32 v[33:34], v19
	v_cvt_f64_f32_e32 v[35:36], v20
	;; [unrolled: 1-line block ×3, first 2 shown]
	s_waitcnt vmcnt(0)
	v_cvt_f64_f32_e32 v[45:46], v13
	v_lshlrev_b32_e32 v13, 2, v1
	v_cvt_f64_f32_e32 v[47:48], v14
	v_ashrrev_i32_e32 v14, 31, v13
	v_lshlrev_b64 v[13:14], 3, v[13:14]
	v_cvt_f64_f32_e32 v[49:50], v15
	v_add_co_u32_e32 v53, vcc, s6, v13
	v_addc_co_u32_e32 v54, vcc, v12, v14, vcc
	v_cvt_f64_f32_e32 v[51:52], v16
	global_load_dwordx4 v[13:16], v[53:54], off
	v_cvt_f64_f32_e32 v[17:18], v18
	s_waitcnt vmcnt(0)
	v_fma_f64 v[19:20], v[37:38], v[13:14], v[27:28]
	v_fma_f64 v[23:24], v[39:40], v[13:14], v[23:24]
	;; [unrolled: 1-line block ×7, first 2 shown]
	global_load_dwordx4 v[17:20], v[4:5], off offset:560
	v_fma_f64 v[29:30], v[35:36], v[15:16], v[13:14]
	global_load_dwordx4 v[13:16], v[4:5], off offset:768
	s_waitcnt vmcnt(1)
	v_cvt_f64_f32_e32 v[33:34], v19
	v_cvt_f64_f32_e32 v[35:36], v20
	s_waitcnt vmcnt(0)
	v_cvt_f64_f32_e32 v[37:38], v13
	v_cvt_f64_f32_e32 v[39:40], v14
	;; [unrolled: 1-line block ×4, first 2 shown]
	global_load_dwordx4 v[13:16], v[53:54], off offset:16
	v_cvt_f64_f32_e32 v[31:32], v17
	v_cvt_f64_f32_e32 v[17:18], v18
	s_waitcnt vmcnt(0)
	v_fma_f64 v[19:20], v[45:46], v[13:14], v[27:28]
	v_fma_f64 v[23:24], v[47:48], v[13:14], v[23:24]
	;; [unrolled: 1-line block ×6, first 2 shown]
	global_load_dwordx4 v[17:20], v[4:5], off offset:784
	global_load_dword v1, v[6:7], off offset:48
	v_fma_f64 v[31:32], v[35:36], v[15:16], v[13:14]
	v_fma_f64 v[6:7], v[33:34], v[15:16], v[25:26]
	s_waitcnt vmcnt(1)
	v_cvt_f64_f32_e32 v[29:30], v17
	s_waitcnt vmcnt(0)
	v_subrev_u32_e32 v1, s16, v1
	v_lshlrev_b32_e32 v13, 2, v1
	v_ashrrev_i32_e32 v14, 31, v13
	v_lshlrev_b64 v[13:14], 3, v[13:14]
	v_cvt_f64_f32_e32 v[33:34], v18
	v_add_co_u32_e32 v25, vcc, s6, v13
	v_addc_co_u32_e32 v26, vcc, v12, v14, vcc
	global_load_dwordx4 v[13:16], v[25:26], off
	v_cvt_f64_f32_e32 v[35:36], v19
	v_cvt_f64_f32_e32 v[45:46], v20
	global_load_dwordx4 v[17:20], v[4:5], off offset:800
	s_waitcnt vmcnt(1)
	v_fma_f64 v[27:28], v[37:38], v[13:14], v[27:28]
	v_fma_f64 v[37:38], v[39:40], v[13:14], v[23:24]
	global_load_dwordx4 v[23:26], v[25:26], off offset:16
	v_fma_f64 v[6:7], v[41:42], v[13:14], v[6:7]
	v_fma_f64 v[13:14], v[43:44], v[13:14], v[31:32]
	;; [unrolled: 1-line block ×3, first 2 shown]
	global_load_dwordx4 v[27:30], v[4:5], off offset:816
	v_fma_f64 v[33:34], v[33:34], v[15:16], v[37:38]
	v_fma_f64 v[6:7], v[35:36], v[15:16], v[6:7]
	;; [unrolled: 1-line block ×3, first 2 shown]
	s_waitcnt vmcnt(2)
	v_cvt_f64_f32_e32 v[37:38], v17
	v_cvt_f64_f32_e32 v[17:18], v18
	;; [unrolled: 1-line block ×4, first 2 shown]
	v_add_co_u32_e32 v4, vcc, 0x400, v4
	v_addc_co_u32_e32 v5, vcc, 0, v5, vcc
	s_waitcnt vmcnt(1)
	v_fma_f64 v[31:32], v[37:38], v[23:24], v[31:32]
	v_fma_f64 v[17:18], v[17:18], v[23:24], v[33:34]
	;; [unrolled: 1-line block ×4, first 2 shown]
	s_waitcnt vmcnt(0)
	v_cvt_f64_f32_e32 v[35:36], v27
	v_cvt_f64_f32_e32 v[15:16], v28
	;; [unrolled: 1-line block ×4, first 2 shown]
	v_fma_f64 v[13:14], v[35:36], v[25:26], v[31:32]
	v_fma_f64 v[15:16], v[15:16], v[25:26], v[17:18]
	;; [unrolled: 1-line block ×4, first 2 shown]
	s_andn2_b64 exec, exec, s[10:11]
	s_cbranch_execnz .LBB150_33
; %bb.34:
	s_or_b64 exec, exec, s[10:11]
.LBB150_35:
	s_or_b64 exec, exec, s[8:9]
.LBB150_36:
	s_or_b64 exec, exec, s[2:3]
.LBB150_37:
	v_mov_b32_dpp v0, v13 row_shr:1 row_mask:0xf bank_mask:0xf
	v_mov_b32_dpp v1, v14 row_shr:1 row_mask:0xf bank_mask:0xf
	;; [unrolled: 1-line block ×8, first 2 shown]
	v_add_f64 v[0:1], v[13:14], v[0:1]
	v_add_f64 v[4:5], v[15:16], v[4:5]
	;; [unrolled: 1-line block ×4, first 2 shown]
	v_cmp_eq_u32_e32 vcc, 3, v21
	v_mov_b32_dpp v19, v0 row_shr:2 row_mask:0xf bank_mask:0xf
	v_mov_b32_dpp v20, v1 row_shr:2 row_mask:0xf bank_mask:0xf
	;; [unrolled: 1-line block ×8, first 2 shown]
	s_and_b64 exec, exec, vcc
	s_cbranch_execz .LBB150_10
; %bb.38:
	v_add_f64 v[0:1], v[0:1], v[19:20]
	v_add_f64 v[17:18], v[4:5], v[17:18]
	;; [unrolled: 1-line block ×4, first 2 shown]
	v_cmp_eq_f64_e32 vcc, 0, v[8:9]
	s_load_dwordx2 s[0:1], s[4:5], 0x50
	v_lshlrev_b32_e32 v10, 2, v10
	v_mul_f64 v[4:5], v[2:3], v[0:1]
	v_mul_f64 v[6:7], v[2:3], v[17:18]
	;; [unrolled: 1-line block ×4, first 2 shown]
	s_and_saveexec_b64 s[2:3], vcc
	s_xor_b64 s[2:3], exec, s[2:3]
	s_cbranch_execz .LBB150_40
; %bb.39:
	v_ashrrev_i32_e32 v11, 31, v10
	v_lshlrev_b64 v[8:9], 3, v[10:11]
	s_waitcnt lgkmcnt(0)
	v_mov_b32_e32 v10, s1
	v_add_co_u32_e32 v8, vcc, s0, v8
	v_addc_co_u32_e32 v9, vcc, v10, v9, vcc
	global_store_dwordx4 v[8:9], v[4:7], off
	global_store_dwordx4 v[8:9], v[0:3], off offset:16
                                        ; implicit-def: $vgpr10
                                        ; implicit-def: $vgpr8_vgpr9
                                        ; implicit-def: $vgpr4_vgpr5
                                        ; implicit-def: $vgpr0_vgpr1
.LBB150_40:
	s_andn2_saveexec_b64 s[2:3], s[2:3]
	s_cbranch_execz .LBB150_10
; %bb.41:
	v_ashrrev_i32_e32 v11, 31, v10
	v_lshlrev_b64 v[10:11], 3, v[10:11]
	s_waitcnt lgkmcnt(0)
	v_mov_b32_e32 v12, s1
	v_add_co_u32_e32 v18, vcc, s0, v10
	v_addc_co_u32_e32 v19, vcc, v12, v11, vcc
	global_load_dwordx4 v[10:13], v[18:19], off
	global_load_dwordx4 v[14:17], v[18:19], off offset:16
	s_waitcnt vmcnt(1)
	v_fma_f64 v[4:5], v[8:9], v[10:11], v[4:5]
	v_fma_f64 v[6:7], v[8:9], v[12:13], v[6:7]
	s_waitcnt vmcnt(0)
	v_fma_f64 v[0:1], v[8:9], v[14:15], v[0:1]
	v_fma_f64 v[2:3], v[8:9], v[16:17], v[2:3]
	global_store_dwordx4 v[18:19], v[4:7], off
	global_store_dwordx4 v[18:19], v[0:3], off offset:16
	s_endpgm
	.section	.rodata,"a",@progbits
	.p2align	6, 0x0
	.amdhsa_kernel _ZN9rocsparseL18bsrxmvn_4x4_kernelILj128ELj4EdiifddEEvT3_20rocsparse_direction_NS_24const_host_device_scalarIT1_EES1_PKS1_PKT2_SA_S7_PKT4_PKT5_S5_PT6_21rocsparse_index_base_b
		.amdhsa_group_segment_fixed_size 0
		.amdhsa_private_segment_fixed_size 0
		.amdhsa_kernarg_size 96
		.amdhsa_user_sgpr_count 6
		.amdhsa_user_sgpr_private_segment_buffer 1
		.amdhsa_user_sgpr_dispatch_ptr 0
		.amdhsa_user_sgpr_queue_ptr 0
		.amdhsa_user_sgpr_kernarg_segment_ptr 1
		.amdhsa_user_sgpr_dispatch_id 0
		.amdhsa_user_sgpr_flat_scratch_init 0
		.amdhsa_user_sgpr_private_segment_size 0
		.amdhsa_uses_dynamic_stack 0
		.amdhsa_system_sgpr_private_segment_wavefront_offset 0
		.amdhsa_system_sgpr_workgroup_id_x 1
		.amdhsa_system_sgpr_workgroup_id_y 0
		.amdhsa_system_sgpr_workgroup_id_z 0
		.amdhsa_system_sgpr_workgroup_info 0
		.amdhsa_system_vgpr_workitem_id 0
		.amdhsa_next_free_vgpr 59
		.amdhsa_next_free_sgpr 18
		.amdhsa_reserve_vcc 1
		.amdhsa_reserve_flat_scratch 0
		.amdhsa_float_round_mode_32 0
		.amdhsa_float_round_mode_16_64 0
		.amdhsa_float_denorm_mode_32 3
		.amdhsa_float_denorm_mode_16_64 3
		.amdhsa_dx10_clamp 1
		.amdhsa_ieee_mode 1
		.amdhsa_fp16_overflow 0
		.amdhsa_exception_fp_ieee_invalid_op 0
		.amdhsa_exception_fp_denorm_src 0
		.amdhsa_exception_fp_ieee_div_zero 0
		.amdhsa_exception_fp_ieee_overflow 0
		.amdhsa_exception_fp_ieee_underflow 0
		.amdhsa_exception_fp_ieee_inexact 0
		.amdhsa_exception_int_div_zero 0
	.end_amdhsa_kernel
	.section	.text._ZN9rocsparseL18bsrxmvn_4x4_kernelILj128ELj4EdiifddEEvT3_20rocsparse_direction_NS_24const_host_device_scalarIT1_EES1_PKS1_PKT2_SA_S7_PKT4_PKT5_S5_PT6_21rocsparse_index_base_b,"axG",@progbits,_ZN9rocsparseL18bsrxmvn_4x4_kernelILj128ELj4EdiifddEEvT3_20rocsparse_direction_NS_24const_host_device_scalarIT1_EES1_PKS1_PKT2_SA_S7_PKT4_PKT5_S5_PT6_21rocsparse_index_base_b,comdat
.Lfunc_end150:
	.size	_ZN9rocsparseL18bsrxmvn_4x4_kernelILj128ELj4EdiifddEEvT3_20rocsparse_direction_NS_24const_host_device_scalarIT1_EES1_PKS1_PKT2_SA_S7_PKT4_PKT5_S5_PT6_21rocsparse_index_base_b, .Lfunc_end150-_ZN9rocsparseL18bsrxmvn_4x4_kernelILj128ELj4EdiifddEEvT3_20rocsparse_direction_NS_24const_host_device_scalarIT1_EES1_PKS1_PKT2_SA_S7_PKT4_PKT5_S5_PT6_21rocsparse_index_base_b
                                        ; -- End function
	.set _ZN9rocsparseL18bsrxmvn_4x4_kernelILj128ELj4EdiifddEEvT3_20rocsparse_direction_NS_24const_host_device_scalarIT1_EES1_PKS1_PKT2_SA_S7_PKT4_PKT5_S5_PT6_21rocsparse_index_base_b.num_vgpr, 59
	.set _ZN9rocsparseL18bsrxmvn_4x4_kernelILj128ELj4EdiifddEEvT3_20rocsparse_direction_NS_24const_host_device_scalarIT1_EES1_PKS1_PKT2_SA_S7_PKT4_PKT5_S5_PT6_21rocsparse_index_base_b.num_agpr, 0
	.set _ZN9rocsparseL18bsrxmvn_4x4_kernelILj128ELj4EdiifddEEvT3_20rocsparse_direction_NS_24const_host_device_scalarIT1_EES1_PKS1_PKT2_SA_S7_PKT4_PKT5_S5_PT6_21rocsparse_index_base_b.numbered_sgpr, 18
	.set _ZN9rocsparseL18bsrxmvn_4x4_kernelILj128ELj4EdiifddEEvT3_20rocsparse_direction_NS_24const_host_device_scalarIT1_EES1_PKS1_PKT2_SA_S7_PKT4_PKT5_S5_PT6_21rocsparse_index_base_b.num_named_barrier, 0
	.set _ZN9rocsparseL18bsrxmvn_4x4_kernelILj128ELj4EdiifddEEvT3_20rocsparse_direction_NS_24const_host_device_scalarIT1_EES1_PKS1_PKT2_SA_S7_PKT4_PKT5_S5_PT6_21rocsparse_index_base_b.private_seg_size, 0
	.set _ZN9rocsparseL18bsrxmvn_4x4_kernelILj128ELj4EdiifddEEvT3_20rocsparse_direction_NS_24const_host_device_scalarIT1_EES1_PKS1_PKT2_SA_S7_PKT4_PKT5_S5_PT6_21rocsparse_index_base_b.uses_vcc, 1
	.set _ZN9rocsparseL18bsrxmvn_4x4_kernelILj128ELj4EdiifddEEvT3_20rocsparse_direction_NS_24const_host_device_scalarIT1_EES1_PKS1_PKT2_SA_S7_PKT4_PKT5_S5_PT6_21rocsparse_index_base_b.uses_flat_scratch, 0
	.set _ZN9rocsparseL18bsrxmvn_4x4_kernelILj128ELj4EdiifddEEvT3_20rocsparse_direction_NS_24const_host_device_scalarIT1_EES1_PKS1_PKT2_SA_S7_PKT4_PKT5_S5_PT6_21rocsparse_index_base_b.has_dyn_sized_stack, 0
	.set _ZN9rocsparseL18bsrxmvn_4x4_kernelILj128ELj4EdiifddEEvT3_20rocsparse_direction_NS_24const_host_device_scalarIT1_EES1_PKS1_PKT2_SA_S7_PKT4_PKT5_S5_PT6_21rocsparse_index_base_b.has_recursion, 0
	.set _ZN9rocsparseL18bsrxmvn_4x4_kernelILj128ELj4EdiifddEEvT3_20rocsparse_direction_NS_24const_host_device_scalarIT1_EES1_PKS1_PKT2_SA_S7_PKT4_PKT5_S5_PT6_21rocsparse_index_base_b.has_indirect_call, 0
	.section	.AMDGPU.csdata,"",@progbits
; Kernel info:
; codeLenInByte = 4560
; TotalNumSgprs: 22
; NumVgprs: 59
; ScratchSize: 0
; MemoryBound: 0
; FloatMode: 240
; IeeeMode: 1
; LDSByteSize: 0 bytes/workgroup (compile time only)
; SGPRBlocks: 2
; VGPRBlocks: 14
; NumSGPRsForWavesPerEU: 22
; NumVGPRsForWavesPerEU: 59
; Occupancy: 4
; WaveLimiterHint : 1
; COMPUTE_PGM_RSRC2:SCRATCH_EN: 0
; COMPUTE_PGM_RSRC2:USER_SGPR: 6
; COMPUTE_PGM_RSRC2:TRAP_HANDLER: 0
; COMPUTE_PGM_RSRC2:TGID_X_EN: 1
; COMPUTE_PGM_RSRC2:TGID_Y_EN: 0
; COMPUTE_PGM_RSRC2:TGID_Z_EN: 0
; COMPUTE_PGM_RSRC2:TIDIG_COMP_CNT: 0
	.section	.text._ZN9rocsparseL18bsrxmvn_4x4_kernelILj128ELj8EdiifddEEvT3_20rocsparse_direction_NS_24const_host_device_scalarIT1_EES1_PKS1_PKT2_SA_S7_PKT4_PKT5_S5_PT6_21rocsparse_index_base_b,"axG",@progbits,_ZN9rocsparseL18bsrxmvn_4x4_kernelILj128ELj8EdiifddEEvT3_20rocsparse_direction_NS_24const_host_device_scalarIT1_EES1_PKS1_PKT2_SA_S7_PKT4_PKT5_S5_PT6_21rocsparse_index_base_b,comdat
	.globl	_ZN9rocsparseL18bsrxmvn_4x4_kernelILj128ELj8EdiifddEEvT3_20rocsparse_direction_NS_24const_host_device_scalarIT1_EES1_PKS1_PKT2_SA_S7_PKT4_PKT5_S5_PT6_21rocsparse_index_base_b ; -- Begin function _ZN9rocsparseL18bsrxmvn_4x4_kernelILj128ELj8EdiifddEEvT3_20rocsparse_direction_NS_24const_host_device_scalarIT1_EES1_PKS1_PKT2_SA_S7_PKT4_PKT5_S5_PT6_21rocsparse_index_base_b
	.p2align	8
	.type	_ZN9rocsparseL18bsrxmvn_4x4_kernelILj128ELj8EdiifddEEvT3_20rocsparse_direction_NS_24const_host_device_scalarIT1_EES1_PKS1_PKT2_SA_S7_PKT4_PKT5_S5_PT6_21rocsparse_index_base_b,@function
_ZN9rocsparseL18bsrxmvn_4x4_kernelILj128ELj8EdiifddEEvT3_20rocsparse_direction_NS_24const_host_device_scalarIT1_EES1_PKS1_PKT2_SA_S7_PKT4_PKT5_S5_PT6_21rocsparse_index_base_b: ; @_ZN9rocsparseL18bsrxmvn_4x4_kernelILj128ELj8EdiifddEEvT3_20rocsparse_direction_NS_24const_host_device_scalarIT1_EES1_PKS1_PKT2_SA_S7_PKT4_PKT5_S5_PT6_21rocsparse_index_base_b
; %bb.0:
	s_load_dwordx2 s[16:17], s[4:5], 0x58
	s_load_dwordx2 s[8:9], s[4:5], 0x8
	;; [unrolled: 1-line block ×3, first 2 shown]
	s_waitcnt lgkmcnt(0)
	s_bitcmp1_b32 s17, 0
	s_cselect_b64 s[10:11], -1, 0
	v_mov_b32_e32 v2, s8
	s_xor_b64 s[2:3], s[10:11], -1
	s_and_b64 vcc, exec, s[10:11]
	v_mov_b32_e32 v3, s9
	s_cbranch_vccnz .LBB151_2
; %bb.1:
	v_mov_b32_e32 v1, s8
	v_mov_b32_e32 v2, s9
	flat_load_dwordx2 v[2:3], v[1:2]
.LBB151_2:
	v_mov_b32_e32 v9, s1
	s_andn2_b64 vcc, exec, s[2:3]
	v_mov_b32_e32 v8, s0
	s_cbranch_vccnz .LBB151_4
; %bb.3:
	v_mov_b32_e32 v5, s1
	v_mov_b32_e32 v4, s0
	flat_load_dwordx2 v[8:9], v[4:5]
.LBB151_4:
	s_waitcnt vmcnt(0) lgkmcnt(0)
	v_cmp_neq_f64_e32 vcc, 0, v[2:3]
	v_cmp_neq_f64_e64 s[0:1], 1.0, v[8:9]
	s_mov_b64 s[2:3], 0
	s_or_b64 s[0:1], vcc, s[0:1]
	s_and_saveexec_b64 s[8:9], s[0:1]
	s_cbranch_execz .LBB151_10
; %bb.5:
	s_load_dwordx2 s[8:9], s[4:5], 0x18
	s_load_dwordx2 s[0:1], s[4:5], 0x0
	v_lshrrev_b32_e32 v1, 3, v0
	v_lshl_or_b32 v10, s6, 4, v1
	s_mov_b64 s[6:7], 0
	s_waitcnt lgkmcnt(0)
	s_cmp_lg_u64 s[8:9], 0
	s_cbranch_scc0 .LBB151_11
; %bb.6:
	s_load_dword s2, s[4:5], 0x10
                                        ; implicit-def: $vgpr1
	s_waitcnt lgkmcnt(0)
	v_cmp_gt_i32_e32 vcc, s2, v10
	s_and_saveexec_b64 s[2:3], vcc
	s_xor_b64 s[2:3], exec, s[2:3]
	s_cbranch_execz .LBB151_8
; %bb.7:
	v_ashrrev_i32_e32 v11, 31, v10
	v_lshlrev_b64 v[4:5], 2, v[10:11]
	v_mov_b32_e32 v1, s9
	v_add_co_u32_e32 v4, vcc, s8, v4
	v_addc_co_u32_e32 v5, vcc, v1, v5, vcc
	global_load_dword v1, v[4:5], off
	s_mov_b64 s[6:7], exec
	s_waitcnt vmcnt(0)
	v_subrev_u32_e32 v1, s16, v1
.LBB151_8:
	s_or_b64 exec, exec, s[2:3]
	s_mov_b64 s[2:3], s[6:7]
	s_branch .LBB151_12
.LBB151_9:
	v_cmp_gt_i32_e32 vcc, s0, v10
	s_andn2_b64 s[2:3], s[2:3], exec
	s_and_b64 s[6:7], vcc, exec
	s_or_b64 s[2:3], s[2:3], s[6:7]
	s_and_b64 exec, exec, s[2:3]
	s_cbranch_execnz .LBB151_13
.LBB151_10:
	s_endpgm
.LBB151_11:
                                        ; implicit-def: $vgpr1
	s_cbranch_execnz .LBB151_9
.LBB151_12:
	v_mov_b32_e32 v10, v1
	s_and_b64 exec, exec, s[2:3]
	s_cbranch_execz .LBB151_10
.LBB151_13:
	s_load_dwordx8 s[8:15], s[4:5], 0x20
	v_ashrrev_i32_e32 v11, 31, v10
	v_lshlrev_b64 v[4:5], 2, v[10:11]
	v_and_b32_e32 v21, 7, v0
	s_load_dwordx2 s[6:7], s[4:5], 0x40
	s_waitcnt lgkmcnt(0)
	v_mov_b32_e32 v1, s9
	v_add_co_u32_e32 v6, vcc, s8, v4
	v_addc_co_u32_e32 v7, vcc, v1, v5, vcc
	v_add_co_u32_e32 v1, vcc, 4, v6
	global_load_dword v23, v[6:7], off
	v_addc_co_u32_e32 v6, vcc, 0, v7, vcc
	v_mov_b32_e32 v7, s11
	v_add_co_u32_e32 v4, vcc, s10, v4
	s_cmp_eq_u64 s[10:11], 0
	v_addc_co_u32_e32 v5, vcc, v7, v5, vcc
	s_cselect_b64 vcc, -1, 0
	v_cndmask_b32_e32 v5, v5, v6, vcc
	v_cndmask_b32_e32 v4, v4, v1, vcc
	global_load_dword v1, v[4:5], off
	v_mov_b32_e32 v6, s15
	s_cmp_eq_u32 s1, 1
	s_waitcnt vmcnt(1)
	v_subrev_u32_e32 v0, s16, v23
	v_add_u32_e32 v0, v0, v21
	s_waitcnt vmcnt(0)
	v_subrev_u32_e32 v22, s16, v1
	v_ashrrev_i32_e32 v1, 31, v0
	v_lshlrev_b64 v[4:5], 6, v[0:1]
	v_cmp_lt_i32_e64 s[0:1], v0, v22
	v_add_co_u32_e32 v4, vcc, s14, v4
	v_addc_co_u32_e32 v5, vcc, v6, v5, vcc
	s_cbranch_scc1 .LBB151_25
; %bb.14:
	v_mov_b32_e32 v19, 0
	v_mov_b32_e32 v17, 0
	;; [unrolled: 1-line block ×8, first 2 shown]
	s_and_saveexec_b64 s[8:9], s[0:1]
	s_cbranch_execz .LBB151_24
; %bb.15:
	v_add_u32_e32 v1, v23, v21
	v_subrev_u32_e32 v1, s16, v1
	v_add_u32_e32 v1, 8, v1
	v_max_i32_e32 v1, v1, v22
	v_not_b32_e32 v6, v23
	v_add3_u32 v1, s16, v1, v6
	v_sub_u32_e32 v1, v1, v21
	v_and_b32_e32 v6, 24, v1
	v_cmp_ne_u32_e32 vcc, 24, v6
	v_mov_b32_e32 v15, 0
	v_mov_b32_e32 v13, 0
	;; [unrolled: 1-line block ×11, first 2 shown]
	s_and_saveexec_b64 s[10:11], vcc
	s_cbranch_execz .LBB151_19
; %bb.16:
	v_lshrrev_b32_e32 v6, 3, v1
	v_add_u32_e32 v6, 1, v6
	v_and_b32_e32 v6, 3, v6
	v_sub_u32_e32 v24, 0, v6
	v_mov_b32_e32 v19, 0
	v_mov_b32_e32 v7, v5
	;; [unrolled: 1-line block ×6, first 2 shown]
	s_mov_b64 s[14:15], 0
	v_mov_b32_e32 v25, s13
	v_mov_b32_e32 v26, s7
	;; [unrolled: 1-line block ×7, first 2 shown]
.LBB151_17:                             ; =>This Inner Loop Header: Depth=1
	v_ashrrev_i32_e32 v12, 31, v11
	v_lshlrev_b64 v[27:28], 2, v[11:12]
	v_add_co_u32_e64 v24, s[2:3], 1, v24
	v_add_co_u32_e32 v43, vcc, s12, v27
	v_addc_co_u32_e32 v44, vcc, v25, v28, vcc
	global_load_dword v12, v[43:44], off
	global_load_dwordx4 v[27:30], v[6:7], off
	global_load_dwordx4 v[31:34], v[6:7], off offset:16
	global_load_dwordx4 v[35:38], v[6:7], off offset:32
	;; [unrolled: 1-line block ×3, first 2 shown]
	s_or_b64 s[14:15], s[2:3], s[14:15]
	v_add_u32_e32 v11, 8, v11
	s_waitcnt vmcnt(4)
	v_subrev_u32_e32 v12, s16, v12
	v_lshlrev_b32_e32 v43, 2, v12
	v_ashrrev_i32_e32 v44, 31, v43
	v_lshlrev_b64 v[43:44], 3, v[43:44]
	s_waitcnt vmcnt(2)
	v_cvt_f64_f32_e32 v[53:54], v31
	v_add_co_u32_e32 v51, vcc, s6, v43
	v_addc_co_u32_e32 v52, vcc, v26, v44, vcc
	global_load_dwordx4 v[43:46], v[51:52], off
	global_load_dwordx4 v[47:50], v[51:52], off offset:16
	v_cvt_f64_f32_e32 v[51:52], v27
	s_waitcnt vmcnt(3)
	v_cvt_f64_f32_e32 v[55:56], v35
	s_waitcnt vmcnt(2)
	v_cvt_f64_f32_e32 v[57:58], v39
	v_cvt_f64_f32_e32 v[27:28], v28
	;; [unrolled: 1-line block ×5, first 2 shown]
	v_add_co_u32_e32 v6, vcc, 0x200, v6
	v_addc_co_u32_e32 v7, vcc, 0, v7, vcc
	s_waitcnt vmcnt(1)
	v_fma_f64 v[15:16], v[51:52], v[43:44], v[15:16]
	v_fma_f64 v[12:13], v[53:54], v[43:44], v[13:14]
	;; [unrolled: 1-line block ×8, first 2 shown]
	v_cvt_f64_f32_e32 v[27:28], v29
	v_cvt_f64_f32_e32 v[31:32], v33
	;; [unrolled: 1-line block ×4, first 2 shown]
	s_waitcnt vmcnt(0)
	v_fma_f64 v[14:15], v[27:28], v[47:48], v[14:15]
	v_fma_f64 v[12:13], v[31:32], v[47:48], v[12:13]
	;; [unrolled: 1-line block ×4, first 2 shown]
	v_cvt_f64_f32_e32 v[16:17], v30
	v_cvt_f64_f32_e32 v[29:30], v34
	;; [unrolled: 1-line block ×4, first 2 shown]
	v_fma_f64 v[15:16], v[16:17], v[49:50], v[14:15]
	v_fma_f64 v[13:14], v[29:30], v[49:50], v[12:13]
	;; [unrolled: 1-line block ×4, first 2 shown]
	s_andn2_b64 exec, exec, s[14:15]
	s_cbranch_execnz .LBB151_17
; %bb.18:
	s_or_b64 exec, exec, s[14:15]
.LBB151_19:
	s_or_b64 exec, exec, s[10:11]
	v_cmp_lt_u32_e32 vcc, 23, v1
	s_and_saveexec_b64 s[2:3], vcc
	s_cbranch_execz .LBB151_23
; %bb.20:
	s_mov_b64 s[10:11], 0
	v_mov_b32_e32 v1, s13
	v_mov_b32_e32 v24, s7
.LBB151_21:                             ; =>This Inner Loop Header: Depth=1
	v_ashrrev_i32_e32 v12, 31, v11
	v_lshlrev_b64 v[25:26], 2, v[11:12]
	v_add_u32_e32 v11, 32, v11
	v_add_co_u32_e32 v49, vcc, s12, v25
	v_addc_co_u32_e32 v50, vcc, v1, v26, vcc
	global_load_dword v12, v[49:50], off
	global_load_dwordx4 v[25:28], v[6:7], off offset:48
	global_load_dwordx4 v[29:32], v[6:7], off offset:32
	;; [unrolled: 1-line block ×3, first 2 shown]
	global_load_dwordx4 v[37:40], v[6:7], off
	s_waitcnt vmcnt(4)
	v_subrev_u32_e32 v12, s16, v12
	v_lshlrev_b32_e32 v41, 2, v12
	v_ashrrev_i32_e32 v42, 31, v41
	v_lshlrev_b64 v[41:42], 3, v[41:42]
	s_waitcnt vmcnt(0)
	v_cvt_f64_f32_e32 v[51:52], v37
	v_add_co_u32_e32 v53, vcc, s6, v41
	v_addc_co_u32_e32 v54, vcc, v24, v42, vcc
	global_load_dwordx4 v[41:44], v[53:54], off offset:16
	global_load_dwordx4 v[45:48], v[53:54], off
	v_cvt_f64_f32_e32 v[37:38], v38
	s_waitcnt vmcnt(0)
	v_fma_f64 v[15:16], v[51:52], v[45:46], v[15:16]
	v_fma_f64 v[15:16], v[37:38], v[47:48], v[15:16]
	v_cvt_f64_f32_e32 v[37:38], v39
	v_fma_f64 v[15:16], v[37:38], v[41:42], v[15:16]
	v_cvt_f64_f32_e32 v[37:38], v40
	;; [unrolled: 2-line block ×7, first 2 shown]
	v_cvt_f64_f32_e32 v[14:15], v30
	v_fma_f64 v[12:13], v[12:13], v[45:46], v[17:18]
	v_fma_f64 v[12:13], v[14:15], v[47:48], v[12:13]
	v_cvt_f64_f32_e32 v[14:15], v31
	v_fma_f64 v[12:13], v[14:15], v[41:42], v[12:13]
	v_cvt_f64_f32_e32 v[14:15], v32
	;; [unrolled: 2-line block ×3, first 2 shown]
	v_cvt_f64_f32_e32 v[14:15], v26
	v_fma_f64 v[12:13], v[12:13], v[45:46], v[19:20]
	v_fma_f64 v[12:13], v[14:15], v[47:48], v[12:13]
	v_cvt_f64_f32_e32 v[14:15], v27
	v_fma_f64 v[12:13], v[14:15], v[41:42], v[12:13]
	v_cvt_f64_f32_e32 v[14:15], v28
	v_fma_f64 v[41:42], v[14:15], v[43:44], v[12:13]
	global_load_dword v12, v[49:50], off offset:32
	s_waitcnt vmcnt(0)
	v_subrev_u32_e32 v12, s16, v12
	v_lshlrev_b32_e32 v33, 2, v12
	v_ashrrev_i32_e32 v34, 31, v33
	global_load_dwordx4 v[12:15], v[6:7], off offset:560
	global_load_dwordx4 v[16:19], v[6:7], off offset:544
	;; [unrolled: 1-line block ×4, first 2 shown]
	v_lshlrev_b64 v[33:34], 3, v[33:34]
	v_add_co_u32_e32 v45, vcc, s6, v33
	v_addc_co_u32_e32 v46, vcc, v24, v34, vcc
	global_load_dwordx4 v[33:36], v[45:46], off offset:16
	global_load_dwordx4 v[37:40], v[45:46], off
	s_waitcnt vmcnt(2)
	v_cvt_f64_f32_e32 v[43:44], v29
	v_cvt_f64_f32_e32 v[29:30], v30
	s_waitcnt vmcnt(0)
	v_fma_f64 v[43:44], v[43:44], v[37:38], v[51:52]
	v_fma_f64 v[29:30], v[29:30], v[39:40], v[43:44]
	v_cvt_f64_f32_e32 v[43:44], v31
	v_cvt_f64_f32_e32 v[31:32], v32
	v_fma_f64 v[29:30], v[43:44], v[33:34], v[29:30]
	v_fma_f64 v[43:44], v[31:32], v[35:36], v[29:30]
	v_cvt_f64_f32_e32 v[29:30], v25
	v_cvt_f64_f32_e32 v[25:26], v26
	;; [unrolled: 4-line block ×7, first 2 shown]
	v_fma_f64 v[12:13], v[16:17], v[33:34], v[12:13]
	v_fma_f64 v[41:42], v[14:15], v[35:36], v[12:13]
	global_load_dword v12, v[49:50], off offset:64
	s_waitcnt vmcnt(0)
	v_subrev_u32_e32 v12, s16, v12
	v_lshlrev_b32_e32 v33, 2, v12
	v_ashrrev_i32_e32 v34, 31, v33
	global_load_dwordx4 v[12:15], v[6:7], off offset:1072
	global_load_dwordx4 v[16:19], v[6:7], off offset:1056
	;; [unrolled: 1-line block ×4, first 2 shown]
	v_lshlrev_b64 v[33:34], 3, v[33:34]
	v_add_co_u32_e32 v53, vcc, s6, v33
	v_addc_co_u32_e32 v54, vcc, v24, v34, vcc
	global_load_dwordx4 v[33:36], v[53:54], off offset:16
	global_load_dwordx4 v[37:40], v[53:54], off
	s_waitcnt vmcnt(2)
	v_cvt_f64_f32_e32 v[51:52], v29
	v_cvt_f64_f32_e32 v[29:30], v30
	s_waitcnt vmcnt(0)
	v_fma_f64 v[43:44], v[51:52], v[37:38], v[43:44]
	v_fma_f64 v[29:30], v[29:30], v[39:40], v[43:44]
	v_cvt_f64_f32_e32 v[43:44], v31
	v_cvt_f64_f32_e32 v[31:32], v32
	v_fma_f64 v[29:30], v[43:44], v[33:34], v[29:30]
	v_fma_f64 v[43:44], v[31:32], v[35:36], v[29:30]
	v_cvt_f64_f32_e32 v[29:30], v25
	v_cvt_f64_f32_e32 v[25:26], v26
	;; [unrolled: 4-line block ×7, first 2 shown]
	v_fma_f64 v[12:13], v[16:17], v[33:34], v[12:13]
	v_fma_f64 v[41:42], v[14:15], v[35:36], v[12:13]
	global_load_dword v12, v[49:50], off offset:96
	s_waitcnt vmcnt(0)
	v_subrev_u32_e32 v12, s16, v12
	v_lshlrev_b32_e32 v33, 2, v12
	v_ashrrev_i32_e32 v34, 31, v33
	global_load_dwordx4 v[25:28], v[6:7], off offset:1584
	global_load_dwordx4 v[17:20], v[6:7], off offset:1568
	;; [unrolled: 1-line block ×4, first 2 shown]
	v_lshlrev_b64 v[33:34], 3, v[33:34]
	v_add_co_u32_e32 v51, vcc, s6, v33
	v_addc_co_u32_e32 v52, vcc, v24, v34, vcc
	global_load_dwordx4 v[33:36], v[51:52], off offset:16
	global_load_dwordx4 v[37:40], v[51:52], off
	v_add_co_u32_e32 v6, vcc, 0x800, v6
	v_addc_co_u32_e32 v7, vcc, 0, v7, vcc
	v_cmp_ge_i32_e32 vcc, v11, v22
	s_or_b64 s[10:11], vcc, s[10:11]
	s_waitcnt vmcnt(2)
	v_cvt_f64_f32_e32 v[49:50], v12
	v_cvt_f64_f32_e32 v[12:13], v13
	s_waitcnt vmcnt(0)
	v_fma_f64 v[43:44], v[49:50], v[37:38], v[43:44]
	v_fma_f64 v[12:13], v[12:13], v[39:40], v[43:44]
	v_cvt_f64_f32_e32 v[43:44], v14
	v_cvt_f64_f32_e32 v[14:15], v15
	v_fma_f64 v[12:13], v[43:44], v[33:34], v[12:13]
	v_fma_f64 v[15:16], v[14:15], v[35:36], v[12:13]
	v_cvt_f64_f32_e32 v[12:13], v29
	v_cvt_f64_f32_e32 v[29:30], v30
	v_fma_f64 v[12:13], v[12:13], v[37:38], v[45:46]
	v_fma_f64 v[12:13], v[29:30], v[39:40], v[12:13]
	v_cvt_f64_f32_e32 v[29:30], v31
	v_fma_f64 v[12:13], v[29:30], v[33:34], v[12:13]
	v_cvt_f64_f32_e32 v[29:30], v32
	;; [unrolled: 2-line block ×3, first 2 shown]
	v_cvt_f64_f32_e32 v[17:18], v18
	v_fma_f64 v[29:30], v[29:30], v[37:38], v[47:48]
	v_fma_f64 v[17:18], v[17:18], v[39:40], v[29:30]
	v_cvt_f64_f32_e32 v[29:30], v19
	v_cvt_f64_f32_e32 v[19:20], v20
	v_fma_f64 v[17:18], v[29:30], v[33:34], v[17:18]
	v_fma_f64 v[17:18], v[19:20], v[35:36], v[17:18]
	v_cvt_f64_f32_e32 v[19:20], v25
	;; [unrolled: 4-line block ×3, first 2 shown]
	v_fma_f64 v[19:20], v[25:26], v[33:34], v[19:20]
	v_cvt_f64_f32_e32 v[25:26], v28
	v_fma_f64 v[19:20], v[25:26], v[35:36], v[19:20]
	s_andn2_b64 exec, exec, s[10:11]
	s_cbranch_execnz .LBB151_21
; %bb.22:
	s_or_b64 exec, exec, s[10:11]
.LBB151_23:
	s_or_b64 exec, exec, s[2:3]
.LBB151_24:
	s_or_b64 exec, exec, s[8:9]
	s_cbranch_execz .LBB151_26
	s_branch .LBB151_37
.LBB151_25:
                                        ; implicit-def: $vgpr19_vgpr20
                                        ; implicit-def: $vgpr17_vgpr18
                                        ; implicit-def: $vgpr13_vgpr14
                                        ; implicit-def: $vgpr15_vgpr16
.LBB151_26:
	v_mov_b32_e32 v19, 0
	v_mov_b32_e32 v17, 0
	;; [unrolled: 1-line block ×8, first 2 shown]
	s_and_saveexec_b64 s[2:3], s[0:1]
	s_cbranch_execz .LBB151_36
; %bb.27:
	v_add_u32_e32 v1, v23, v21
	v_subrev_u32_e32 v1, s16, v1
	v_add_u32_e32 v1, 8, v1
	v_max_i32_e32 v1, v1, v22
	v_not_b32_e32 v6, v23
	v_add3_u32 v1, s16, v1, v6
	v_sub_u32_e32 v6, v1, v21
	v_and_b32_e32 v1, 24, v6
	v_mov_b32_e32 v15, 0
	v_mov_b32_e32 v13, 0
	;; [unrolled: 1-line block ×8, first 2 shown]
	v_cmp_ne_u32_e32 vcc, 24, v1
	s_and_saveexec_b64 s[8:9], vcc
	s_cbranch_execz .LBB151_31
; %bb.28:
	v_lshrrev_b32_e32 v1, 3, v6
	v_add_u32_e32 v1, 1, v1
	v_and_b32_e32 v1, 3, v1
	v_mov_b32_e32 v19, 0
	v_mov_b32_e32 v17, 0
	v_mov_b32_e32 v13, 0
	v_mov_b32_e32 v15, 0
	v_sub_u32_e32 v7, 0, v1
	v_mov_b32_e32 v20, 0
	s_mov_b64 s[10:11], 0
	v_mov_b32_e32 v11, s13
	v_mov_b32_e32 v18, 0
	;; [unrolled: 1-line block ×5, first 2 shown]
.LBB151_29:                             ; =>This Inner Loop Header: Depth=1
	v_ashrrev_i32_e32 v1, 31, v0
	v_lshlrev_b64 v[23:24], 2, v[0:1]
	v_add_co_u32_e64 v7, s[0:1], 1, v7
	v_add_co_u32_e32 v27, vcc, s12, v23
	v_addc_co_u32_e32 v28, vcc, v11, v24, vcc
	global_load_dword v1, v[27:28], off
	global_load_dwordx4 v[23:26], v[4:5], off
	s_or_b64 s[10:11], s[0:1], s[10:11]
	v_add_u32_e32 v0, 8, v0
	s_waitcnt vmcnt(1)
	v_subrev_u32_e32 v1, s16, v1
	v_lshlrev_b32_e32 v27, 2, v1
	v_ashrrev_i32_e32 v28, 31, v27
	v_lshlrev_b64 v[27:28], 3, v[27:28]
	s_waitcnt vmcnt(0)
	v_cvt_f64_f32_e32 v[49:50], v25
	v_add_co_u32_e32 v47, vcc, s6, v27
	v_addc_co_u32_e32 v48, vcc, v12, v28, vcc
	global_load_dwordx4 v[27:30], v[47:48], off
	global_load_dwordx4 v[31:34], v[4:5], off offset:16
	global_load_dwordx4 v[35:38], v[4:5], off offset:32
	;; [unrolled: 1-line block ×4, first 2 shown]
	v_cvt_f64_f32_e32 v[47:48], v23
	v_cvt_f64_f32_e32 v[23:24], v24
	;; [unrolled: 1-line block ×3, first 2 shown]
	v_add_co_u32_e32 v4, vcc, 0x200, v4
	v_addc_co_u32_e32 v5, vcc, 0, v5, vcc
	s_waitcnt vmcnt(4)
	v_fma_f64 v[15:16], v[47:48], v[27:28], v[15:16]
	v_fma_f64 v[13:14], v[23:24], v[27:28], v[13:14]
	;; [unrolled: 1-line block ×4, first 2 shown]
	s_waitcnt vmcnt(3)
	v_cvt_f64_f32_e32 v[23:24], v31
	v_cvt_f64_f32_e32 v[25:26], v32
	;; [unrolled: 1-line block ×4, first 2 shown]
	v_fma_f64 v[15:16], v[23:24], v[29:30], v[15:16]
	v_fma_f64 v[13:14], v[25:26], v[29:30], v[13:14]
	;; [unrolled: 1-line block ×4, first 2 shown]
	s_waitcnt vmcnt(2)
	v_cvt_f64_f32_e32 v[23:24], v35
	v_cvt_f64_f32_e32 v[25:26], v36
	;; [unrolled: 1-line block ×4, first 2 shown]
	s_waitcnt vmcnt(1)
	v_fma_f64 v[15:16], v[23:24], v[39:40], v[15:16]
	v_fma_f64 v[13:14], v[25:26], v[39:40], v[13:14]
	;; [unrolled: 1-line block ×4, first 2 shown]
	s_waitcnt vmcnt(0)
	v_cvt_f64_f32_e32 v[23:24], v43
	v_cvt_f64_f32_e32 v[25:26], v44
	;; [unrolled: 1-line block ×4, first 2 shown]
	v_fma_f64 v[15:16], v[23:24], v[41:42], v[15:16]
	v_fma_f64 v[13:14], v[25:26], v[41:42], v[13:14]
	;; [unrolled: 1-line block ×4, first 2 shown]
	s_andn2_b64 exec, exec, s[10:11]
	s_cbranch_execnz .LBB151_29
; %bb.30:
	s_or_b64 exec, exec, s[10:11]
.LBB151_31:
	s_or_b64 exec, exec, s[8:9]
	v_cmp_lt_u32_e32 vcc, 23, v6
	s_and_saveexec_b64 s[8:9], vcc
	s_cbranch_execz .LBB151_35
; %bb.32:
	s_mov_b64 s[10:11], 0
	v_mov_b32_e32 v11, s13
	v_mov_b32_e32 v12, s7
.LBB151_33:                             ; =>This Inner Loop Header: Depth=1
	global_load_dwordx4 v[23:26], v[4:5], off
	global_load_dwordx4 v[27:30], v[4:5], off offset:16
	v_ashrrev_i32_e32 v1, 31, v0
	v_lshlrev_b64 v[6:7], 2, v[0:1]
	v_add_u32_e32 v0, 32, v0
	v_add_co_u32_e32 v6, vcc, s12, v6
	v_addc_co_u32_e32 v7, vcc, v11, v7, vcc
	global_load_dword v1, v[6:7], off
	v_cmp_ge_i32_e64 s[0:1], v0, v22
	s_or_b64 s[10:11], s[0:1], s[10:11]
	s_waitcnt vmcnt(2)
	v_cvt_f64_f32_e32 v[31:32], v23
	v_cvt_f64_f32_e32 v[33:34], v24
	;; [unrolled: 1-line block ×4, first 2 shown]
	global_load_dwordx4 v[23:26], v[4:5], off offset:32
	s_waitcnt vmcnt(2)
	v_cvt_f64_f32_e32 v[39:40], v27
	v_cvt_f64_f32_e32 v[27:28], v28
	v_cvt_f64_f32_e32 v[41:42], v29
	v_cvt_f64_f32_e32 v[29:30], v30
	s_waitcnt vmcnt(1)
	v_subrev_u32_e32 v1, s16, v1
	s_waitcnt vmcnt(0)
	v_cvt_f64_f32_e32 v[43:44], v23
	v_lshlrev_b32_e32 v23, 2, v1
	v_cvt_f64_f32_e32 v[45:46], v24
	v_ashrrev_i32_e32 v24, 31, v23
	v_lshlrev_b64 v[23:24], 3, v[23:24]
	v_cvt_f64_f32_e32 v[47:48], v25
	v_add_co_u32_e32 v51, vcc, s6, v23
	v_addc_co_u32_e32 v52, vcc, v12, v24, vcc
	v_cvt_f64_f32_e32 v[49:50], v26
	global_load_dwordx4 v[23:26], v[51:52], off
	global_load_dword v1, v[6:7], off offset:32
	s_waitcnt vmcnt(1)
	v_fma_f64 v[15:16], v[31:32], v[23:24], v[15:16]
	v_fma_f64 v[13:14], v[33:34], v[23:24], v[13:14]
	;; [unrolled: 1-line block ×4, first 2 shown]
	s_waitcnt vmcnt(0)
	v_subrev_u32_e32 v1, s16, v1
	v_fma_f64 v[23:24], v[39:40], v[25:26], v[15:16]
	v_fma_f64 v[27:28], v[27:28], v[25:26], v[13:14]
	global_load_dwordx4 v[13:16], v[4:5], off offset:48
	v_fma_f64 v[17:18], v[41:42], v[25:26], v[17:18]
	v_fma_f64 v[19:20], v[29:30], v[25:26], v[19:20]
	s_waitcnt vmcnt(0)
	v_cvt_f64_f32_e32 v[25:26], v13
	v_cvt_f64_f32_e32 v[29:30], v14
	;; [unrolled: 1-line block ×4, first 2 shown]
	global_load_dwordx4 v[13:16], v[4:5], off offset:512
	s_waitcnt vmcnt(0)
	v_cvt_f64_f32_e32 v[35:36], v13
	v_cvt_f64_f32_e32 v[37:38], v14
	;; [unrolled: 1-line block ×4, first 2 shown]
	global_load_dwordx4 v[13:16], v[51:52], off offset:16
	s_waitcnt vmcnt(0)
	v_fma_f64 v[23:24], v[43:44], v[13:14], v[23:24]
	v_fma_f64 v[27:28], v[45:46], v[13:14], v[27:28]
	;; [unrolled: 1-line block ×4, first 2 shown]
	global_load_dwordx4 v[17:20], v[4:5], off offset:528
	v_fma_f64 v[23:24], v[25:26], v[15:16], v[23:24]
	v_fma_f64 v[25:26], v[29:30], v[15:16], v[27:28]
	;; [unrolled: 1-line block ×4, first 2 shown]
	global_load_dwordx4 v[13:16], v[4:5], off offset:544
	s_waitcnt vmcnt(1)
	v_cvt_f64_f32_e32 v[33:34], v19
	v_cvt_f64_f32_e32 v[43:44], v20
	v_cvt_f64_f32_e32 v[29:30], v17
	v_cvt_f64_f32_e32 v[17:18], v18
	s_waitcnt vmcnt(0)
	v_cvt_f64_f32_e32 v[45:46], v13
	v_lshlrev_b32_e32 v13, 2, v1
	v_cvt_f64_f32_e32 v[47:48], v14
	v_ashrrev_i32_e32 v14, 31, v13
	v_lshlrev_b64 v[13:14], 3, v[13:14]
	v_cvt_f64_f32_e32 v[49:50], v15
	v_add_co_u32_e32 v53, vcc, s6, v13
	v_addc_co_u32_e32 v54, vcc, v12, v14, vcc
	v_cvt_f64_f32_e32 v[51:52], v16
	global_load_dwordx4 v[13:16], v[53:54], off
	global_load_dword v1, v[6:7], off offset:64
	s_waitcnt vmcnt(1)
	v_fma_f64 v[19:20], v[35:36], v[13:14], v[23:24]
	v_fma_f64 v[23:24], v[37:38], v[13:14], v[25:26]
	;; [unrolled: 1-line block ×4, first 2 shown]
	s_waitcnt vmcnt(0)
	v_subrev_u32_e32 v1, s16, v1
	v_fma_f64 v[27:28], v[29:30], v[15:16], v[19:20]
	v_fma_f64 v[23:24], v[17:18], v[15:16], v[23:24]
	;; [unrolled: 1-line block ×3, first 2 shown]
	global_load_dwordx4 v[17:20], v[4:5], off offset:560
	v_fma_f64 v[29:30], v[43:44], v[15:16], v[13:14]
	global_load_dwordx4 v[13:16], v[4:5], off offset:1024
	s_waitcnt vmcnt(1)
	v_cvt_f64_f32_e32 v[33:34], v19
	v_cvt_f64_f32_e32 v[35:36], v20
	s_waitcnt vmcnt(0)
	v_cvt_f64_f32_e32 v[37:38], v13
	v_cvt_f64_f32_e32 v[39:40], v14
	;; [unrolled: 1-line block ×4, first 2 shown]
	global_load_dwordx4 v[13:16], v[53:54], off offset:16
	v_cvt_f64_f32_e32 v[31:32], v17
	v_cvt_f64_f32_e32 v[17:18], v18
	s_waitcnt vmcnt(0)
	v_fma_f64 v[19:20], v[45:46], v[13:14], v[27:28]
	v_fma_f64 v[23:24], v[47:48], v[13:14], v[23:24]
	;; [unrolled: 1-line block ×6, first 2 shown]
	global_load_dwordx4 v[17:20], v[4:5], off offset:1040
	v_fma_f64 v[25:26], v[33:34], v[15:16], v[25:26]
	v_fma_f64 v[31:32], v[35:36], v[15:16], v[13:14]
	global_load_dwordx4 v[13:16], v[4:5], off offset:1056
	s_waitcnt vmcnt(1)
	v_cvt_f64_f32_e32 v[33:34], v19
	v_cvt_f64_f32_e32 v[35:36], v20
	;; [unrolled: 1-line block ×3, first 2 shown]
	s_waitcnt vmcnt(0)
	v_cvt_f64_f32_e32 v[45:46], v13
	v_lshlrev_b32_e32 v13, 2, v1
	v_cvt_f64_f32_e32 v[47:48], v14
	v_ashrrev_i32_e32 v14, 31, v13
	v_lshlrev_b64 v[13:14], 3, v[13:14]
	v_cvt_f64_f32_e32 v[49:50], v15
	v_add_co_u32_e32 v53, vcc, s6, v13
	v_addc_co_u32_e32 v54, vcc, v12, v14, vcc
	v_cvt_f64_f32_e32 v[51:52], v16
	global_load_dwordx4 v[13:16], v[53:54], off
	v_cvt_f64_f32_e32 v[17:18], v18
	s_waitcnt vmcnt(0)
	v_fma_f64 v[19:20], v[37:38], v[13:14], v[27:28]
	v_fma_f64 v[23:24], v[39:40], v[13:14], v[23:24]
	v_fma_f64 v[25:26], v[41:42], v[13:14], v[25:26]
	v_fma_f64 v[13:14], v[43:44], v[13:14], v[31:32]
	v_fma_f64 v[27:28], v[29:30], v[15:16], v[19:20]
	v_fma_f64 v[23:24], v[17:18], v[15:16], v[23:24]
	v_fma_f64 v[25:26], v[33:34], v[15:16], v[25:26]
	global_load_dwordx4 v[17:20], v[4:5], off offset:1072
	v_fma_f64 v[29:30], v[35:36], v[15:16], v[13:14]
	global_load_dwordx4 v[13:16], v[4:5], off offset:1536
	s_waitcnt vmcnt(1)
	v_cvt_f64_f32_e32 v[33:34], v19
	v_cvt_f64_f32_e32 v[35:36], v20
	s_waitcnt vmcnt(0)
	v_cvt_f64_f32_e32 v[37:38], v13
	v_cvt_f64_f32_e32 v[39:40], v14
	;; [unrolled: 1-line block ×4, first 2 shown]
	global_load_dwordx4 v[13:16], v[53:54], off offset:16
	v_cvt_f64_f32_e32 v[31:32], v17
	v_cvt_f64_f32_e32 v[17:18], v18
	s_waitcnt vmcnt(0)
	v_fma_f64 v[19:20], v[45:46], v[13:14], v[27:28]
	v_fma_f64 v[23:24], v[47:48], v[13:14], v[23:24]
	;; [unrolled: 1-line block ×6, first 2 shown]
	global_load_dwordx4 v[17:20], v[4:5], off offset:1552
	global_load_dword v1, v[6:7], off offset:96
	v_fma_f64 v[31:32], v[35:36], v[15:16], v[13:14]
	v_fma_f64 v[6:7], v[33:34], v[15:16], v[25:26]
	s_waitcnt vmcnt(1)
	v_cvt_f64_f32_e32 v[29:30], v17
	s_waitcnt vmcnt(0)
	v_subrev_u32_e32 v1, s16, v1
	v_lshlrev_b32_e32 v13, 2, v1
	v_ashrrev_i32_e32 v14, 31, v13
	v_lshlrev_b64 v[13:14], 3, v[13:14]
	v_cvt_f64_f32_e32 v[33:34], v18
	v_add_co_u32_e32 v25, vcc, s6, v13
	v_addc_co_u32_e32 v26, vcc, v12, v14, vcc
	global_load_dwordx4 v[13:16], v[25:26], off
	v_cvt_f64_f32_e32 v[35:36], v19
	v_cvt_f64_f32_e32 v[45:46], v20
	global_load_dwordx4 v[17:20], v[4:5], off offset:1568
	s_waitcnt vmcnt(1)
	v_fma_f64 v[27:28], v[37:38], v[13:14], v[27:28]
	v_fma_f64 v[37:38], v[39:40], v[13:14], v[23:24]
	global_load_dwordx4 v[23:26], v[25:26], off offset:16
	v_fma_f64 v[6:7], v[41:42], v[13:14], v[6:7]
	v_fma_f64 v[13:14], v[43:44], v[13:14], v[31:32]
	;; [unrolled: 1-line block ×3, first 2 shown]
	global_load_dwordx4 v[27:30], v[4:5], off offset:1584
	v_fma_f64 v[33:34], v[33:34], v[15:16], v[37:38]
	v_fma_f64 v[6:7], v[35:36], v[15:16], v[6:7]
	;; [unrolled: 1-line block ×3, first 2 shown]
	s_waitcnt vmcnt(2)
	v_cvt_f64_f32_e32 v[37:38], v17
	v_cvt_f64_f32_e32 v[17:18], v18
	;; [unrolled: 1-line block ×4, first 2 shown]
	v_add_co_u32_e32 v4, vcc, 0x800, v4
	v_addc_co_u32_e32 v5, vcc, 0, v5, vcc
	s_waitcnt vmcnt(1)
	v_fma_f64 v[31:32], v[37:38], v[23:24], v[31:32]
	v_fma_f64 v[17:18], v[17:18], v[23:24], v[33:34]
	;; [unrolled: 1-line block ×4, first 2 shown]
	s_waitcnt vmcnt(0)
	v_cvt_f64_f32_e32 v[35:36], v27
	v_cvt_f64_f32_e32 v[13:14], v28
	v_cvt_f64_f32_e32 v[23:24], v29
	v_cvt_f64_f32_e32 v[27:28], v30
	v_fma_f64 v[15:16], v[35:36], v[25:26], v[31:32]
	v_fma_f64 v[13:14], v[13:14], v[25:26], v[17:18]
	;; [unrolled: 1-line block ×4, first 2 shown]
	s_andn2_b64 exec, exec, s[10:11]
	s_cbranch_execnz .LBB151_33
; %bb.34:
	s_or_b64 exec, exec, s[10:11]
.LBB151_35:
	s_or_b64 exec, exec, s[8:9]
.LBB151_36:
	s_or_b64 exec, exec, s[2:3]
.LBB151_37:
	v_mov_b32_dpp v0, v15 row_shr:1 row_mask:0xf bank_mask:0xf
	v_mov_b32_dpp v1, v16 row_shr:1 row_mask:0xf bank_mask:0xf
	v_add_f64 v[0:1], v[15:16], v[0:1]
	v_mov_b32_dpp v4, v13 row_shr:1 row_mask:0xf bank_mask:0xf
	v_mov_b32_dpp v5, v14 row_shr:1 row_mask:0xf bank_mask:0xf
	;; [unrolled: 1-line block ×4, first 2 shown]
	v_add_f64 v[4:5], v[13:14], v[4:5]
	v_add_f64 v[6:7], v[17:18], v[6:7]
	v_mov_b32_dpp v13, v19 row_shr:1 row_mask:0xf bank_mask:0xf
	v_mov_b32_dpp v14, v20 row_shr:1 row_mask:0xf bank_mask:0xf
	v_add_f64 v[13:14], v[19:20], v[13:14]
	v_mov_b32_dpp v11, v0 row_shr:2 row_mask:0xf bank_mask:0xf
	v_mov_b32_dpp v12, v1 row_shr:2 row_mask:0xf bank_mask:0xf
	;; [unrolled: 3-line block ×6, first 2 shown]
	v_mov_b32_dpp v17, v4 row_shr:4 row_mask:0xf bank_mask:0xe
	v_mov_b32_dpp v18, v5 row_shr:4 row_mask:0xf bank_mask:0xe
	v_mov_b32_dpp v15, v6 row_shr:4 row_mask:0xf bank_mask:0xe
	v_mov_b32_dpp v16, v7 row_shr:4 row_mask:0xf bank_mask:0xe
	v_cmp_eq_u32_e32 vcc, 7, v21
	v_mov_b32_dpp v13, v11 row_shr:4 row_mask:0xf bank_mask:0xe
	v_mov_b32_dpp v14, v12 row_shr:4 row_mask:0xf bank_mask:0xe
	s_and_b64 exec, exec, vcc
	s_cbranch_execz .LBB151_10
; %bb.38:
	v_add_f64 v[0:1], v[0:1], v[19:20]
	v_add_f64 v[17:18], v[4:5], v[17:18]
	v_add_f64 v[15:16], v[6:7], v[15:16]
	v_add_f64 v[11:12], v[11:12], v[13:14]
	v_cmp_eq_f64_e32 vcc, 0, v[8:9]
	s_load_dwordx2 s[0:1], s[4:5], 0x50
	v_lshlrev_b32_e32 v10, 2, v10
	v_mul_f64 v[4:5], v[2:3], v[0:1]
	v_mul_f64 v[6:7], v[2:3], v[17:18]
	;; [unrolled: 1-line block ×4, first 2 shown]
	s_and_saveexec_b64 s[2:3], vcc
	s_xor_b64 s[2:3], exec, s[2:3]
	s_cbranch_execz .LBB151_40
; %bb.39:
	v_ashrrev_i32_e32 v11, 31, v10
	v_lshlrev_b64 v[8:9], 3, v[10:11]
	s_waitcnt lgkmcnt(0)
	v_mov_b32_e32 v10, s1
	v_add_co_u32_e32 v8, vcc, s0, v8
	v_addc_co_u32_e32 v9, vcc, v10, v9, vcc
	global_store_dwordx4 v[8:9], v[4:7], off
	global_store_dwordx4 v[8:9], v[0:3], off offset:16
                                        ; implicit-def: $vgpr10
                                        ; implicit-def: $vgpr8_vgpr9
                                        ; implicit-def: $vgpr4_vgpr5
                                        ; implicit-def: $vgpr0_vgpr1
.LBB151_40:
	s_andn2_saveexec_b64 s[2:3], s[2:3]
	s_cbranch_execz .LBB151_10
; %bb.41:
	v_ashrrev_i32_e32 v11, 31, v10
	v_lshlrev_b64 v[10:11], 3, v[10:11]
	s_waitcnt lgkmcnt(0)
	v_mov_b32_e32 v12, s1
	v_add_co_u32_e32 v18, vcc, s0, v10
	v_addc_co_u32_e32 v19, vcc, v12, v11, vcc
	global_load_dwordx4 v[10:13], v[18:19], off
	global_load_dwordx4 v[14:17], v[18:19], off offset:16
	s_waitcnt vmcnt(1)
	v_fma_f64 v[4:5], v[8:9], v[10:11], v[4:5]
	v_fma_f64 v[6:7], v[8:9], v[12:13], v[6:7]
	s_waitcnt vmcnt(0)
	v_fma_f64 v[0:1], v[8:9], v[14:15], v[0:1]
	v_fma_f64 v[2:3], v[8:9], v[16:17], v[2:3]
	global_store_dwordx4 v[18:19], v[4:7], off
	global_store_dwordx4 v[18:19], v[0:3], off offset:16
	s_endpgm
	.section	.rodata,"a",@progbits
	.p2align	6, 0x0
	.amdhsa_kernel _ZN9rocsparseL18bsrxmvn_4x4_kernelILj128ELj8EdiifddEEvT3_20rocsparse_direction_NS_24const_host_device_scalarIT1_EES1_PKS1_PKT2_SA_S7_PKT4_PKT5_S5_PT6_21rocsparse_index_base_b
		.amdhsa_group_segment_fixed_size 0
		.amdhsa_private_segment_fixed_size 0
		.amdhsa_kernarg_size 96
		.amdhsa_user_sgpr_count 6
		.amdhsa_user_sgpr_private_segment_buffer 1
		.amdhsa_user_sgpr_dispatch_ptr 0
		.amdhsa_user_sgpr_queue_ptr 0
		.amdhsa_user_sgpr_kernarg_segment_ptr 1
		.amdhsa_user_sgpr_dispatch_id 0
		.amdhsa_user_sgpr_flat_scratch_init 0
		.amdhsa_user_sgpr_private_segment_size 0
		.amdhsa_uses_dynamic_stack 0
		.amdhsa_system_sgpr_private_segment_wavefront_offset 0
		.amdhsa_system_sgpr_workgroup_id_x 1
		.amdhsa_system_sgpr_workgroup_id_y 0
		.amdhsa_system_sgpr_workgroup_id_z 0
		.amdhsa_system_sgpr_workgroup_info 0
		.amdhsa_system_vgpr_workitem_id 0
		.amdhsa_next_free_vgpr 59
		.amdhsa_next_free_sgpr 18
		.amdhsa_reserve_vcc 1
		.amdhsa_reserve_flat_scratch 0
		.amdhsa_float_round_mode_32 0
		.amdhsa_float_round_mode_16_64 0
		.amdhsa_float_denorm_mode_32 3
		.amdhsa_float_denorm_mode_16_64 3
		.amdhsa_dx10_clamp 1
		.amdhsa_ieee_mode 1
		.amdhsa_fp16_overflow 0
		.amdhsa_exception_fp_ieee_invalid_op 0
		.amdhsa_exception_fp_denorm_src 0
		.amdhsa_exception_fp_ieee_div_zero 0
		.amdhsa_exception_fp_ieee_overflow 0
		.amdhsa_exception_fp_ieee_underflow 0
		.amdhsa_exception_fp_ieee_inexact 0
		.amdhsa_exception_int_div_zero 0
	.end_amdhsa_kernel
	.section	.text._ZN9rocsparseL18bsrxmvn_4x4_kernelILj128ELj8EdiifddEEvT3_20rocsparse_direction_NS_24const_host_device_scalarIT1_EES1_PKS1_PKT2_SA_S7_PKT4_PKT5_S5_PT6_21rocsparse_index_base_b,"axG",@progbits,_ZN9rocsparseL18bsrxmvn_4x4_kernelILj128ELj8EdiifddEEvT3_20rocsparse_direction_NS_24const_host_device_scalarIT1_EES1_PKS1_PKT2_SA_S7_PKT4_PKT5_S5_PT6_21rocsparse_index_base_b,comdat
.Lfunc_end151:
	.size	_ZN9rocsparseL18bsrxmvn_4x4_kernelILj128ELj8EdiifddEEvT3_20rocsparse_direction_NS_24const_host_device_scalarIT1_EES1_PKS1_PKT2_SA_S7_PKT4_PKT5_S5_PT6_21rocsparse_index_base_b, .Lfunc_end151-_ZN9rocsparseL18bsrxmvn_4x4_kernelILj128ELj8EdiifddEEvT3_20rocsparse_direction_NS_24const_host_device_scalarIT1_EES1_PKS1_PKT2_SA_S7_PKT4_PKT5_S5_PT6_21rocsparse_index_base_b
                                        ; -- End function
	.set _ZN9rocsparseL18bsrxmvn_4x4_kernelILj128ELj8EdiifddEEvT3_20rocsparse_direction_NS_24const_host_device_scalarIT1_EES1_PKS1_PKT2_SA_S7_PKT4_PKT5_S5_PT6_21rocsparse_index_base_b.num_vgpr, 59
	.set _ZN9rocsparseL18bsrxmvn_4x4_kernelILj128ELj8EdiifddEEvT3_20rocsparse_direction_NS_24const_host_device_scalarIT1_EES1_PKS1_PKT2_SA_S7_PKT4_PKT5_S5_PT6_21rocsparse_index_base_b.num_agpr, 0
	.set _ZN9rocsparseL18bsrxmvn_4x4_kernelILj128ELj8EdiifddEEvT3_20rocsparse_direction_NS_24const_host_device_scalarIT1_EES1_PKS1_PKT2_SA_S7_PKT4_PKT5_S5_PT6_21rocsparse_index_base_b.numbered_sgpr, 18
	.set _ZN9rocsparseL18bsrxmvn_4x4_kernelILj128ELj8EdiifddEEvT3_20rocsparse_direction_NS_24const_host_device_scalarIT1_EES1_PKS1_PKT2_SA_S7_PKT4_PKT5_S5_PT6_21rocsparse_index_base_b.num_named_barrier, 0
	.set _ZN9rocsparseL18bsrxmvn_4x4_kernelILj128ELj8EdiifddEEvT3_20rocsparse_direction_NS_24const_host_device_scalarIT1_EES1_PKS1_PKT2_SA_S7_PKT4_PKT5_S5_PT6_21rocsparse_index_base_b.private_seg_size, 0
	.set _ZN9rocsparseL18bsrxmvn_4x4_kernelILj128ELj8EdiifddEEvT3_20rocsparse_direction_NS_24const_host_device_scalarIT1_EES1_PKS1_PKT2_SA_S7_PKT4_PKT5_S5_PT6_21rocsparse_index_base_b.uses_vcc, 1
	.set _ZN9rocsparseL18bsrxmvn_4x4_kernelILj128ELj8EdiifddEEvT3_20rocsparse_direction_NS_24const_host_device_scalarIT1_EES1_PKS1_PKT2_SA_S7_PKT4_PKT5_S5_PT6_21rocsparse_index_base_b.uses_flat_scratch, 0
	.set _ZN9rocsparseL18bsrxmvn_4x4_kernelILj128ELj8EdiifddEEvT3_20rocsparse_direction_NS_24const_host_device_scalarIT1_EES1_PKS1_PKT2_SA_S7_PKT4_PKT5_S5_PT6_21rocsparse_index_base_b.has_dyn_sized_stack, 0
	.set _ZN9rocsparseL18bsrxmvn_4x4_kernelILj128ELj8EdiifddEEvT3_20rocsparse_direction_NS_24const_host_device_scalarIT1_EES1_PKS1_PKT2_SA_S7_PKT4_PKT5_S5_PT6_21rocsparse_index_base_b.has_recursion, 0
	.set _ZN9rocsparseL18bsrxmvn_4x4_kernelILj128ELj8EdiifddEEvT3_20rocsparse_direction_NS_24const_host_device_scalarIT1_EES1_PKS1_PKT2_SA_S7_PKT4_PKT5_S5_PT6_21rocsparse_index_base_b.has_indirect_call, 0
	.section	.AMDGPU.csdata,"",@progbits
; Kernel info:
; codeLenInByte = 4656
; TotalNumSgprs: 22
; NumVgprs: 59
; ScratchSize: 0
; MemoryBound: 0
; FloatMode: 240
; IeeeMode: 1
; LDSByteSize: 0 bytes/workgroup (compile time only)
; SGPRBlocks: 2
; VGPRBlocks: 14
; NumSGPRsForWavesPerEU: 22
; NumVGPRsForWavesPerEU: 59
; Occupancy: 4
; WaveLimiterHint : 1
; COMPUTE_PGM_RSRC2:SCRATCH_EN: 0
; COMPUTE_PGM_RSRC2:USER_SGPR: 6
; COMPUTE_PGM_RSRC2:TRAP_HANDLER: 0
; COMPUTE_PGM_RSRC2:TGID_X_EN: 1
; COMPUTE_PGM_RSRC2:TGID_Y_EN: 0
; COMPUTE_PGM_RSRC2:TGID_Z_EN: 0
; COMPUTE_PGM_RSRC2:TIDIG_COMP_CNT: 0
	.section	.text._ZN9rocsparseL18bsrxmvn_4x4_kernelILj128ELj16EdiifddEEvT3_20rocsparse_direction_NS_24const_host_device_scalarIT1_EES1_PKS1_PKT2_SA_S7_PKT4_PKT5_S5_PT6_21rocsparse_index_base_b,"axG",@progbits,_ZN9rocsparseL18bsrxmvn_4x4_kernelILj128ELj16EdiifddEEvT3_20rocsparse_direction_NS_24const_host_device_scalarIT1_EES1_PKS1_PKT2_SA_S7_PKT4_PKT5_S5_PT6_21rocsparse_index_base_b,comdat
	.globl	_ZN9rocsparseL18bsrxmvn_4x4_kernelILj128ELj16EdiifddEEvT3_20rocsparse_direction_NS_24const_host_device_scalarIT1_EES1_PKS1_PKT2_SA_S7_PKT4_PKT5_S5_PT6_21rocsparse_index_base_b ; -- Begin function _ZN9rocsparseL18bsrxmvn_4x4_kernelILj128ELj16EdiifddEEvT3_20rocsparse_direction_NS_24const_host_device_scalarIT1_EES1_PKS1_PKT2_SA_S7_PKT4_PKT5_S5_PT6_21rocsparse_index_base_b
	.p2align	8
	.type	_ZN9rocsparseL18bsrxmvn_4x4_kernelILj128ELj16EdiifddEEvT3_20rocsparse_direction_NS_24const_host_device_scalarIT1_EES1_PKS1_PKT2_SA_S7_PKT4_PKT5_S5_PT6_21rocsparse_index_base_b,@function
_ZN9rocsparseL18bsrxmvn_4x4_kernelILj128ELj16EdiifddEEvT3_20rocsparse_direction_NS_24const_host_device_scalarIT1_EES1_PKS1_PKT2_SA_S7_PKT4_PKT5_S5_PT6_21rocsparse_index_base_b: ; @_ZN9rocsparseL18bsrxmvn_4x4_kernelILj128ELj16EdiifddEEvT3_20rocsparse_direction_NS_24const_host_device_scalarIT1_EES1_PKS1_PKT2_SA_S7_PKT4_PKT5_S5_PT6_21rocsparse_index_base_b
; %bb.0:
	s_load_dwordx2 s[16:17], s[4:5], 0x58
	s_load_dwordx2 s[8:9], s[4:5], 0x8
	;; [unrolled: 1-line block ×3, first 2 shown]
	s_waitcnt lgkmcnt(0)
	s_bitcmp1_b32 s17, 0
	s_cselect_b64 s[10:11], -1, 0
	v_mov_b32_e32 v2, s8
	s_xor_b64 s[2:3], s[10:11], -1
	s_and_b64 vcc, exec, s[10:11]
	v_mov_b32_e32 v3, s9
	s_cbranch_vccnz .LBB152_2
; %bb.1:
	v_mov_b32_e32 v1, s8
	v_mov_b32_e32 v2, s9
	flat_load_dwordx2 v[2:3], v[1:2]
.LBB152_2:
	v_mov_b32_e32 v9, s1
	s_andn2_b64 vcc, exec, s[2:3]
	v_mov_b32_e32 v8, s0
	s_cbranch_vccnz .LBB152_4
; %bb.3:
	v_mov_b32_e32 v5, s1
	v_mov_b32_e32 v4, s0
	flat_load_dwordx2 v[8:9], v[4:5]
.LBB152_4:
	s_waitcnt vmcnt(0) lgkmcnt(0)
	v_cmp_neq_f64_e32 vcc, 0, v[2:3]
	v_cmp_neq_f64_e64 s[0:1], 1.0, v[8:9]
	s_mov_b64 s[2:3], 0
	s_or_b64 s[0:1], vcc, s[0:1]
	s_and_saveexec_b64 s[8:9], s[0:1]
	s_cbranch_execz .LBB152_10
; %bb.5:
	s_load_dwordx2 s[8:9], s[4:5], 0x18
	s_load_dwordx2 s[0:1], s[4:5], 0x0
	v_lshrrev_b32_e32 v1, 4, v0
	v_lshl_or_b32 v10, s6, 3, v1
	s_mov_b64 s[6:7], 0
	s_waitcnt lgkmcnt(0)
	s_cmp_lg_u64 s[8:9], 0
	s_cbranch_scc0 .LBB152_11
; %bb.6:
	s_load_dword s2, s[4:5], 0x10
                                        ; implicit-def: $vgpr1
	s_waitcnt lgkmcnt(0)
	v_cmp_gt_i32_e32 vcc, s2, v10
	s_and_saveexec_b64 s[2:3], vcc
	s_xor_b64 s[2:3], exec, s[2:3]
	s_cbranch_execz .LBB152_8
; %bb.7:
	v_ashrrev_i32_e32 v11, 31, v10
	v_lshlrev_b64 v[4:5], 2, v[10:11]
	v_mov_b32_e32 v1, s9
	v_add_co_u32_e32 v4, vcc, s8, v4
	v_addc_co_u32_e32 v5, vcc, v1, v5, vcc
	global_load_dword v1, v[4:5], off
	s_mov_b64 s[6:7], exec
	s_waitcnt vmcnt(0)
	v_subrev_u32_e32 v1, s16, v1
.LBB152_8:
	s_or_b64 exec, exec, s[2:3]
	s_mov_b64 s[2:3], s[6:7]
	s_branch .LBB152_12
.LBB152_9:
	v_cmp_gt_i32_e32 vcc, s0, v10
	s_andn2_b64 s[2:3], s[2:3], exec
	s_and_b64 s[6:7], vcc, exec
	s_or_b64 s[2:3], s[2:3], s[6:7]
	s_and_b64 exec, exec, s[2:3]
	s_cbranch_execnz .LBB152_13
.LBB152_10:
	s_endpgm
.LBB152_11:
                                        ; implicit-def: $vgpr1
	s_cbranch_execnz .LBB152_9
.LBB152_12:
	v_mov_b32_e32 v10, v1
	s_and_b64 exec, exec, s[2:3]
	s_cbranch_execz .LBB152_10
.LBB152_13:
	s_load_dwordx8 s[8:15], s[4:5], 0x20
	v_ashrrev_i32_e32 v11, 31, v10
	v_lshlrev_b64 v[4:5], 2, v[10:11]
	v_and_b32_e32 v21, 15, v0
	s_load_dwordx2 s[6:7], s[4:5], 0x40
	s_waitcnt lgkmcnt(0)
	v_mov_b32_e32 v1, s9
	v_add_co_u32_e32 v6, vcc, s8, v4
	v_addc_co_u32_e32 v7, vcc, v1, v5, vcc
	v_add_co_u32_e32 v1, vcc, 4, v6
	global_load_dword v23, v[6:7], off
	v_addc_co_u32_e32 v6, vcc, 0, v7, vcc
	v_mov_b32_e32 v7, s11
	v_add_co_u32_e32 v4, vcc, s10, v4
	s_cmp_eq_u64 s[10:11], 0
	v_addc_co_u32_e32 v5, vcc, v7, v5, vcc
	s_cselect_b64 vcc, -1, 0
	v_cndmask_b32_e32 v5, v5, v6, vcc
	v_cndmask_b32_e32 v4, v4, v1, vcc
	global_load_dword v1, v[4:5], off
	v_mov_b32_e32 v6, s15
	s_cmp_eq_u32 s1, 1
	s_waitcnt vmcnt(1)
	v_subrev_u32_e32 v0, s16, v23
	v_add_u32_e32 v0, v0, v21
	s_waitcnt vmcnt(0)
	v_subrev_u32_e32 v22, s16, v1
	v_ashrrev_i32_e32 v1, 31, v0
	v_lshlrev_b64 v[4:5], 6, v[0:1]
	v_cmp_lt_i32_e64 s[0:1], v0, v22
	v_add_co_u32_e32 v4, vcc, s14, v4
	v_addc_co_u32_e32 v5, vcc, v6, v5, vcc
	s_cbranch_scc1 .LBB152_25
; %bb.14:
	v_mov_b32_e32 v19, 0
	v_mov_b32_e32 v13, 0
	;; [unrolled: 1-line block ×8, first 2 shown]
	s_and_saveexec_b64 s[8:9], s[0:1]
	s_cbranch_execz .LBB152_24
; %bb.15:
	v_add_u32_e32 v1, v23, v21
	v_subrev_u32_e32 v1, s16, v1
	v_add_u32_e32 v1, 16, v1
	v_max_i32_e32 v1, v1, v22
	v_not_b32_e32 v6, v23
	v_add3_u32 v1, s16, v1, v6
	v_sub_u32_e32 v1, v1, v21
	v_and_b32_e32 v6, 48, v1
	v_cmp_ne_u32_e32 vcc, 48, v6
	v_mov_b32_e32 v17, 0
	v_mov_b32_e32 v15, 0
	;; [unrolled: 1-line block ×11, first 2 shown]
	s_and_saveexec_b64 s[10:11], vcc
	s_cbranch_execz .LBB152_19
; %bb.16:
	v_lshrrev_b32_e32 v6, 4, v1
	v_add_u32_e32 v6, 1, v6
	v_and_b32_e32 v6, 3, v6
	v_sub_u32_e32 v24, 0, v6
	v_mov_b32_e32 v19, 0
	v_mov_b32_e32 v7, v5
	;; [unrolled: 1-line block ×6, first 2 shown]
	s_mov_b64 s[14:15], 0
	v_mov_b32_e32 v25, s13
	v_mov_b32_e32 v26, s7
	;; [unrolled: 1-line block ×7, first 2 shown]
.LBB152_17:                             ; =>This Inner Loop Header: Depth=1
	v_ashrrev_i32_e32 v12, 31, v11
	v_lshlrev_b64 v[27:28], 2, v[11:12]
	v_add_co_u32_e64 v24, s[2:3], 1, v24
	v_add_co_u32_e32 v43, vcc, s12, v27
	v_addc_co_u32_e32 v44, vcc, v25, v28, vcc
	global_load_dword v12, v[43:44], off
	global_load_dwordx4 v[27:30], v[6:7], off
	global_load_dwordx4 v[31:34], v[6:7], off offset:16
	global_load_dwordx4 v[35:38], v[6:7], off offset:32
	;; [unrolled: 1-line block ×3, first 2 shown]
	s_or_b64 s[14:15], s[2:3], s[14:15]
	v_add_u32_e32 v11, 16, v11
	s_waitcnt vmcnt(4)
	v_subrev_u32_e32 v12, s16, v12
	v_lshlrev_b32_e32 v43, 2, v12
	v_ashrrev_i32_e32 v44, 31, v43
	v_lshlrev_b64 v[43:44], 3, v[43:44]
	s_waitcnt vmcnt(2)
	v_cvt_f64_f32_e32 v[53:54], v31
	v_add_co_u32_e32 v51, vcc, s6, v43
	v_addc_co_u32_e32 v52, vcc, v26, v44, vcc
	global_load_dwordx4 v[43:46], v[51:52], off
	global_load_dwordx4 v[47:50], v[51:52], off offset:16
	v_cvt_f64_f32_e32 v[51:52], v27
	s_waitcnt vmcnt(3)
	v_cvt_f64_f32_e32 v[55:56], v35
	s_waitcnt vmcnt(2)
	v_cvt_f64_f32_e32 v[57:58], v39
	v_cvt_f64_f32_e32 v[27:28], v28
	;; [unrolled: 1-line block ×5, first 2 shown]
	v_add_co_u32_e32 v6, vcc, 0x400, v6
	v_addc_co_u32_e32 v7, vcc, 0, v7, vcc
	s_waitcnt vmcnt(1)
	v_fma_f64 v[17:18], v[51:52], v[43:44], v[17:18]
	v_fma_f64 v[15:16], v[53:54], v[43:44], v[15:16]
	;; [unrolled: 1-line block ×8, first 2 shown]
	v_cvt_f64_f32_e32 v[27:28], v29
	v_cvt_f64_f32_e32 v[31:32], v33
	v_cvt_f64_f32_e32 v[35:36], v37
	v_cvt_f64_f32_e32 v[39:40], v41
	s_waitcnt vmcnt(0)
	v_fma_f64 v[16:17], v[27:28], v[47:48], v[17:18]
	v_fma_f64 v[14:15], v[31:32], v[47:48], v[14:15]
	;; [unrolled: 1-line block ×4, first 2 shown]
	v_cvt_f64_f32_e32 v[27:28], v30
	v_cvt_f64_f32_e32 v[29:30], v34
	;; [unrolled: 1-line block ×4, first 2 shown]
	v_fma_f64 v[17:18], v[27:28], v[49:50], v[16:17]
	v_fma_f64 v[15:16], v[29:30], v[49:50], v[14:15]
	;; [unrolled: 1-line block ×4, first 2 shown]
	s_andn2_b64 exec, exec, s[14:15]
	s_cbranch_execnz .LBB152_17
; %bb.18:
	s_or_b64 exec, exec, s[14:15]
.LBB152_19:
	s_or_b64 exec, exec, s[10:11]
	v_cmp_lt_u32_e32 vcc, 47, v1
	s_and_saveexec_b64 s[2:3], vcc
	s_cbranch_execz .LBB152_23
; %bb.20:
	s_mov_b64 s[10:11], 0
	v_mov_b32_e32 v1, s13
	v_mov_b32_e32 v24, s7
.LBB152_21:                             ; =>This Inner Loop Header: Depth=1
	v_ashrrev_i32_e32 v12, 31, v11
	v_lshlrev_b64 v[25:26], 2, v[11:12]
	v_add_u32_e32 v11, 64, v11
	v_add_co_u32_e32 v49, vcc, s12, v25
	v_addc_co_u32_e32 v50, vcc, v1, v26, vcc
	global_load_dword v12, v[49:50], off
	global_load_dwordx4 v[25:28], v[6:7], off offset:48
	global_load_dwordx4 v[29:32], v[6:7], off offset:32
	;; [unrolled: 1-line block ×3, first 2 shown]
	global_load_dwordx4 v[37:40], v[6:7], off
	s_waitcnt vmcnt(4)
	v_subrev_u32_e32 v12, s16, v12
	v_lshlrev_b32_e32 v41, 2, v12
	v_ashrrev_i32_e32 v42, 31, v41
	v_lshlrev_b64 v[41:42], 3, v[41:42]
	s_waitcnt vmcnt(0)
	v_cvt_f64_f32_e32 v[51:52], v37
	v_add_co_u32_e32 v53, vcc, s6, v41
	v_addc_co_u32_e32 v54, vcc, v24, v42, vcc
	global_load_dwordx4 v[41:44], v[53:54], off offset:16
	global_load_dwordx4 v[45:48], v[53:54], off
	v_cvt_f64_f32_e32 v[37:38], v38
	s_waitcnt vmcnt(0)
	v_fma_f64 v[17:18], v[51:52], v[45:46], v[17:18]
	v_fma_f64 v[17:18], v[37:38], v[47:48], v[17:18]
	v_cvt_f64_f32_e32 v[37:38], v39
	v_fma_f64 v[17:18], v[37:38], v[41:42], v[17:18]
	v_cvt_f64_f32_e32 v[37:38], v40
	;; [unrolled: 2-line block ×11, first 2 shown]
	v_cvt_f64_f32_e32 v[14:15], v26
	v_fma_f64 v[12:13], v[12:13], v[45:46], v[19:20]
	v_fma_f64 v[12:13], v[14:15], v[47:48], v[12:13]
	v_cvt_f64_f32_e32 v[14:15], v27
	v_fma_f64 v[12:13], v[14:15], v[41:42], v[12:13]
	v_cvt_f64_f32_e32 v[14:15], v28
	v_fma_f64 v[41:42], v[14:15], v[43:44], v[12:13]
	global_load_dword v12, v[49:50], off offset:64
	s_waitcnt vmcnt(0)
	v_subrev_u32_e32 v12, s16, v12
	v_lshlrev_b32_e32 v33, 2, v12
	v_ashrrev_i32_e32 v34, 31, v33
	global_load_dwordx4 v[12:15], v[6:7], off offset:1072
	global_load_dwordx4 v[16:19], v[6:7], off offset:1056
	;; [unrolled: 1-line block ×4, first 2 shown]
	v_lshlrev_b64 v[33:34], 3, v[33:34]
	v_add_co_u32_e32 v45, vcc, s6, v33
	v_addc_co_u32_e32 v46, vcc, v24, v34, vcc
	global_load_dwordx4 v[33:36], v[45:46], off offset:16
	global_load_dwordx4 v[37:40], v[45:46], off
	s_waitcnt vmcnt(2)
	v_cvt_f64_f32_e32 v[43:44], v29
	v_cvt_f64_f32_e32 v[29:30], v30
	s_waitcnt vmcnt(0)
	v_fma_f64 v[43:44], v[43:44], v[37:38], v[51:52]
	v_fma_f64 v[29:30], v[29:30], v[39:40], v[43:44]
	v_cvt_f64_f32_e32 v[43:44], v31
	v_cvt_f64_f32_e32 v[31:32], v32
	v_fma_f64 v[29:30], v[43:44], v[33:34], v[29:30]
	v_fma_f64 v[43:44], v[31:32], v[35:36], v[29:30]
	v_cvt_f64_f32_e32 v[29:30], v25
	v_cvt_f64_f32_e32 v[25:26], v26
	;; [unrolled: 4-line block ×7, first 2 shown]
	v_fma_f64 v[12:13], v[16:17], v[33:34], v[12:13]
	v_fma_f64 v[41:42], v[14:15], v[35:36], v[12:13]
	global_load_dword v12, v[49:50], off offset:128
	s_waitcnt vmcnt(0)
	v_subrev_u32_e32 v12, s16, v12
	v_lshlrev_b32_e32 v33, 2, v12
	v_ashrrev_i32_e32 v34, 31, v33
	global_load_dwordx4 v[12:15], v[6:7], off offset:2096
	global_load_dwordx4 v[16:19], v[6:7], off offset:2080
	;; [unrolled: 1-line block ×4, first 2 shown]
	v_lshlrev_b64 v[33:34], 3, v[33:34]
	v_add_co_u32_e32 v53, vcc, s6, v33
	v_addc_co_u32_e32 v54, vcc, v24, v34, vcc
	global_load_dwordx4 v[33:36], v[53:54], off offset:16
	global_load_dwordx4 v[37:40], v[53:54], off
	s_waitcnt vmcnt(2)
	v_cvt_f64_f32_e32 v[51:52], v29
	v_cvt_f64_f32_e32 v[29:30], v30
	s_waitcnt vmcnt(0)
	v_fma_f64 v[43:44], v[51:52], v[37:38], v[43:44]
	v_fma_f64 v[29:30], v[29:30], v[39:40], v[43:44]
	v_cvt_f64_f32_e32 v[43:44], v31
	v_cvt_f64_f32_e32 v[31:32], v32
	v_fma_f64 v[29:30], v[43:44], v[33:34], v[29:30]
	v_fma_f64 v[43:44], v[31:32], v[35:36], v[29:30]
	v_cvt_f64_f32_e32 v[29:30], v25
	v_cvt_f64_f32_e32 v[25:26], v26
	;; [unrolled: 4-line block ×7, first 2 shown]
	v_fma_f64 v[12:13], v[16:17], v[33:34], v[12:13]
	v_fma_f64 v[41:42], v[14:15], v[35:36], v[12:13]
	global_load_dword v12, v[49:50], off offset:192
	s_waitcnt vmcnt(0)
	v_subrev_u32_e32 v12, s16, v12
	v_lshlrev_b32_e32 v33, 2, v12
	v_ashrrev_i32_e32 v34, 31, v33
	global_load_dwordx4 v[25:28], v[6:7], off offset:3120
	global_load_dwordx4 v[29:32], v[6:7], off offset:3104
	;; [unrolled: 1-line block ×4, first 2 shown]
	v_lshlrev_b64 v[33:34], 3, v[33:34]
	v_add_co_u32_e32 v51, vcc, s6, v33
	v_addc_co_u32_e32 v52, vcc, v24, v34, vcc
	global_load_dwordx4 v[33:36], v[51:52], off offset:16
	global_load_dwordx4 v[37:40], v[51:52], off
	v_add_co_u32_e32 v6, vcc, 0x1000, v6
	v_addc_co_u32_e32 v7, vcc, 0, v7, vcc
	v_cmp_ge_i32_e32 vcc, v11, v22
	s_or_b64 s[10:11], vcc, s[10:11]
	s_waitcnt vmcnt(2)
	v_cvt_f64_f32_e32 v[49:50], v16
	v_cvt_f64_f32_e32 v[16:17], v17
	s_waitcnt vmcnt(0)
	v_fma_f64 v[43:44], v[49:50], v[37:38], v[43:44]
	v_fma_f64 v[16:17], v[16:17], v[39:40], v[43:44]
	v_cvt_f64_f32_e32 v[43:44], v18
	v_cvt_f64_f32_e32 v[18:19], v19
	v_fma_f64 v[16:17], v[43:44], v[33:34], v[16:17]
	v_fma_f64 v[17:18], v[18:19], v[35:36], v[16:17]
	v_cvt_f64_f32_e32 v[19:20], v12
	v_cvt_f64_f32_e32 v[12:13], v13
	;; [unrolled: 4-line block ×3, first 2 shown]
	v_fma_f64 v[12:13], v[19:20], v[33:34], v[12:13]
	v_cvt_f64_f32_e32 v[19:20], v30
	v_fma_f64 v[15:16], v[14:15], v[35:36], v[12:13]
	v_cvt_f64_f32_e32 v[12:13], v29
	v_fma_f64 v[12:13], v[12:13], v[37:38], v[47:48]
	v_fma_f64 v[12:13], v[19:20], v[39:40], v[12:13]
	v_cvt_f64_f32_e32 v[19:20], v31
	v_fma_f64 v[12:13], v[19:20], v[33:34], v[12:13]
	v_cvt_f64_f32_e32 v[19:20], v32
	;; [unrolled: 2-line block ×3, first 2 shown]
	v_cvt_f64_f32_e32 v[25:26], v26
	v_fma_f64 v[19:20], v[19:20], v[37:38], v[41:42]
	v_fma_f64 v[19:20], v[25:26], v[39:40], v[19:20]
	v_cvt_f64_f32_e32 v[25:26], v27
	v_fma_f64 v[19:20], v[25:26], v[33:34], v[19:20]
	v_cvt_f64_f32_e32 v[25:26], v28
	v_fma_f64 v[19:20], v[25:26], v[35:36], v[19:20]
	s_andn2_b64 exec, exec, s[10:11]
	s_cbranch_execnz .LBB152_21
; %bb.22:
	s_or_b64 exec, exec, s[10:11]
.LBB152_23:
	s_or_b64 exec, exec, s[2:3]
.LBB152_24:
	s_or_b64 exec, exec, s[8:9]
	s_cbranch_execz .LBB152_26
	s_branch .LBB152_37
.LBB152_25:
                                        ; implicit-def: $vgpr19_vgpr20
                                        ; implicit-def: $vgpr13_vgpr14
                                        ; implicit-def: $vgpr15_vgpr16
                                        ; implicit-def: $vgpr17_vgpr18
.LBB152_26:
	v_mov_b32_e32 v19, 0
	v_mov_b32_e32 v13, 0
	v_mov_b32_e32 v15, 0
	v_mov_b32_e32 v17, 0
	v_mov_b32_e32 v20, 0
	v_mov_b32_e32 v14, 0
	v_mov_b32_e32 v16, 0
	v_mov_b32_e32 v18, 0
	s_and_saveexec_b64 s[2:3], s[0:1]
	s_cbranch_execz .LBB152_36
; %bb.27:
	v_add_u32_e32 v1, v23, v21
	v_subrev_u32_e32 v1, s16, v1
	v_add_u32_e32 v1, 16, v1
	v_max_i32_e32 v1, v1, v22
	v_not_b32_e32 v6, v23
	v_add3_u32 v1, s16, v1, v6
	v_sub_u32_e32 v6, v1, v21
	v_and_b32_e32 v1, 48, v6
	v_mov_b32_e32 v17, 0
	v_mov_b32_e32 v15, 0
	;; [unrolled: 1-line block ×8, first 2 shown]
	v_cmp_ne_u32_e32 vcc, 48, v1
	s_and_saveexec_b64 s[8:9], vcc
	s_cbranch_execz .LBB152_31
; %bb.28:
	v_lshrrev_b32_e32 v1, 4, v6
	v_add_u32_e32 v1, 1, v1
	v_and_b32_e32 v1, 3, v1
	v_mov_b32_e32 v19, 0
	v_mov_b32_e32 v13, 0
	v_mov_b32_e32 v15, 0
	v_mov_b32_e32 v17, 0
	v_sub_u32_e32 v7, 0, v1
	v_mov_b32_e32 v20, 0
	s_mov_b64 s[10:11], 0
	v_mov_b32_e32 v11, s13
	v_mov_b32_e32 v14, 0
	v_mov_b32_e32 v16, 0
	v_mov_b32_e32 v18, 0
	v_mov_b32_e32 v12, s7
.LBB152_29:                             ; =>This Inner Loop Header: Depth=1
	v_ashrrev_i32_e32 v1, 31, v0
	v_lshlrev_b64 v[23:24], 2, v[0:1]
	v_add_co_u32_e64 v7, s[0:1], 1, v7
	v_add_co_u32_e32 v27, vcc, s12, v23
	v_addc_co_u32_e32 v28, vcc, v11, v24, vcc
	global_load_dword v1, v[27:28], off
	global_load_dwordx4 v[23:26], v[4:5], off
	s_or_b64 s[10:11], s[0:1], s[10:11]
	v_add_u32_e32 v0, 16, v0
	s_waitcnt vmcnt(1)
	v_subrev_u32_e32 v1, s16, v1
	v_lshlrev_b32_e32 v27, 2, v1
	v_ashrrev_i32_e32 v28, 31, v27
	v_lshlrev_b64 v[27:28], 3, v[27:28]
	s_waitcnt vmcnt(0)
	v_cvt_f64_f32_e32 v[49:50], v25
	v_add_co_u32_e32 v47, vcc, s6, v27
	v_addc_co_u32_e32 v48, vcc, v12, v28, vcc
	global_load_dwordx4 v[27:30], v[47:48], off
	global_load_dwordx4 v[31:34], v[4:5], off offset:16
	global_load_dwordx4 v[35:38], v[4:5], off offset:32
	;; [unrolled: 1-line block ×4, first 2 shown]
	v_cvt_f64_f32_e32 v[47:48], v23
	v_cvt_f64_f32_e32 v[23:24], v24
	;; [unrolled: 1-line block ×3, first 2 shown]
	v_add_co_u32_e32 v4, vcc, 0x400, v4
	v_addc_co_u32_e32 v5, vcc, 0, v5, vcc
	s_waitcnt vmcnt(4)
	v_fma_f64 v[17:18], v[47:48], v[27:28], v[17:18]
	v_fma_f64 v[15:16], v[23:24], v[27:28], v[15:16]
	;; [unrolled: 1-line block ×4, first 2 shown]
	s_waitcnt vmcnt(3)
	v_cvt_f64_f32_e32 v[23:24], v31
	v_cvt_f64_f32_e32 v[25:26], v32
	;; [unrolled: 1-line block ×4, first 2 shown]
	v_fma_f64 v[17:18], v[23:24], v[29:30], v[17:18]
	v_fma_f64 v[15:16], v[25:26], v[29:30], v[15:16]
	;; [unrolled: 1-line block ×4, first 2 shown]
	s_waitcnt vmcnt(2)
	v_cvt_f64_f32_e32 v[23:24], v35
	v_cvt_f64_f32_e32 v[25:26], v36
	;; [unrolled: 1-line block ×4, first 2 shown]
	s_waitcnt vmcnt(1)
	v_fma_f64 v[17:18], v[23:24], v[39:40], v[17:18]
	v_fma_f64 v[15:16], v[25:26], v[39:40], v[15:16]
	;; [unrolled: 1-line block ×4, first 2 shown]
	s_waitcnt vmcnt(0)
	v_cvt_f64_f32_e32 v[23:24], v43
	v_cvt_f64_f32_e32 v[25:26], v44
	;; [unrolled: 1-line block ×4, first 2 shown]
	v_fma_f64 v[17:18], v[23:24], v[41:42], v[17:18]
	v_fma_f64 v[15:16], v[25:26], v[41:42], v[15:16]
	;; [unrolled: 1-line block ×4, first 2 shown]
	s_andn2_b64 exec, exec, s[10:11]
	s_cbranch_execnz .LBB152_29
; %bb.30:
	s_or_b64 exec, exec, s[10:11]
.LBB152_31:
	s_or_b64 exec, exec, s[8:9]
	v_cmp_lt_u32_e32 vcc, 47, v6
	s_and_saveexec_b64 s[8:9], vcc
	s_cbranch_execz .LBB152_35
; %bb.32:
	s_mov_b64 s[10:11], 0
	v_mov_b32_e32 v11, s13
	v_mov_b32_e32 v12, s7
.LBB152_33:                             ; =>This Inner Loop Header: Depth=1
	global_load_dwordx4 v[23:26], v[4:5], off
	global_load_dwordx4 v[27:30], v[4:5], off offset:16
	v_ashrrev_i32_e32 v1, 31, v0
	v_lshlrev_b64 v[6:7], 2, v[0:1]
	v_add_u32_e32 v0, 64, v0
	v_add_co_u32_e32 v6, vcc, s12, v6
	v_addc_co_u32_e32 v7, vcc, v11, v7, vcc
	global_load_dword v1, v[6:7], off
	v_cmp_ge_i32_e64 s[0:1], v0, v22
	s_or_b64 s[10:11], s[0:1], s[10:11]
	s_waitcnt vmcnt(2)
	v_cvt_f64_f32_e32 v[31:32], v23
	v_cvt_f64_f32_e32 v[33:34], v24
	;; [unrolled: 1-line block ×4, first 2 shown]
	global_load_dwordx4 v[23:26], v[4:5], off offset:32
	s_waitcnt vmcnt(2)
	v_cvt_f64_f32_e32 v[39:40], v27
	v_cvt_f64_f32_e32 v[27:28], v28
	;; [unrolled: 1-line block ×4, first 2 shown]
	s_waitcnt vmcnt(1)
	v_subrev_u32_e32 v1, s16, v1
	s_waitcnt vmcnt(0)
	v_cvt_f64_f32_e32 v[43:44], v23
	v_lshlrev_b32_e32 v23, 2, v1
	v_cvt_f64_f32_e32 v[45:46], v24
	v_ashrrev_i32_e32 v24, 31, v23
	v_lshlrev_b64 v[23:24], 3, v[23:24]
	v_cvt_f64_f32_e32 v[47:48], v25
	v_add_co_u32_e32 v51, vcc, s6, v23
	v_addc_co_u32_e32 v52, vcc, v12, v24, vcc
	v_cvt_f64_f32_e32 v[49:50], v26
	global_load_dwordx4 v[23:26], v[51:52], off
	global_load_dword v1, v[6:7], off offset:64
	s_waitcnt vmcnt(1)
	v_fma_f64 v[15:16], v[33:34], v[23:24], v[15:16]
	v_fma_f64 v[13:14], v[35:36], v[23:24], v[13:14]
	;; [unrolled: 1-line block ×4, first 2 shown]
	s_waitcnt vmcnt(0)
	v_subrev_u32_e32 v1, s16, v1
	v_fma_f64 v[23:24], v[27:28], v[25:26], v[15:16]
	v_fma_f64 v[27:28], v[41:42], v[25:26], v[13:14]
	global_load_dwordx4 v[13:16], v[4:5], off offset:48
	v_fma_f64 v[17:18], v[39:40], v[25:26], v[17:18]
	v_fma_f64 v[19:20], v[29:30], v[25:26], v[19:20]
	s_waitcnt vmcnt(0)
	v_cvt_f64_f32_e32 v[25:26], v13
	v_cvt_f64_f32_e32 v[29:30], v14
	;; [unrolled: 1-line block ×4, first 2 shown]
	global_load_dwordx4 v[13:16], v[4:5], off offset:1024
	s_waitcnt vmcnt(0)
	v_cvt_f64_f32_e32 v[35:36], v13
	v_cvt_f64_f32_e32 v[37:38], v14
	;; [unrolled: 1-line block ×4, first 2 shown]
	global_load_dwordx4 v[13:16], v[51:52], off offset:16
	s_waitcnt vmcnt(0)
	v_fma_f64 v[17:18], v[43:44], v[13:14], v[17:18]
	v_fma_f64 v[23:24], v[45:46], v[13:14], v[23:24]
	;; [unrolled: 1-line block ×6, first 2 shown]
	global_load_dwordx4 v[17:20], v[4:5], off offset:1040
	v_fma_f64 v[27:28], v[31:32], v[15:16], v[27:28]
	v_fma_f64 v[31:32], v[33:34], v[15:16], v[13:14]
	global_load_dwordx4 v[13:16], v[4:5], off offset:1056
	s_waitcnt vmcnt(1)
	v_cvt_f64_f32_e32 v[33:34], v19
	v_cvt_f64_f32_e32 v[43:44], v20
	;; [unrolled: 1-line block ×3, first 2 shown]
	s_waitcnt vmcnt(0)
	v_cvt_f64_f32_e32 v[45:46], v13
	v_lshlrev_b32_e32 v13, 2, v1
	v_cvt_f64_f32_e32 v[47:48], v14
	v_ashrrev_i32_e32 v14, 31, v13
	v_lshlrev_b64 v[13:14], 3, v[13:14]
	v_cvt_f64_f32_e32 v[49:50], v15
	v_add_co_u32_e32 v53, vcc, s6, v13
	v_addc_co_u32_e32 v54, vcc, v12, v14, vcc
	v_cvt_f64_f32_e32 v[51:52], v16
	global_load_dwordx4 v[13:16], v[53:54], off
	v_cvt_f64_f32_e32 v[17:18], v18
	global_load_dword v1, v[6:7], off offset:128
	s_waitcnt vmcnt(1)
	v_fma_f64 v[19:20], v[35:36], v[13:14], v[25:26]
	v_fma_f64 v[23:24], v[37:38], v[13:14], v[23:24]
	;; [unrolled: 1-line block ×4, first 2 shown]
	s_waitcnt vmcnt(0)
	v_subrev_u32_e32 v1, s16, v1
	v_fma_f64 v[27:28], v[29:30], v[15:16], v[19:20]
	v_fma_f64 v[23:24], v[17:18], v[15:16], v[23:24]
	;; [unrolled: 1-line block ×3, first 2 shown]
	global_load_dwordx4 v[17:20], v[4:5], off offset:1072
	v_fma_f64 v[29:30], v[43:44], v[15:16], v[13:14]
	global_load_dwordx4 v[13:16], v[4:5], off offset:2048
	s_waitcnt vmcnt(1)
	v_cvt_f64_f32_e32 v[33:34], v19
	v_cvt_f64_f32_e32 v[35:36], v20
	s_waitcnt vmcnt(0)
	v_cvt_f64_f32_e32 v[37:38], v13
	v_cvt_f64_f32_e32 v[39:40], v14
	v_cvt_f64_f32_e32 v[41:42], v15
	v_cvt_f64_f32_e32 v[43:44], v16
	global_load_dwordx4 v[13:16], v[53:54], off offset:16
	v_cvt_f64_f32_e32 v[31:32], v17
	v_cvt_f64_f32_e32 v[17:18], v18
	s_waitcnt vmcnt(0)
	v_fma_f64 v[19:20], v[45:46], v[13:14], v[27:28]
	v_fma_f64 v[23:24], v[47:48], v[13:14], v[23:24]
	;; [unrolled: 1-line block ×6, first 2 shown]
	global_load_dwordx4 v[17:20], v[4:5], off offset:2064
	v_fma_f64 v[25:26], v[33:34], v[15:16], v[25:26]
	v_fma_f64 v[31:32], v[35:36], v[15:16], v[13:14]
	global_load_dwordx4 v[13:16], v[4:5], off offset:2080
	s_waitcnt vmcnt(1)
	v_cvt_f64_f32_e32 v[33:34], v19
	v_cvt_f64_f32_e32 v[35:36], v20
	;; [unrolled: 1-line block ×3, first 2 shown]
	s_waitcnt vmcnt(0)
	v_cvt_f64_f32_e32 v[45:46], v13
	v_lshlrev_b32_e32 v13, 2, v1
	v_cvt_f64_f32_e32 v[47:48], v14
	v_ashrrev_i32_e32 v14, 31, v13
	v_lshlrev_b64 v[13:14], 3, v[13:14]
	v_cvt_f64_f32_e32 v[49:50], v15
	v_add_co_u32_e32 v53, vcc, s6, v13
	v_addc_co_u32_e32 v54, vcc, v12, v14, vcc
	v_cvt_f64_f32_e32 v[51:52], v16
	global_load_dwordx4 v[13:16], v[53:54], off
	v_cvt_f64_f32_e32 v[17:18], v18
	s_waitcnt vmcnt(0)
	v_fma_f64 v[19:20], v[37:38], v[13:14], v[27:28]
	v_fma_f64 v[23:24], v[39:40], v[13:14], v[23:24]
	;; [unrolled: 1-line block ×7, first 2 shown]
	global_load_dwordx4 v[17:20], v[4:5], off offset:2096
	v_fma_f64 v[29:30], v[35:36], v[15:16], v[13:14]
	global_load_dwordx4 v[13:16], v[4:5], off offset:3072
	s_waitcnt vmcnt(1)
	v_cvt_f64_f32_e32 v[33:34], v19
	v_cvt_f64_f32_e32 v[35:36], v20
	s_waitcnt vmcnt(0)
	v_cvt_f64_f32_e32 v[37:38], v13
	v_cvt_f64_f32_e32 v[39:40], v14
	;; [unrolled: 1-line block ×4, first 2 shown]
	global_load_dwordx4 v[13:16], v[53:54], off offset:16
	v_cvt_f64_f32_e32 v[31:32], v17
	v_cvt_f64_f32_e32 v[17:18], v18
	s_waitcnt vmcnt(0)
	v_fma_f64 v[19:20], v[45:46], v[13:14], v[27:28]
	v_fma_f64 v[23:24], v[47:48], v[13:14], v[23:24]
	;; [unrolled: 1-line block ×6, first 2 shown]
	global_load_dwordx4 v[17:20], v[4:5], off offset:3088
	global_load_dword v1, v[6:7], off offset:192
	v_fma_f64 v[31:32], v[35:36], v[15:16], v[13:14]
	v_fma_f64 v[6:7], v[33:34], v[15:16], v[25:26]
	s_waitcnt vmcnt(1)
	v_cvt_f64_f32_e32 v[29:30], v17
	s_waitcnt vmcnt(0)
	v_subrev_u32_e32 v1, s16, v1
	v_lshlrev_b32_e32 v13, 2, v1
	v_ashrrev_i32_e32 v14, 31, v13
	v_lshlrev_b64 v[13:14], 3, v[13:14]
	v_cvt_f64_f32_e32 v[33:34], v18
	v_add_co_u32_e32 v25, vcc, s6, v13
	v_addc_co_u32_e32 v26, vcc, v12, v14, vcc
	global_load_dwordx4 v[13:16], v[25:26], off
	v_cvt_f64_f32_e32 v[35:36], v19
	v_cvt_f64_f32_e32 v[45:46], v20
	global_load_dwordx4 v[17:20], v[4:5], off offset:3104
	s_waitcnt vmcnt(1)
	v_fma_f64 v[27:28], v[37:38], v[13:14], v[27:28]
	v_fma_f64 v[37:38], v[39:40], v[13:14], v[23:24]
	global_load_dwordx4 v[23:26], v[25:26], off offset:16
	v_fma_f64 v[6:7], v[41:42], v[13:14], v[6:7]
	v_fma_f64 v[13:14], v[43:44], v[13:14], v[31:32]
	;; [unrolled: 1-line block ×3, first 2 shown]
	global_load_dwordx4 v[27:30], v[4:5], off offset:3120
	v_fma_f64 v[33:34], v[33:34], v[15:16], v[37:38]
	v_fma_f64 v[6:7], v[35:36], v[15:16], v[6:7]
	;; [unrolled: 1-line block ×3, first 2 shown]
	s_waitcnt vmcnt(2)
	v_cvt_f64_f32_e32 v[37:38], v17
	v_cvt_f64_f32_e32 v[17:18], v18
	;; [unrolled: 1-line block ×4, first 2 shown]
	v_add_co_u32_e32 v4, vcc, 0x1000, v4
	v_addc_co_u32_e32 v5, vcc, 0, v5, vcc
	s_waitcnt vmcnt(1)
	v_fma_f64 v[31:32], v[37:38], v[23:24], v[31:32]
	v_fma_f64 v[33:34], v[17:18], v[23:24], v[33:34]
	;; [unrolled: 1-line block ×4, first 2 shown]
	s_waitcnt vmcnt(0)
	v_cvt_f64_f32_e32 v[35:36], v27
	v_cvt_f64_f32_e32 v[13:14], v28
	;; [unrolled: 1-line block ×4, first 2 shown]
	v_fma_f64 v[17:18], v[35:36], v[25:26], v[31:32]
	v_fma_f64 v[15:16], v[13:14], v[25:26], v[33:34]
	;; [unrolled: 1-line block ×4, first 2 shown]
	s_andn2_b64 exec, exec, s[10:11]
	s_cbranch_execnz .LBB152_33
; %bb.34:
	s_or_b64 exec, exec, s[10:11]
.LBB152_35:
	s_or_b64 exec, exec, s[8:9]
.LBB152_36:
	s_or_b64 exec, exec, s[2:3]
.LBB152_37:
	v_mov_b32_dpp v0, v17 row_shr:1 row_mask:0xf bank_mask:0xf
	v_mov_b32_dpp v1, v18 row_shr:1 row_mask:0xf bank_mask:0xf
	v_add_f64 v[0:1], v[17:18], v[0:1]
	v_mov_b32_dpp v4, v15 row_shr:1 row_mask:0xf bank_mask:0xf
	v_mov_b32_dpp v5, v16 row_shr:1 row_mask:0xf bank_mask:0xf
	;; [unrolled: 1-line block ×3, first 2 shown]
	v_add_f64 v[4:5], v[15:16], v[4:5]
	v_mov_b32_dpp v7, v14 row_shr:1 row_mask:0xf bank_mask:0xf
	v_add_f64 v[6:7], v[13:14], v[6:7]
	v_cmp_eq_u32_e32 vcc, 15, v21
	v_mov_b32_dpp v11, v0 row_shr:2 row_mask:0xf bank_mask:0xf
	v_mov_b32_dpp v12, v1 row_shr:2 row_mask:0xf bank_mask:0xf
	v_add_f64 v[0:1], v[0:1], v[11:12]
	v_mov_b32_dpp v11, v19 row_shr:1 row_mask:0xf bank_mask:0xf
	v_mov_b32_dpp v12, v20 row_shr:1 row_mask:0xf bank_mask:0xf
	v_add_f64 v[11:12], v[19:20], v[11:12]
	;; [unrolled: 3-line block ×4, first 2 shown]
	v_mov_b32_dpp v15, v0 row_shr:4 row_mask:0xf bank_mask:0xe
	v_mov_b32_dpp v13, v11 row_shr:2 row_mask:0xf bank_mask:0xf
	;; [unrolled: 1-line block ×3, first 2 shown]
	v_add_f64 v[11:12], v[11:12], v[13:14]
	v_mov_b32_dpp v13, v4 row_shr:4 row_mask:0xf bank_mask:0xe
	v_mov_b32_dpp v14, v5 row_shr:4 row_mask:0xf bank_mask:0xe
	v_add_f64 v[4:5], v[4:5], v[13:14]
	v_mov_b32_dpp v13, v6 row_shr:4 row_mask:0xf bank_mask:0xe
	v_mov_b32_dpp v14, v7 row_shr:4 row_mask:0xf bank_mask:0xe
	;; [unrolled: 1-line block ×3, first 2 shown]
	v_add_f64 v[6:7], v[6:7], v[13:14]
	v_mov_b32_dpp v13, v11 row_shr:4 row_mask:0xf bank_mask:0xe
	v_mov_b32_dpp v14, v12 row_shr:4 row_mask:0xf bank_mask:0xe
	v_add_f64 v[0:1], v[0:1], v[15:16]
	v_add_f64 v[11:12], v[11:12], v[13:14]
	v_mov_b32_dpp v17, v4 row_shr:8 row_mask:0xf bank_mask:0xc
	v_mov_b32_dpp v18, v5 row_shr:8 row_mask:0xf bank_mask:0xc
	;; [unrolled: 1-line block ×8, first 2 shown]
	s_and_b64 exec, exec, vcc
	s_cbranch_execz .LBB152_10
; %bb.38:
	v_add_f64 v[0:1], v[0:1], v[19:20]
	v_add_f64 v[17:18], v[4:5], v[17:18]
	;; [unrolled: 1-line block ×4, first 2 shown]
	v_cmp_eq_f64_e32 vcc, 0, v[8:9]
	s_load_dwordx2 s[0:1], s[4:5], 0x50
	v_lshlrev_b32_e32 v10, 2, v10
	v_mul_f64 v[4:5], v[2:3], v[0:1]
	v_mul_f64 v[6:7], v[2:3], v[17:18]
	;; [unrolled: 1-line block ×4, first 2 shown]
	s_and_saveexec_b64 s[2:3], vcc
	s_xor_b64 s[2:3], exec, s[2:3]
	s_cbranch_execz .LBB152_40
; %bb.39:
	v_ashrrev_i32_e32 v11, 31, v10
	v_lshlrev_b64 v[8:9], 3, v[10:11]
	s_waitcnt lgkmcnt(0)
	v_mov_b32_e32 v10, s1
	v_add_co_u32_e32 v8, vcc, s0, v8
	v_addc_co_u32_e32 v9, vcc, v10, v9, vcc
	global_store_dwordx4 v[8:9], v[4:7], off
	global_store_dwordx4 v[8:9], v[0:3], off offset:16
                                        ; implicit-def: $vgpr10
                                        ; implicit-def: $vgpr8_vgpr9
                                        ; implicit-def: $vgpr4_vgpr5
                                        ; implicit-def: $vgpr0_vgpr1
.LBB152_40:
	s_andn2_saveexec_b64 s[2:3], s[2:3]
	s_cbranch_execz .LBB152_10
; %bb.41:
	v_ashrrev_i32_e32 v11, 31, v10
	v_lshlrev_b64 v[10:11], 3, v[10:11]
	s_waitcnt lgkmcnt(0)
	v_mov_b32_e32 v12, s1
	v_add_co_u32_e32 v18, vcc, s0, v10
	v_addc_co_u32_e32 v19, vcc, v12, v11, vcc
	global_load_dwordx4 v[10:13], v[18:19], off
	global_load_dwordx4 v[14:17], v[18:19], off offset:16
	s_waitcnt vmcnt(1)
	v_fma_f64 v[4:5], v[8:9], v[10:11], v[4:5]
	v_fma_f64 v[6:7], v[8:9], v[12:13], v[6:7]
	s_waitcnt vmcnt(0)
	v_fma_f64 v[0:1], v[8:9], v[14:15], v[0:1]
	v_fma_f64 v[2:3], v[8:9], v[16:17], v[2:3]
	global_store_dwordx4 v[18:19], v[4:7], off
	global_store_dwordx4 v[18:19], v[0:3], off offset:16
	s_endpgm
	.section	.rodata,"a",@progbits
	.p2align	6, 0x0
	.amdhsa_kernel _ZN9rocsparseL18bsrxmvn_4x4_kernelILj128ELj16EdiifddEEvT3_20rocsparse_direction_NS_24const_host_device_scalarIT1_EES1_PKS1_PKT2_SA_S7_PKT4_PKT5_S5_PT6_21rocsparse_index_base_b
		.amdhsa_group_segment_fixed_size 0
		.amdhsa_private_segment_fixed_size 0
		.amdhsa_kernarg_size 96
		.amdhsa_user_sgpr_count 6
		.amdhsa_user_sgpr_private_segment_buffer 1
		.amdhsa_user_sgpr_dispatch_ptr 0
		.amdhsa_user_sgpr_queue_ptr 0
		.amdhsa_user_sgpr_kernarg_segment_ptr 1
		.amdhsa_user_sgpr_dispatch_id 0
		.amdhsa_user_sgpr_flat_scratch_init 0
		.amdhsa_user_sgpr_private_segment_size 0
		.amdhsa_uses_dynamic_stack 0
		.amdhsa_system_sgpr_private_segment_wavefront_offset 0
		.amdhsa_system_sgpr_workgroup_id_x 1
		.amdhsa_system_sgpr_workgroup_id_y 0
		.amdhsa_system_sgpr_workgroup_id_z 0
		.amdhsa_system_sgpr_workgroup_info 0
		.amdhsa_system_vgpr_workitem_id 0
		.amdhsa_next_free_vgpr 59
		.amdhsa_next_free_sgpr 18
		.amdhsa_reserve_vcc 1
		.amdhsa_reserve_flat_scratch 0
		.amdhsa_float_round_mode_32 0
		.amdhsa_float_round_mode_16_64 0
		.amdhsa_float_denorm_mode_32 3
		.amdhsa_float_denorm_mode_16_64 3
		.amdhsa_dx10_clamp 1
		.amdhsa_ieee_mode 1
		.amdhsa_fp16_overflow 0
		.amdhsa_exception_fp_ieee_invalid_op 0
		.amdhsa_exception_fp_denorm_src 0
		.amdhsa_exception_fp_ieee_div_zero 0
		.amdhsa_exception_fp_ieee_overflow 0
		.amdhsa_exception_fp_ieee_underflow 0
		.amdhsa_exception_fp_ieee_inexact 0
		.amdhsa_exception_int_div_zero 0
	.end_amdhsa_kernel
	.section	.text._ZN9rocsparseL18bsrxmvn_4x4_kernelILj128ELj16EdiifddEEvT3_20rocsparse_direction_NS_24const_host_device_scalarIT1_EES1_PKS1_PKT2_SA_S7_PKT4_PKT5_S5_PT6_21rocsparse_index_base_b,"axG",@progbits,_ZN9rocsparseL18bsrxmvn_4x4_kernelILj128ELj16EdiifddEEvT3_20rocsparse_direction_NS_24const_host_device_scalarIT1_EES1_PKS1_PKT2_SA_S7_PKT4_PKT5_S5_PT6_21rocsparse_index_base_b,comdat
.Lfunc_end152:
	.size	_ZN9rocsparseL18bsrxmvn_4x4_kernelILj128ELj16EdiifddEEvT3_20rocsparse_direction_NS_24const_host_device_scalarIT1_EES1_PKS1_PKT2_SA_S7_PKT4_PKT5_S5_PT6_21rocsparse_index_base_b, .Lfunc_end152-_ZN9rocsparseL18bsrxmvn_4x4_kernelILj128ELj16EdiifddEEvT3_20rocsparse_direction_NS_24const_host_device_scalarIT1_EES1_PKS1_PKT2_SA_S7_PKT4_PKT5_S5_PT6_21rocsparse_index_base_b
                                        ; -- End function
	.set _ZN9rocsparseL18bsrxmvn_4x4_kernelILj128ELj16EdiifddEEvT3_20rocsparse_direction_NS_24const_host_device_scalarIT1_EES1_PKS1_PKT2_SA_S7_PKT4_PKT5_S5_PT6_21rocsparse_index_base_b.num_vgpr, 59
	.set _ZN9rocsparseL18bsrxmvn_4x4_kernelILj128ELj16EdiifddEEvT3_20rocsparse_direction_NS_24const_host_device_scalarIT1_EES1_PKS1_PKT2_SA_S7_PKT4_PKT5_S5_PT6_21rocsparse_index_base_b.num_agpr, 0
	.set _ZN9rocsparseL18bsrxmvn_4x4_kernelILj128ELj16EdiifddEEvT3_20rocsparse_direction_NS_24const_host_device_scalarIT1_EES1_PKS1_PKT2_SA_S7_PKT4_PKT5_S5_PT6_21rocsparse_index_base_b.numbered_sgpr, 18
	.set _ZN9rocsparseL18bsrxmvn_4x4_kernelILj128ELj16EdiifddEEvT3_20rocsparse_direction_NS_24const_host_device_scalarIT1_EES1_PKS1_PKT2_SA_S7_PKT4_PKT5_S5_PT6_21rocsparse_index_base_b.num_named_barrier, 0
	.set _ZN9rocsparseL18bsrxmvn_4x4_kernelILj128ELj16EdiifddEEvT3_20rocsparse_direction_NS_24const_host_device_scalarIT1_EES1_PKS1_PKT2_SA_S7_PKT4_PKT5_S5_PT6_21rocsparse_index_base_b.private_seg_size, 0
	.set _ZN9rocsparseL18bsrxmvn_4x4_kernelILj128ELj16EdiifddEEvT3_20rocsparse_direction_NS_24const_host_device_scalarIT1_EES1_PKS1_PKT2_SA_S7_PKT4_PKT5_S5_PT6_21rocsparse_index_base_b.uses_vcc, 1
	.set _ZN9rocsparseL18bsrxmvn_4x4_kernelILj128ELj16EdiifddEEvT3_20rocsparse_direction_NS_24const_host_device_scalarIT1_EES1_PKS1_PKT2_SA_S7_PKT4_PKT5_S5_PT6_21rocsparse_index_base_b.uses_flat_scratch, 0
	.set _ZN9rocsparseL18bsrxmvn_4x4_kernelILj128ELj16EdiifddEEvT3_20rocsparse_direction_NS_24const_host_device_scalarIT1_EES1_PKS1_PKT2_SA_S7_PKT4_PKT5_S5_PT6_21rocsparse_index_base_b.has_dyn_sized_stack, 0
	.set _ZN9rocsparseL18bsrxmvn_4x4_kernelILj128ELj16EdiifddEEvT3_20rocsparse_direction_NS_24const_host_device_scalarIT1_EES1_PKS1_PKT2_SA_S7_PKT4_PKT5_S5_PT6_21rocsparse_index_base_b.has_recursion, 0
	.set _ZN9rocsparseL18bsrxmvn_4x4_kernelILj128ELj16EdiifddEEvT3_20rocsparse_direction_NS_24const_host_device_scalarIT1_EES1_PKS1_PKT2_SA_S7_PKT4_PKT5_S5_PT6_21rocsparse_index_base_b.has_indirect_call, 0
	.section	.AMDGPU.csdata,"",@progbits
; Kernel info:
; codeLenInByte = 4752
; TotalNumSgprs: 22
; NumVgprs: 59
; ScratchSize: 0
; MemoryBound: 0
; FloatMode: 240
; IeeeMode: 1
; LDSByteSize: 0 bytes/workgroup (compile time only)
; SGPRBlocks: 2
; VGPRBlocks: 14
; NumSGPRsForWavesPerEU: 22
; NumVGPRsForWavesPerEU: 59
; Occupancy: 4
; WaveLimiterHint : 1
; COMPUTE_PGM_RSRC2:SCRATCH_EN: 0
; COMPUTE_PGM_RSRC2:USER_SGPR: 6
; COMPUTE_PGM_RSRC2:TRAP_HANDLER: 0
; COMPUTE_PGM_RSRC2:TGID_X_EN: 1
; COMPUTE_PGM_RSRC2:TGID_Y_EN: 0
; COMPUTE_PGM_RSRC2:TGID_Z_EN: 0
; COMPUTE_PGM_RSRC2:TIDIG_COMP_CNT: 0
	.section	.text._ZN9rocsparseL18bsrxmvn_4x4_kernelILj128ELj32EdiifddEEvT3_20rocsparse_direction_NS_24const_host_device_scalarIT1_EES1_PKS1_PKT2_SA_S7_PKT4_PKT5_S5_PT6_21rocsparse_index_base_b,"axG",@progbits,_ZN9rocsparseL18bsrxmvn_4x4_kernelILj128ELj32EdiifddEEvT3_20rocsparse_direction_NS_24const_host_device_scalarIT1_EES1_PKS1_PKT2_SA_S7_PKT4_PKT5_S5_PT6_21rocsparse_index_base_b,comdat
	.globl	_ZN9rocsparseL18bsrxmvn_4x4_kernelILj128ELj32EdiifddEEvT3_20rocsparse_direction_NS_24const_host_device_scalarIT1_EES1_PKS1_PKT2_SA_S7_PKT4_PKT5_S5_PT6_21rocsparse_index_base_b ; -- Begin function _ZN9rocsparseL18bsrxmvn_4x4_kernelILj128ELj32EdiifddEEvT3_20rocsparse_direction_NS_24const_host_device_scalarIT1_EES1_PKS1_PKT2_SA_S7_PKT4_PKT5_S5_PT6_21rocsparse_index_base_b
	.p2align	8
	.type	_ZN9rocsparseL18bsrxmvn_4x4_kernelILj128ELj32EdiifddEEvT3_20rocsparse_direction_NS_24const_host_device_scalarIT1_EES1_PKS1_PKT2_SA_S7_PKT4_PKT5_S5_PT6_21rocsparse_index_base_b,@function
_ZN9rocsparseL18bsrxmvn_4x4_kernelILj128ELj32EdiifddEEvT3_20rocsparse_direction_NS_24const_host_device_scalarIT1_EES1_PKS1_PKT2_SA_S7_PKT4_PKT5_S5_PT6_21rocsparse_index_base_b: ; @_ZN9rocsparseL18bsrxmvn_4x4_kernelILj128ELj32EdiifddEEvT3_20rocsparse_direction_NS_24const_host_device_scalarIT1_EES1_PKS1_PKT2_SA_S7_PKT4_PKT5_S5_PT6_21rocsparse_index_base_b
; %bb.0:
	s_load_dwordx2 s[16:17], s[4:5], 0x58
	s_load_dwordx2 s[8:9], s[4:5], 0x8
	;; [unrolled: 1-line block ×3, first 2 shown]
	s_waitcnt lgkmcnt(0)
	s_bitcmp1_b32 s17, 0
	s_cselect_b64 s[10:11], -1, 0
	v_mov_b32_e32 v2, s8
	s_xor_b64 s[2:3], s[10:11], -1
	s_and_b64 vcc, exec, s[10:11]
	v_mov_b32_e32 v3, s9
	s_cbranch_vccnz .LBB153_2
; %bb.1:
	v_mov_b32_e32 v1, s8
	v_mov_b32_e32 v2, s9
	flat_load_dwordx2 v[2:3], v[1:2]
.LBB153_2:
	v_mov_b32_e32 v9, s1
	s_andn2_b64 vcc, exec, s[2:3]
	v_mov_b32_e32 v8, s0
	s_cbranch_vccnz .LBB153_4
; %bb.3:
	v_mov_b32_e32 v5, s1
	v_mov_b32_e32 v4, s0
	flat_load_dwordx2 v[8:9], v[4:5]
.LBB153_4:
	s_waitcnt vmcnt(0) lgkmcnt(0)
	v_cmp_neq_f64_e32 vcc, 0, v[2:3]
	v_cmp_neq_f64_e64 s[0:1], 1.0, v[8:9]
	s_mov_b64 s[2:3], 0
	s_or_b64 s[0:1], vcc, s[0:1]
	s_and_saveexec_b64 s[8:9], s[0:1]
	s_cbranch_execz .LBB153_10
; %bb.5:
	s_load_dwordx2 s[8:9], s[4:5], 0x18
	s_load_dwordx2 s[0:1], s[4:5], 0x0
	v_lshrrev_b32_e32 v1, 5, v0
	v_lshl_or_b32 v10, s6, 2, v1
	s_mov_b64 s[6:7], 0
	s_waitcnt lgkmcnt(0)
	s_cmp_lg_u64 s[8:9], 0
	s_cbranch_scc0 .LBB153_11
; %bb.6:
	s_load_dword s2, s[4:5], 0x10
                                        ; implicit-def: $vgpr1
	s_waitcnt lgkmcnt(0)
	v_cmp_gt_i32_e32 vcc, s2, v10
	s_and_saveexec_b64 s[2:3], vcc
	s_xor_b64 s[2:3], exec, s[2:3]
	s_cbranch_execz .LBB153_8
; %bb.7:
	v_ashrrev_i32_e32 v11, 31, v10
	v_lshlrev_b64 v[4:5], 2, v[10:11]
	v_mov_b32_e32 v1, s9
	v_add_co_u32_e32 v4, vcc, s8, v4
	v_addc_co_u32_e32 v5, vcc, v1, v5, vcc
	global_load_dword v1, v[4:5], off
	s_mov_b64 s[6:7], exec
	s_waitcnt vmcnt(0)
	v_subrev_u32_e32 v1, s16, v1
.LBB153_8:
	s_or_b64 exec, exec, s[2:3]
	s_mov_b64 s[2:3], s[6:7]
	s_branch .LBB153_12
.LBB153_9:
	v_cmp_gt_i32_e32 vcc, s0, v10
	s_andn2_b64 s[2:3], s[2:3], exec
	s_and_b64 s[6:7], vcc, exec
	s_or_b64 s[2:3], s[2:3], s[6:7]
	s_and_b64 exec, exec, s[2:3]
	s_cbranch_execnz .LBB153_13
.LBB153_10:
	s_endpgm
.LBB153_11:
                                        ; implicit-def: $vgpr1
	s_cbranch_execnz .LBB153_9
.LBB153_12:
	v_mov_b32_e32 v10, v1
	s_and_b64 exec, exec, s[2:3]
	s_cbranch_execz .LBB153_10
.LBB153_13:
	s_load_dwordx8 s[8:15], s[4:5], 0x20
	v_ashrrev_i32_e32 v11, 31, v10
	v_lshlrev_b64 v[4:5], 2, v[10:11]
	v_and_b32_e32 v21, 31, v0
	s_load_dwordx2 s[6:7], s[4:5], 0x40
	s_waitcnt lgkmcnt(0)
	v_mov_b32_e32 v1, s9
	v_add_co_u32_e32 v6, vcc, s8, v4
	v_addc_co_u32_e32 v7, vcc, v1, v5, vcc
	v_add_co_u32_e32 v1, vcc, 4, v6
	global_load_dword v23, v[6:7], off
	v_addc_co_u32_e32 v6, vcc, 0, v7, vcc
	v_mov_b32_e32 v7, s11
	v_add_co_u32_e32 v4, vcc, s10, v4
	s_cmp_eq_u64 s[10:11], 0
	v_addc_co_u32_e32 v5, vcc, v7, v5, vcc
	s_cselect_b64 vcc, -1, 0
	v_cndmask_b32_e32 v5, v5, v6, vcc
	v_cndmask_b32_e32 v4, v4, v1, vcc
	global_load_dword v1, v[4:5], off
	v_mov_b32_e32 v6, s15
	s_cmp_eq_u32 s1, 1
	s_waitcnt vmcnt(1)
	v_subrev_u32_e32 v0, s16, v23
	v_add_u32_e32 v0, v0, v21
	s_waitcnt vmcnt(0)
	v_subrev_u32_e32 v22, s16, v1
	v_ashrrev_i32_e32 v1, 31, v0
	v_lshlrev_b64 v[4:5], 6, v[0:1]
	v_cmp_lt_i32_e64 s[0:1], v0, v22
	v_add_co_u32_e32 v4, vcc, s14, v4
	v_addc_co_u32_e32 v5, vcc, v6, v5, vcc
	s_cbranch_scc1 .LBB153_25
; %bb.14:
	v_mov_b32_e32 v17, 0
	v_mov_b32_e32 v13, 0
	;; [unrolled: 1-line block ×8, first 2 shown]
	s_and_saveexec_b64 s[8:9], s[0:1]
	s_cbranch_execz .LBB153_24
; %bb.15:
	v_add_u32_e32 v1, v23, v21
	v_subrev_u32_e32 v1, s16, v1
	v_add_u32_e32 v1, 32, v1
	v_max_i32_e32 v1, v1, v22
	v_not_b32_e32 v6, v23
	v_add3_u32 v1, s16, v1, v6
	v_sub_u32_e32 v1, v1, v21
	s_movk_i32 s2, 0x60
	v_and_b32_e32 v6, 0x60, v1
	v_cmp_ne_u32_e32 vcc, s2, v6
	v_mov_b32_e32 v19, 0
	v_mov_b32_e32 v15, 0
	;; [unrolled: 1-line block ×11, first 2 shown]
	s_and_saveexec_b64 s[10:11], vcc
	s_cbranch_execz .LBB153_19
; %bb.16:
	v_lshrrev_b32_e32 v6, 5, v1
	v_add_u32_e32 v6, 1, v6
	v_and_b32_e32 v6, 3, v6
	v_sub_u32_e32 v24, 0, v6
	v_mov_b32_e32 v17, 0
	v_mov_b32_e32 v7, v5
	;; [unrolled: 1-line block ×6, first 2 shown]
	s_mov_b64 s[14:15], 0
	v_mov_b32_e32 v25, s13
	v_mov_b32_e32 v26, s7
	;; [unrolled: 1-line block ×7, first 2 shown]
.LBB153_17:                             ; =>This Inner Loop Header: Depth=1
	v_ashrrev_i32_e32 v12, 31, v11
	v_lshlrev_b64 v[27:28], 2, v[11:12]
	v_add_co_u32_e64 v24, s[2:3], 1, v24
	v_add_co_u32_e32 v43, vcc, s12, v27
	v_addc_co_u32_e32 v44, vcc, v25, v28, vcc
	global_load_dword v12, v[43:44], off
	global_load_dwordx4 v[27:30], v[6:7], off
	global_load_dwordx4 v[31:34], v[6:7], off offset:16
	global_load_dwordx4 v[35:38], v[6:7], off offset:32
	;; [unrolled: 1-line block ×3, first 2 shown]
	s_or_b64 s[14:15], s[2:3], s[14:15]
	v_add_u32_e32 v11, 32, v11
	s_waitcnt vmcnt(4)
	v_subrev_u32_e32 v12, s16, v12
	v_lshlrev_b32_e32 v43, 2, v12
	v_ashrrev_i32_e32 v44, 31, v43
	v_lshlrev_b64 v[43:44], 3, v[43:44]
	s_waitcnt vmcnt(2)
	v_cvt_f64_f32_e32 v[53:54], v31
	v_add_co_u32_e32 v51, vcc, s6, v43
	v_addc_co_u32_e32 v52, vcc, v26, v44, vcc
	global_load_dwordx4 v[43:46], v[51:52], off
	global_load_dwordx4 v[47:50], v[51:52], off offset:16
	v_cvt_f64_f32_e32 v[51:52], v27
	s_waitcnt vmcnt(3)
	v_cvt_f64_f32_e32 v[55:56], v35
	s_waitcnt vmcnt(2)
	v_cvt_f64_f32_e32 v[57:58], v39
	v_cvt_f64_f32_e32 v[27:28], v28
	;; [unrolled: 1-line block ×5, first 2 shown]
	v_add_co_u32_e32 v6, vcc, 0x800, v6
	v_addc_co_u32_e32 v7, vcc, 0, v7, vcc
	s_waitcnt vmcnt(1)
	v_fma_f64 v[19:20], v[51:52], v[43:44], v[19:20]
	v_fma_f64 v[15:16], v[53:54], v[43:44], v[15:16]
	;; [unrolled: 1-line block ×8, first 2 shown]
	v_cvt_f64_f32_e32 v[27:28], v29
	v_cvt_f64_f32_e32 v[31:32], v33
	;; [unrolled: 1-line block ×4, first 2 shown]
	s_waitcnt vmcnt(0)
	v_fma_f64 v[18:19], v[27:28], v[47:48], v[19:20]
	v_fma_f64 v[14:15], v[31:32], v[47:48], v[14:15]
	;; [unrolled: 1-line block ×4, first 2 shown]
	v_cvt_f64_f32_e32 v[16:17], v30
	v_cvt_f64_f32_e32 v[29:30], v34
	;; [unrolled: 1-line block ×4, first 2 shown]
	v_fma_f64 v[19:20], v[16:17], v[49:50], v[18:19]
	v_fma_f64 v[15:16], v[29:30], v[49:50], v[14:15]
	;; [unrolled: 1-line block ×4, first 2 shown]
	s_andn2_b64 exec, exec, s[14:15]
	s_cbranch_execnz .LBB153_17
; %bb.18:
	s_or_b64 exec, exec, s[14:15]
.LBB153_19:
	s_or_b64 exec, exec, s[10:11]
	s_movk_i32 s2, 0x5f
	v_cmp_lt_u32_e32 vcc, s2, v1
	s_and_saveexec_b64 s[10:11], vcc
	s_cbranch_execz .LBB153_23
; %bb.20:
	s_mov_b64 s[14:15], 0
	v_mov_b32_e32 v1, s13
	v_mov_b32_e32 v24, s7
	s_movk_i32 s17, 0x1000
.LBB153_21:                             ; =>This Inner Loop Header: Depth=1
	v_ashrrev_i32_e32 v12, 31, v11
	v_lshlrev_b64 v[25:26], 2, v[11:12]
	v_add_u32_e32 v11, 0x80, v11
	v_add_co_u32_e32 v49, vcc, s12, v25
	v_addc_co_u32_e32 v50, vcc, v1, v26, vcc
	global_load_dword v12, v[49:50], off
	global_load_dwordx4 v[25:28], v[6:7], off offset:48
	global_load_dwordx4 v[29:32], v[6:7], off offset:32
	;; [unrolled: 1-line block ×3, first 2 shown]
	global_load_dwordx4 v[37:40], v[6:7], off
	v_cmp_ge_i32_e64 s[2:3], v11, v22
	s_or_b64 s[14:15], s[2:3], s[14:15]
	s_waitcnt vmcnt(4)
	v_subrev_u32_e32 v12, s16, v12
	v_lshlrev_b32_e32 v41, 2, v12
	v_ashrrev_i32_e32 v42, 31, v41
	v_lshlrev_b64 v[41:42], 3, v[41:42]
	s_waitcnt vmcnt(0)
	v_cvt_f64_f32_e32 v[51:52], v37
	v_add_co_u32_e32 v53, vcc, s6, v41
	v_addc_co_u32_e32 v54, vcc, v24, v42, vcc
	global_load_dwordx4 v[41:44], v[53:54], off offset:16
	global_load_dwordx4 v[45:48], v[53:54], off
	v_cvt_f64_f32_e32 v[37:38], v38
	s_waitcnt vmcnt(0)
	v_fma_f64 v[19:20], v[51:52], v[45:46], v[19:20]
	v_fma_f64 v[19:20], v[37:38], v[47:48], v[19:20]
	v_cvt_f64_f32_e32 v[37:38], v39
	v_fma_f64 v[19:20], v[37:38], v[41:42], v[19:20]
	v_cvt_f64_f32_e32 v[37:38], v40
	;; [unrolled: 2-line block ×11, first 2 shown]
	v_cvt_f64_f32_e32 v[14:15], v26
	v_fma_f64 v[12:13], v[12:13], v[45:46], v[17:18]
	v_fma_f64 v[12:13], v[14:15], v[47:48], v[12:13]
	v_cvt_f64_f32_e32 v[14:15], v27
	v_fma_f64 v[12:13], v[14:15], v[41:42], v[12:13]
	v_cvt_f64_f32_e32 v[14:15], v28
	v_fma_f64 v[41:42], v[14:15], v[43:44], v[12:13]
	global_load_dword v12, v[49:50], off offset:128
	s_waitcnt vmcnt(0)
	v_subrev_u32_e32 v12, s16, v12
	v_lshlrev_b32_e32 v33, 2, v12
	v_ashrrev_i32_e32 v34, 31, v33
	global_load_dwordx4 v[12:15], v[6:7], off offset:2096
	global_load_dwordx4 v[16:19], v[6:7], off offset:2080
	;; [unrolled: 1-line block ×4, first 2 shown]
	v_lshlrev_b64 v[33:34], 3, v[33:34]
	v_add_co_u32_e32 v45, vcc, s6, v33
	v_addc_co_u32_e32 v46, vcc, v24, v34, vcc
	global_load_dwordx4 v[33:36], v[45:46], off offset:16
	global_load_dwordx4 v[37:40], v[45:46], off
	s_waitcnt vmcnt(2)
	v_cvt_f64_f32_e32 v[43:44], v29
	v_cvt_f64_f32_e32 v[29:30], v30
	s_waitcnt vmcnt(0)
	v_fma_f64 v[43:44], v[43:44], v[37:38], v[51:52]
	v_add_co_u32_e32 v51, vcc, s17, v6
	v_addc_co_u32_e32 v52, vcc, 0, v7, vcc
	v_fma_f64 v[29:30], v[29:30], v[39:40], v[43:44]
	v_cvt_f64_f32_e32 v[43:44], v31
	v_cvt_f64_f32_e32 v[31:32], v32
	v_fma_f64 v[29:30], v[43:44], v[33:34], v[29:30]
	v_fma_f64 v[43:44], v[31:32], v[35:36], v[29:30]
	v_cvt_f64_f32_e32 v[29:30], v25
	v_cvt_f64_f32_e32 v[25:26], v26
	v_fma_f64 v[29:30], v[29:30], v[37:38], v[53:54]
	;; [unrolled: 4-line block ×7, first 2 shown]
	v_fma_f64 v[41:42], v[14:15], v[35:36], v[12:13]
	global_load_dword v12, v[49:50], off offset:256
	s_waitcnt vmcnt(0)
	v_subrev_u32_e32 v12, s16, v12
	v_lshlrev_b32_e32 v33, 2, v12
	v_ashrrev_i32_e32 v34, 31, v33
	v_lshlrev_b64 v[33:34], 3, v[33:34]
	global_load_dwordx4 v[12:15], v[51:52], off
	global_load_dwordx4 v[16:19], v[51:52], off offset:48
	global_load_dwordx4 v[25:28], v[51:52], off offset:32
	global_load_dwordx4 v[29:32], v[51:52], off offset:16
	v_add_co_u32_e32 v55, vcc, s6, v33
	v_addc_co_u32_e32 v56, vcc, v24, v34, vcc
	global_load_dwordx4 v[33:36], v[55:56], off offset:16
	global_load_dwordx4 v[37:40], v[55:56], off
	s_waitcnt vmcnt(5)
	v_cvt_f64_f32_e32 v[53:54], v12
	v_cvt_f64_f32_e32 v[12:13], v13
	s_waitcnt vmcnt(0)
	v_fma_f64 v[43:44], v[53:54], v[37:38], v[43:44]
	v_fma_f64 v[12:13], v[12:13], v[39:40], v[43:44]
	v_cvt_f64_f32_e32 v[43:44], v14
	v_cvt_f64_f32_e32 v[14:15], v15
	v_fma_f64 v[12:13], v[43:44], v[33:34], v[12:13]
	v_fma_f64 v[43:44], v[14:15], v[35:36], v[12:13]
	v_cvt_f64_f32_e32 v[12:13], v29
	v_cvt_f64_f32_e32 v[14:15], v30
	v_fma_f64 v[12:13], v[12:13], v[37:38], v[45:46]
	v_fma_f64 v[12:13], v[14:15], v[39:40], v[12:13]
	v_cvt_f64_f32_e32 v[14:15], v31
	v_fma_f64 v[12:13], v[14:15], v[33:34], v[12:13]
	v_cvt_f64_f32_e32 v[14:15], v32
	v_fma_f64 v[45:46], v[14:15], v[35:36], v[12:13]
	v_cvt_f64_f32_e32 v[12:13], v25
	v_cvt_f64_f32_e32 v[14:15], v26
	v_fma_f64 v[12:13], v[12:13], v[37:38], v[47:48]
	v_fma_f64 v[12:13], v[14:15], v[39:40], v[12:13]
	v_cvt_f64_f32_e32 v[14:15], v27
	v_fma_f64 v[12:13], v[14:15], v[33:34], v[12:13]
	v_cvt_f64_f32_e32 v[14:15], v28
	;; [unrolled: 8-line block ×3, first 2 shown]
	v_fma_f64 v[41:42], v[14:15], v[35:36], v[12:13]
	global_load_dword v12, v[49:50], off offset:384
	s_waitcnt vmcnt(0)
	v_subrev_u32_e32 v12, s16, v12
	v_lshlrev_b32_e32 v33, 2, v12
	v_ashrrev_i32_e32 v34, 31, v33
	global_load_dwordx4 v[25:28], v[51:52], off offset:2096
	global_load_dwordx4 v[29:32], v[51:52], off offset:2080
	;; [unrolled: 1-line block ×4, first 2 shown]
	v_lshlrev_b64 v[33:34], 3, v[33:34]
	v_add_co_u32_e32 v51, vcc, s6, v33
	v_addc_co_u32_e32 v52, vcc, v24, v34, vcc
	global_load_dwordx4 v[33:36], v[51:52], off offset:16
	global_load_dwordx4 v[37:40], v[51:52], off
	v_add_co_u32_e32 v6, vcc, 0x2000, v6
	v_addc_co_u32_e32 v7, vcc, 0, v7, vcc
	s_waitcnt vmcnt(2)
	v_cvt_f64_f32_e32 v[49:50], v16
	v_cvt_f64_f32_e32 v[16:17], v17
	s_waitcnt vmcnt(0)
	v_fma_f64 v[43:44], v[49:50], v[37:38], v[43:44]
	v_fma_f64 v[16:17], v[16:17], v[39:40], v[43:44]
	v_cvt_f64_f32_e32 v[43:44], v18
	v_cvt_f64_f32_e32 v[18:19], v19
	v_fma_f64 v[16:17], v[43:44], v[33:34], v[16:17]
	v_fma_f64 v[19:20], v[18:19], v[35:36], v[16:17]
	v_cvt_f64_f32_e32 v[16:17], v12
	v_cvt_f64_f32_e32 v[12:13], v13
	;; [unrolled: 4-line block ×3, first 2 shown]
	v_fma_f64 v[12:13], v[16:17], v[33:34], v[12:13]
	v_cvt_f64_f32_e32 v[17:18], v30
	v_fma_f64 v[15:16], v[14:15], v[35:36], v[12:13]
	v_cvt_f64_f32_e32 v[12:13], v29
	v_fma_f64 v[12:13], v[12:13], v[37:38], v[47:48]
	v_fma_f64 v[12:13], v[17:18], v[39:40], v[12:13]
	v_cvt_f64_f32_e32 v[17:18], v31
	v_fma_f64 v[12:13], v[17:18], v[33:34], v[12:13]
	v_cvt_f64_f32_e32 v[17:18], v32
	v_fma_f64 v[13:14], v[17:18], v[35:36], v[12:13]
	v_cvt_f64_f32_e32 v[17:18], v25
	v_cvt_f64_f32_e32 v[25:26], v26
	v_fma_f64 v[17:18], v[17:18], v[37:38], v[41:42]
	v_fma_f64 v[17:18], v[25:26], v[39:40], v[17:18]
	v_cvt_f64_f32_e32 v[25:26], v27
	v_fma_f64 v[17:18], v[25:26], v[33:34], v[17:18]
	v_cvt_f64_f32_e32 v[25:26], v28
	v_fma_f64 v[17:18], v[25:26], v[35:36], v[17:18]
	s_andn2_b64 exec, exec, s[14:15]
	s_cbranch_execnz .LBB153_21
; %bb.22:
	s_or_b64 exec, exec, s[14:15]
.LBB153_23:
	s_or_b64 exec, exec, s[10:11]
.LBB153_24:
	s_or_b64 exec, exec, s[8:9]
	s_cbranch_execz .LBB153_26
	s_branch .LBB153_37
.LBB153_25:
                                        ; implicit-def: $vgpr17_vgpr18
                                        ; implicit-def: $vgpr13_vgpr14
                                        ; implicit-def: $vgpr15_vgpr16
                                        ; implicit-def: $vgpr19_vgpr20
.LBB153_26:
	v_mov_b32_e32 v17, 0
	v_mov_b32_e32 v13, 0
	;; [unrolled: 1-line block ×8, first 2 shown]
	s_and_saveexec_b64 s[2:3], s[0:1]
	s_cbranch_execz .LBB153_36
; %bb.27:
	v_add_u32_e32 v1, v23, v21
	v_subrev_u32_e32 v1, s16, v1
	v_add_u32_e32 v1, 32, v1
	v_max_i32_e32 v1, v1, v22
	v_not_b32_e32 v6, v23
	v_add3_u32 v1, s16, v1, v6
	v_sub_u32_e32 v6, v1, v21
	s_movk_i32 s0, 0x60
	v_and_b32_e32 v1, 0x60, v6
	v_mov_b32_e32 v19, 0
	v_mov_b32_e32 v15, 0
	;; [unrolled: 1-line block ×8, first 2 shown]
	v_cmp_ne_u32_e32 vcc, s0, v1
	s_and_saveexec_b64 s[8:9], vcc
	s_cbranch_execz .LBB153_31
; %bb.28:
	v_lshrrev_b32_e32 v1, 5, v6
	v_add_u32_e32 v1, 1, v1
	v_and_b32_e32 v1, 3, v1
	v_mov_b32_e32 v17, 0
	v_mov_b32_e32 v13, 0
	;; [unrolled: 1-line block ×4, first 2 shown]
	v_sub_u32_e32 v7, 0, v1
	v_mov_b32_e32 v18, 0
	s_mov_b64 s[10:11], 0
	v_mov_b32_e32 v11, s13
	v_mov_b32_e32 v14, 0
	;; [unrolled: 1-line block ×5, first 2 shown]
.LBB153_29:                             ; =>This Inner Loop Header: Depth=1
	v_ashrrev_i32_e32 v1, 31, v0
	v_lshlrev_b64 v[23:24], 2, v[0:1]
	v_add_co_u32_e64 v7, s[0:1], 1, v7
	v_add_co_u32_e32 v27, vcc, s12, v23
	v_addc_co_u32_e32 v28, vcc, v11, v24, vcc
	global_load_dword v1, v[27:28], off
	global_load_dwordx4 v[23:26], v[4:5], off
	s_or_b64 s[10:11], s[0:1], s[10:11]
	v_add_u32_e32 v0, 32, v0
	s_waitcnt vmcnt(1)
	v_subrev_u32_e32 v1, s16, v1
	v_lshlrev_b32_e32 v27, 2, v1
	v_ashrrev_i32_e32 v28, 31, v27
	v_lshlrev_b64 v[27:28], 3, v[27:28]
	s_waitcnt vmcnt(0)
	v_cvt_f64_f32_e32 v[49:50], v25
	v_add_co_u32_e32 v47, vcc, s6, v27
	v_addc_co_u32_e32 v48, vcc, v12, v28, vcc
	global_load_dwordx4 v[27:30], v[47:48], off
	global_load_dwordx4 v[31:34], v[4:5], off offset:16
	global_load_dwordx4 v[35:38], v[4:5], off offset:32
	global_load_dwordx4 v[39:42], v[47:48], off offset:16
	global_load_dwordx4 v[43:46], v[4:5], off offset:48
	v_cvt_f64_f32_e32 v[47:48], v23
	v_cvt_f64_f32_e32 v[23:24], v24
	;; [unrolled: 1-line block ×3, first 2 shown]
	v_add_co_u32_e32 v4, vcc, 0x800, v4
	v_addc_co_u32_e32 v5, vcc, 0, v5, vcc
	s_waitcnt vmcnt(4)
	v_fma_f64 v[19:20], v[47:48], v[27:28], v[19:20]
	v_fma_f64 v[15:16], v[23:24], v[27:28], v[15:16]
	;; [unrolled: 1-line block ×4, first 2 shown]
	s_waitcnt vmcnt(3)
	v_cvt_f64_f32_e32 v[23:24], v31
	v_cvt_f64_f32_e32 v[25:26], v32
	v_cvt_f64_f32_e32 v[27:28], v33
	v_cvt_f64_f32_e32 v[31:32], v34
	v_fma_f64 v[19:20], v[23:24], v[29:30], v[19:20]
	v_fma_f64 v[15:16], v[25:26], v[29:30], v[15:16]
	;; [unrolled: 1-line block ×4, first 2 shown]
	s_waitcnt vmcnt(2)
	v_cvt_f64_f32_e32 v[23:24], v35
	v_cvt_f64_f32_e32 v[25:26], v36
	;; [unrolled: 1-line block ×4, first 2 shown]
	s_waitcnt vmcnt(1)
	v_fma_f64 v[19:20], v[23:24], v[39:40], v[19:20]
	v_fma_f64 v[15:16], v[25:26], v[39:40], v[15:16]
	v_fma_f64 v[13:14], v[27:28], v[39:40], v[13:14]
	v_fma_f64 v[17:18], v[29:30], v[39:40], v[17:18]
	s_waitcnt vmcnt(0)
	v_cvt_f64_f32_e32 v[23:24], v43
	v_cvt_f64_f32_e32 v[25:26], v44
	;; [unrolled: 1-line block ×4, first 2 shown]
	v_fma_f64 v[19:20], v[23:24], v[41:42], v[19:20]
	v_fma_f64 v[15:16], v[25:26], v[41:42], v[15:16]
	;; [unrolled: 1-line block ×4, first 2 shown]
	s_andn2_b64 exec, exec, s[10:11]
	s_cbranch_execnz .LBB153_29
; %bb.30:
	s_or_b64 exec, exec, s[10:11]
.LBB153_31:
	s_or_b64 exec, exec, s[8:9]
	s_movk_i32 s0, 0x5f
	v_cmp_lt_u32_e32 vcc, s0, v6
	s_and_saveexec_b64 s[8:9], vcc
	s_cbranch_execz .LBB153_35
; %bb.32:
	s_mov_b64 s[10:11], 0
	v_mov_b32_e32 v23, s13
	v_mov_b32_e32 v24, s7
	s_movk_i32 s7, 0x1000
.LBB153_33:                             ; =>This Inner Loop Header: Depth=1
	global_load_dwordx4 v[25:28], v[4:5], off
	global_load_dwordx4 v[29:32], v[4:5], off offset:16
	v_ashrrev_i32_e32 v1, 31, v0
	v_lshlrev_b64 v[6:7], 2, v[0:1]
	v_add_u32_e32 v0, 0x80, v0
	v_add_co_u32_e32 v6, vcc, s12, v6
	v_addc_co_u32_e32 v7, vcc, v23, v7, vcc
	global_load_dword v1, v[6:7], off
	v_cmp_ge_i32_e64 s[0:1], v0, v22
	s_or_b64 s[10:11], s[0:1], s[10:11]
	s_waitcnt vmcnt(2)
	v_cvt_f64_f32_e32 v[11:12], v25
	v_cvt_f64_f32_e32 v[33:34], v26
	;; [unrolled: 1-line block ×4, first 2 shown]
	global_load_dwordx4 v[25:28], v[4:5], off offset:32
	s_waitcnt vmcnt(2)
	v_cvt_f64_f32_e32 v[39:40], v29
	v_cvt_f64_f32_e32 v[41:42], v31
	;; [unrolled: 1-line block ×4, first 2 shown]
	s_waitcnt vmcnt(1)
	v_subrev_u32_e32 v1, s16, v1
	s_waitcnt vmcnt(0)
	v_cvt_f64_f32_e32 v[43:44], v25
	v_lshlrev_b32_e32 v25, 2, v1
	v_cvt_f64_f32_e32 v[45:46], v26
	v_ashrrev_i32_e32 v26, 31, v25
	v_lshlrev_b64 v[25:26], 3, v[25:26]
	v_cvt_f64_f32_e32 v[47:48], v27
	v_add_co_u32_e32 v51, vcc, s6, v25
	v_addc_co_u32_e32 v52, vcc, v24, v26, vcc
	v_cvt_f64_f32_e32 v[49:50], v28
	global_load_dwordx4 v[25:28], v[51:52], off
	global_load_dword v1, v[6:7], off offset:128
	s_waitcnt vmcnt(1)
	v_fma_f64 v[11:12], v[11:12], v[25:26], v[19:20]
	v_fma_f64 v[13:14], v[35:36], v[25:26], v[13:14]
	;; [unrolled: 1-line block ×4, first 2 shown]
	s_waitcnt vmcnt(0)
	v_subrev_u32_e32 v1, s16, v1
	v_fma_f64 v[19:20], v[39:40], v[27:28], v[11:12]
	v_fma_f64 v[25:26], v[41:42], v[27:28], v[13:14]
	global_load_dwordx4 v[11:14], v[4:5], off offset:48
	v_fma_f64 v[15:16], v[29:30], v[27:28], v[15:16]
	v_fma_f64 v[17:18], v[31:32], v[27:28], v[17:18]
	s_waitcnt vmcnt(0)
	v_cvt_f64_f32_e32 v[27:28], v11
	v_cvt_f64_f32_e32 v[29:30], v12
	;; [unrolled: 1-line block ×4, first 2 shown]
	global_load_dwordx4 v[11:14], v[4:5], off offset:2048
	s_waitcnt vmcnt(0)
	v_cvt_f64_f32_e32 v[35:36], v11
	v_cvt_f64_f32_e32 v[37:38], v12
	;; [unrolled: 1-line block ×4, first 2 shown]
	global_load_dwordx4 v[11:14], v[51:52], off offset:16
	s_waitcnt vmcnt(0)
	v_fma_f64 v[19:20], v[43:44], v[11:12], v[19:20]
	v_fma_f64 v[15:16], v[45:46], v[11:12], v[15:16]
	;; [unrolled: 1-line block ×6, first 2 shown]
	global_load_dwordx4 v[15:18], v[4:5], off offset:2064
	v_fma_f64 v[25:26], v[31:32], v[13:14], v[25:26]
	v_fma_f64 v[31:32], v[33:34], v[13:14], v[11:12]
	global_load_dwordx4 v[11:14], v[4:5], off offset:2080
	s_waitcnt vmcnt(1)
	v_cvt_f64_f32_e32 v[33:34], v17
	v_cvt_f64_f32_e32 v[43:44], v18
	;; [unrolled: 1-line block ×3, first 2 shown]
	s_waitcnt vmcnt(0)
	v_cvt_f64_f32_e32 v[45:46], v11
	v_lshlrev_b32_e32 v11, 2, v1
	v_cvt_f64_f32_e32 v[47:48], v12
	v_ashrrev_i32_e32 v12, 31, v11
	v_lshlrev_b64 v[11:12], 3, v[11:12]
	v_cvt_f64_f32_e32 v[49:50], v13
	v_add_co_u32_e32 v53, vcc, s6, v11
	v_addc_co_u32_e32 v54, vcc, v24, v12, vcc
	v_cvt_f64_f32_e32 v[51:52], v14
	global_load_dwordx4 v[11:14], v[53:54], off
	v_cvt_f64_f32_e32 v[15:16], v16
	global_load_dword v1, v[6:7], off offset:256
	s_waitcnt vmcnt(1)
	v_fma_f64 v[17:18], v[35:36], v[11:12], v[19:20]
	v_fma_f64 v[19:20], v[37:38], v[11:12], v[27:28]
	;; [unrolled: 1-line block ×4, first 2 shown]
	s_waitcnt vmcnt(0)
	v_subrev_u32_e32 v1, s16, v1
	v_fma_f64 v[27:28], v[29:30], v[13:14], v[17:18]
	v_fma_f64 v[19:20], v[15:16], v[13:14], v[19:20]
	global_load_dwordx4 v[15:18], v[4:5], off offset:2096
	v_fma_f64 v[29:30], v[43:44], v[13:14], v[11:12]
	v_add_co_u32_e32 v11, vcc, s7, v4
	v_addc_co_u32_e32 v12, vcc, 0, v5, vcc
	v_fma_f64 v[25:26], v[33:34], v[13:14], v[25:26]
	s_waitcnt vmcnt(0)
	v_cvt_f64_f32_e32 v[31:32], v15
	v_cvt_f64_f32_e32 v[33:34], v16
	global_load_dwordx4 v[13:16], v[11:12], off
	v_cvt_f64_f32_e32 v[35:36], v17
	v_cvt_f64_f32_e32 v[37:38], v18
	s_waitcnt vmcnt(0)
	v_cvt_f64_f32_e32 v[39:40], v13
	v_cvt_f64_f32_e32 v[41:42], v14
	;; [unrolled: 1-line block ×4, first 2 shown]
	global_load_dwordx4 v[13:16], v[53:54], off offset:16
	s_waitcnt vmcnt(0)
	v_fma_f64 v[17:18], v[45:46], v[13:14], v[27:28]
	v_fma_f64 v[19:20], v[47:48], v[13:14], v[19:20]
	;; [unrolled: 1-line block ×8, first 2 shown]
	v_lshlrev_b32_e32 v13, 2, v1
	v_ashrrev_i32_e32 v14, 31, v13
	v_lshlrev_b64 v[13:14], 3, v[13:14]
	global_load_dwordx4 v[17:20], v[11:12], off offset:16
	v_add_co_u32_e32 v47, vcc, s6, v13
	v_addc_co_u32_e32 v48, vcc, v24, v14, vcc
	global_load_dwordx4 v[13:16], v[47:48], off
	s_waitcnt vmcnt(1)
	v_cvt_f64_f32_e32 v[33:34], v17
	v_cvt_f64_f32_e32 v[35:36], v18
	;; [unrolled: 1-line block ×4, first 2 shown]
	global_load_dwordx4 v[17:20], v[11:12], off offset:32
	s_waitcnt vmcnt(1)
	v_fma_f64 v[27:28], v[39:40], v[13:14], v[27:28]
	v_fma_f64 v[29:30], v[41:42], v[13:14], v[29:30]
	v_fma_f64 v[39:40], v[43:44], v[13:14], v[25:26]
	v_fma_f64 v[13:14], v[55:56], v[13:14], v[31:32]
	v_fma_f64 v[31:32], v[33:34], v[15:16], v[27:28]
	v_fma_f64 v[29:30], v[35:36], v[15:16], v[29:30]
	v_fma_f64 v[33:34], v[37:38], v[15:16], v[39:40]
	v_fma_f64 v[37:38], v[45:46], v[15:16], v[13:14]
	global_load_dwordx4 v[13:16], v[11:12], off offset:2048
	global_load_dwordx4 v[25:28], v[11:12], off offset:48
	s_waitcnt vmcnt(2)
	v_cvt_f64_f32_e32 v[35:36], v17
	v_cvt_f64_f32_e32 v[17:18], v18
	;; [unrolled: 1-line block ×4, first 2 shown]
	s_waitcnt vmcnt(1)
	v_cvt_f64_f32_e32 v[45:46], v13
	v_cvt_f64_f32_e32 v[49:50], v14
	;; [unrolled: 1-line block ×4, first 2 shown]
	global_load_dwordx4 v[13:16], v[47:48], off offset:16
	s_waitcnt vmcnt(1)
	v_cvt_f64_f32_e32 v[41:42], v25
	v_cvt_f64_f32_e32 v[25:26], v26
	;; [unrolled: 1-line block ×4, first 2 shown]
	s_waitcnt vmcnt(0)
	v_fma_f64 v[17:18], v[17:18], v[13:14], v[29:30]
	v_fma_f64 v[31:32], v[35:36], v[13:14], v[31:32]
	;; [unrolled: 1-line block ×5, first 2 shown]
	global_load_dwordx4 v[17:20], v[11:12], off offset:2064
	global_load_dword v1, v[6:7], off offset:384
	v_fma_f64 v[31:32], v[41:42], v[15:16], v[31:32]
	v_fma_f64 v[6:7], v[27:28], v[15:16], v[13:14]
	;; [unrolled: 1-line block ×3, first 2 shown]
	s_waitcnt vmcnt(1)
	v_cvt_f64_f32_e32 v[33:34], v17
	s_waitcnt vmcnt(0)
	v_subrev_u32_e32 v1, s16, v1
	v_lshlrev_b32_e32 v13, 2, v1
	v_ashrrev_i32_e32 v14, 31, v13
	v_lshlrev_b64 v[13:14], 3, v[13:14]
	v_cvt_f64_f32_e32 v[35:36], v18
	v_add_co_u32_e32 v27, vcc, s6, v13
	v_addc_co_u32_e32 v28, vcc, v24, v14, vcc
	global_load_dwordx4 v[13:16], v[27:28], off
	v_cvt_f64_f32_e32 v[37:38], v19
	v_cvt_f64_f32_e32 v[39:40], v20
	global_load_dwordx4 v[17:20], v[11:12], off offset:2080
	v_add_co_u32_e32 v4, vcc, 0x2000, v4
	v_addc_co_u32_e32 v5, vcc, 0, v5, vcc
	s_waitcnt vmcnt(1)
	v_fma_f64 v[41:42], v[49:50], v[13:14], v[25:26]
	global_load_dwordx4 v[25:28], v[27:28], off offset:16
	v_fma_f64 v[31:32], v[45:46], v[13:14], v[31:32]
	v_fma_f64 v[29:30], v[51:52], v[13:14], v[29:30]
	;; [unrolled: 1-line block ×3, first 2 shown]
	global_load_dwordx4 v[11:14], v[11:12], off offset:2096
	v_fma_f64 v[31:32], v[33:34], v[15:16], v[31:32]
	v_fma_f64 v[33:34], v[35:36], v[15:16], v[41:42]
	;; [unrolled: 1-line block ×4, first 2 shown]
	s_waitcnt vmcnt(2)
	v_cvt_f64_f32_e32 v[35:36], v17
	v_cvt_f64_f32_e32 v[17:18], v18
	;; [unrolled: 1-line block ×4, first 2 shown]
	s_waitcnt vmcnt(1)
	v_fma_f64 v[31:32], v[35:36], v[25:26], v[31:32]
	v_fma_f64 v[17:18], v[17:18], v[25:26], v[33:34]
	;; [unrolled: 1-line block ×4, first 2 shown]
	s_waitcnt vmcnt(0)
	v_cvt_f64_f32_e32 v[37:38], v11
	v_cvt_f64_f32_e32 v[11:12], v12
	;; [unrolled: 1-line block ×4, first 2 shown]
	v_fma_f64 v[19:20], v[37:38], v[27:28], v[31:32]
	v_fma_f64 v[15:16], v[11:12], v[27:28], v[17:18]
	;; [unrolled: 1-line block ×4, first 2 shown]
	s_andn2_b64 exec, exec, s[10:11]
	s_cbranch_execnz .LBB153_33
; %bb.34:
	s_or_b64 exec, exec, s[10:11]
.LBB153_35:
	s_or_b64 exec, exec, s[8:9]
.LBB153_36:
	s_or_b64 exec, exec, s[2:3]
.LBB153_37:
	v_mov_b32_dpp v0, v19 row_shr:1 row_mask:0xf bank_mask:0xf
	v_mov_b32_dpp v1, v20 row_shr:1 row_mask:0xf bank_mask:0xf
	v_add_f64 v[0:1], v[19:20], v[0:1]
	v_mov_b32_dpp v4, v15 row_shr:1 row_mask:0xf bank_mask:0xf
	v_mov_b32_dpp v5, v16 row_shr:1 row_mask:0xf bank_mask:0xf
	;; [unrolled: 1-line block ×3, first 2 shown]
	v_add_f64 v[4:5], v[15:16], v[4:5]
	v_mov_b32_dpp v7, v14 row_shr:1 row_mask:0xf bank_mask:0xf
	v_add_f64 v[6:7], v[13:14], v[6:7]
	v_cmp_eq_u32_e32 vcc, 31, v21
	v_mov_b32_dpp v11, v0 row_shr:2 row_mask:0xf bank_mask:0xf
	v_mov_b32_dpp v12, v1 row_shr:2 row_mask:0xf bank_mask:0xf
	v_add_f64 v[0:1], v[0:1], v[11:12]
	v_mov_b32_dpp v11, v17 row_shr:1 row_mask:0xf bank_mask:0xf
	v_mov_b32_dpp v12, v18 row_shr:1 row_mask:0xf bank_mask:0xf
	v_add_f64 v[11:12], v[17:18], v[11:12]
	;; [unrolled: 3-line block ×4, first 2 shown]
	v_mov_b32_dpp v15, v6 row_shr:2 row_mask:0xf bank_mask:0xf
	v_mov_b32_dpp v16, v7 row_shr:2 row_mask:0xf bank_mask:0xf
	v_mov_b32_dpp v13, v11 row_shr:2 row_mask:0xf bank_mask:0xf
	v_add_f64 v[6:7], v[6:7], v[15:16]
	v_mov_b32_dpp v14, v12 row_shr:2 row_mask:0xf bank_mask:0xf
	v_add_f64 v[11:12], v[11:12], v[13:14]
	v_mov_b32_dpp v15, v4 row_shr:4 row_mask:0xf bank_mask:0xe
	v_mov_b32_dpp v16, v5 row_shr:4 row_mask:0xf bank_mask:0xe
	v_add_f64 v[4:5], v[4:5], v[15:16]
	v_mov_b32_dpp v13, v0 row_shr:8 row_mask:0xf bank_mask:0xc
	v_mov_b32_dpp v14, v1 row_shr:8 row_mask:0xf bank_mask:0xc
	;; [unrolled: 1-line block ×4, first 2 shown]
	v_add_f64 v[6:7], v[6:7], v[15:16]
	v_mov_b32_dpp v15, v11 row_shr:4 row_mask:0xf bank_mask:0xe
	v_mov_b32_dpp v16, v12 row_shr:4 row_mask:0xf bank_mask:0xe
	v_add_f64 v[11:12], v[11:12], v[15:16]
	v_add_f64 v[0:1], v[0:1], v[13:14]
	v_mov_b32_dpp v13, v4 row_shr:8 row_mask:0xf bank_mask:0xc
	v_mov_b32_dpp v14, v5 row_shr:8 row_mask:0xf bank_mask:0xc
	v_add_f64 v[4:5], v[4:5], v[13:14]
	v_mov_b32_dpp v13, v6 row_shr:8 row_mask:0xf bank_mask:0xc
	v_mov_b32_dpp v14, v7 row_shr:8 row_mask:0xf bank_mask:0xc
	;; [unrolled: 3-line block ×3, first 2 shown]
	v_add_f64 v[11:12], v[11:12], v[13:14]
	v_mov_b32_dpp v19, v0 row_bcast:15 row_mask:0xa bank_mask:0xf
	v_mov_b32_dpp v20, v1 row_bcast:15 row_mask:0xa bank_mask:0xf
	;; [unrolled: 1-line block ×8, first 2 shown]
	s_and_b64 exec, exec, vcc
	s_cbranch_execz .LBB153_10
; %bb.38:
	v_add_f64 v[0:1], v[0:1], v[19:20]
	v_add_f64 v[17:18], v[4:5], v[17:18]
	;; [unrolled: 1-line block ×4, first 2 shown]
	v_cmp_eq_f64_e32 vcc, 0, v[8:9]
	s_load_dwordx2 s[0:1], s[4:5], 0x50
	v_lshlrev_b32_e32 v10, 2, v10
	v_mul_f64 v[4:5], v[2:3], v[0:1]
	v_mul_f64 v[6:7], v[2:3], v[17:18]
	;; [unrolled: 1-line block ×4, first 2 shown]
	s_and_saveexec_b64 s[2:3], vcc
	s_xor_b64 s[2:3], exec, s[2:3]
	s_cbranch_execz .LBB153_40
; %bb.39:
	v_ashrrev_i32_e32 v11, 31, v10
	v_lshlrev_b64 v[8:9], 3, v[10:11]
	s_waitcnt lgkmcnt(0)
	v_mov_b32_e32 v10, s1
	v_add_co_u32_e32 v8, vcc, s0, v8
	v_addc_co_u32_e32 v9, vcc, v10, v9, vcc
	global_store_dwordx4 v[8:9], v[4:7], off
	global_store_dwordx4 v[8:9], v[0:3], off offset:16
                                        ; implicit-def: $vgpr10
                                        ; implicit-def: $vgpr8_vgpr9
                                        ; implicit-def: $vgpr4_vgpr5
                                        ; implicit-def: $vgpr0_vgpr1
.LBB153_40:
	s_andn2_saveexec_b64 s[2:3], s[2:3]
	s_cbranch_execz .LBB153_10
; %bb.41:
	v_ashrrev_i32_e32 v11, 31, v10
	v_lshlrev_b64 v[10:11], 3, v[10:11]
	s_waitcnt lgkmcnt(0)
	v_mov_b32_e32 v12, s1
	v_add_co_u32_e32 v18, vcc, s0, v10
	v_addc_co_u32_e32 v19, vcc, v12, v11, vcc
	global_load_dwordx4 v[10:13], v[18:19], off
	global_load_dwordx4 v[14:17], v[18:19], off offset:16
	s_waitcnt vmcnt(1)
	v_fma_f64 v[4:5], v[8:9], v[10:11], v[4:5]
	v_fma_f64 v[6:7], v[8:9], v[12:13], v[6:7]
	s_waitcnt vmcnt(0)
	v_fma_f64 v[0:1], v[8:9], v[14:15], v[0:1]
	v_fma_f64 v[2:3], v[8:9], v[16:17], v[2:3]
	global_store_dwordx4 v[18:19], v[4:7], off
	global_store_dwordx4 v[18:19], v[0:3], off offset:16
	s_endpgm
	.section	.rodata,"a",@progbits
	.p2align	6, 0x0
	.amdhsa_kernel _ZN9rocsparseL18bsrxmvn_4x4_kernelILj128ELj32EdiifddEEvT3_20rocsparse_direction_NS_24const_host_device_scalarIT1_EES1_PKS1_PKT2_SA_S7_PKT4_PKT5_S5_PT6_21rocsparse_index_base_b
		.amdhsa_group_segment_fixed_size 0
		.amdhsa_private_segment_fixed_size 0
		.amdhsa_kernarg_size 96
		.amdhsa_user_sgpr_count 6
		.amdhsa_user_sgpr_private_segment_buffer 1
		.amdhsa_user_sgpr_dispatch_ptr 0
		.amdhsa_user_sgpr_queue_ptr 0
		.amdhsa_user_sgpr_kernarg_segment_ptr 1
		.amdhsa_user_sgpr_dispatch_id 0
		.amdhsa_user_sgpr_flat_scratch_init 0
		.amdhsa_user_sgpr_private_segment_size 0
		.amdhsa_uses_dynamic_stack 0
		.amdhsa_system_sgpr_private_segment_wavefront_offset 0
		.amdhsa_system_sgpr_workgroup_id_x 1
		.amdhsa_system_sgpr_workgroup_id_y 0
		.amdhsa_system_sgpr_workgroup_id_z 0
		.amdhsa_system_sgpr_workgroup_info 0
		.amdhsa_system_vgpr_workitem_id 0
		.amdhsa_next_free_vgpr 59
		.amdhsa_next_free_sgpr 18
		.amdhsa_reserve_vcc 1
		.amdhsa_reserve_flat_scratch 0
		.amdhsa_float_round_mode_32 0
		.amdhsa_float_round_mode_16_64 0
		.amdhsa_float_denorm_mode_32 3
		.amdhsa_float_denorm_mode_16_64 3
		.amdhsa_dx10_clamp 1
		.amdhsa_ieee_mode 1
		.amdhsa_fp16_overflow 0
		.amdhsa_exception_fp_ieee_invalid_op 0
		.amdhsa_exception_fp_denorm_src 0
		.amdhsa_exception_fp_ieee_div_zero 0
		.amdhsa_exception_fp_ieee_overflow 0
		.amdhsa_exception_fp_ieee_underflow 0
		.amdhsa_exception_fp_ieee_inexact 0
		.amdhsa_exception_int_div_zero 0
	.end_amdhsa_kernel
	.section	.text._ZN9rocsparseL18bsrxmvn_4x4_kernelILj128ELj32EdiifddEEvT3_20rocsparse_direction_NS_24const_host_device_scalarIT1_EES1_PKS1_PKT2_SA_S7_PKT4_PKT5_S5_PT6_21rocsparse_index_base_b,"axG",@progbits,_ZN9rocsparseL18bsrxmvn_4x4_kernelILj128ELj32EdiifddEEvT3_20rocsparse_direction_NS_24const_host_device_scalarIT1_EES1_PKS1_PKT2_SA_S7_PKT4_PKT5_S5_PT6_21rocsparse_index_base_b,comdat
.Lfunc_end153:
	.size	_ZN9rocsparseL18bsrxmvn_4x4_kernelILj128ELj32EdiifddEEvT3_20rocsparse_direction_NS_24const_host_device_scalarIT1_EES1_PKS1_PKT2_SA_S7_PKT4_PKT5_S5_PT6_21rocsparse_index_base_b, .Lfunc_end153-_ZN9rocsparseL18bsrxmvn_4x4_kernelILj128ELj32EdiifddEEvT3_20rocsparse_direction_NS_24const_host_device_scalarIT1_EES1_PKS1_PKT2_SA_S7_PKT4_PKT5_S5_PT6_21rocsparse_index_base_b
                                        ; -- End function
	.set _ZN9rocsparseL18bsrxmvn_4x4_kernelILj128ELj32EdiifddEEvT3_20rocsparse_direction_NS_24const_host_device_scalarIT1_EES1_PKS1_PKT2_SA_S7_PKT4_PKT5_S5_PT6_21rocsparse_index_base_b.num_vgpr, 59
	.set _ZN9rocsparseL18bsrxmvn_4x4_kernelILj128ELj32EdiifddEEvT3_20rocsparse_direction_NS_24const_host_device_scalarIT1_EES1_PKS1_PKT2_SA_S7_PKT4_PKT5_S5_PT6_21rocsparse_index_base_b.num_agpr, 0
	.set _ZN9rocsparseL18bsrxmvn_4x4_kernelILj128ELj32EdiifddEEvT3_20rocsparse_direction_NS_24const_host_device_scalarIT1_EES1_PKS1_PKT2_SA_S7_PKT4_PKT5_S5_PT6_21rocsparse_index_base_b.numbered_sgpr, 18
	.set _ZN9rocsparseL18bsrxmvn_4x4_kernelILj128ELj32EdiifddEEvT3_20rocsparse_direction_NS_24const_host_device_scalarIT1_EES1_PKS1_PKT2_SA_S7_PKT4_PKT5_S5_PT6_21rocsparse_index_base_b.num_named_barrier, 0
	.set _ZN9rocsparseL18bsrxmvn_4x4_kernelILj128ELj32EdiifddEEvT3_20rocsparse_direction_NS_24const_host_device_scalarIT1_EES1_PKS1_PKT2_SA_S7_PKT4_PKT5_S5_PT6_21rocsparse_index_base_b.private_seg_size, 0
	.set _ZN9rocsparseL18bsrxmvn_4x4_kernelILj128ELj32EdiifddEEvT3_20rocsparse_direction_NS_24const_host_device_scalarIT1_EES1_PKS1_PKT2_SA_S7_PKT4_PKT5_S5_PT6_21rocsparse_index_base_b.uses_vcc, 1
	.set _ZN9rocsparseL18bsrxmvn_4x4_kernelILj128ELj32EdiifddEEvT3_20rocsparse_direction_NS_24const_host_device_scalarIT1_EES1_PKS1_PKT2_SA_S7_PKT4_PKT5_S5_PT6_21rocsparse_index_base_b.uses_flat_scratch, 0
	.set _ZN9rocsparseL18bsrxmvn_4x4_kernelILj128ELj32EdiifddEEvT3_20rocsparse_direction_NS_24const_host_device_scalarIT1_EES1_PKS1_PKT2_SA_S7_PKT4_PKT5_S5_PT6_21rocsparse_index_base_b.has_dyn_sized_stack, 0
	.set _ZN9rocsparseL18bsrxmvn_4x4_kernelILj128ELj32EdiifddEEvT3_20rocsparse_direction_NS_24const_host_device_scalarIT1_EES1_PKS1_PKT2_SA_S7_PKT4_PKT5_S5_PT6_21rocsparse_index_base_b.has_recursion, 0
	.set _ZN9rocsparseL18bsrxmvn_4x4_kernelILj128ELj32EdiifddEEvT3_20rocsparse_direction_NS_24const_host_device_scalarIT1_EES1_PKS1_PKT2_SA_S7_PKT4_PKT5_S5_PT6_21rocsparse_index_base_b.has_indirect_call, 0
	.section	.AMDGPU.csdata,"",@progbits
; Kernel info:
; codeLenInByte = 4908
; TotalNumSgprs: 22
; NumVgprs: 59
; ScratchSize: 0
; MemoryBound: 0
; FloatMode: 240
; IeeeMode: 1
; LDSByteSize: 0 bytes/workgroup (compile time only)
; SGPRBlocks: 2
; VGPRBlocks: 14
; NumSGPRsForWavesPerEU: 22
; NumVGPRsForWavesPerEU: 59
; Occupancy: 4
; WaveLimiterHint : 1
; COMPUTE_PGM_RSRC2:SCRATCH_EN: 0
; COMPUTE_PGM_RSRC2:USER_SGPR: 6
; COMPUTE_PGM_RSRC2:TRAP_HANDLER: 0
; COMPUTE_PGM_RSRC2:TGID_X_EN: 1
; COMPUTE_PGM_RSRC2:TGID_Y_EN: 0
; COMPUTE_PGM_RSRC2:TGID_Z_EN: 0
; COMPUTE_PGM_RSRC2:TIDIG_COMP_CNT: 0
	.section	.text._ZN9rocsparseL18bsrxmvn_4x4_kernelILj128ELj64EdiifddEEvT3_20rocsparse_direction_NS_24const_host_device_scalarIT1_EES1_PKS1_PKT2_SA_S7_PKT4_PKT5_S5_PT6_21rocsparse_index_base_b,"axG",@progbits,_ZN9rocsparseL18bsrxmvn_4x4_kernelILj128ELj64EdiifddEEvT3_20rocsparse_direction_NS_24const_host_device_scalarIT1_EES1_PKS1_PKT2_SA_S7_PKT4_PKT5_S5_PT6_21rocsparse_index_base_b,comdat
	.globl	_ZN9rocsparseL18bsrxmvn_4x4_kernelILj128ELj64EdiifddEEvT3_20rocsparse_direction_NS_24const_host_device_scalarIT1_EES1_PKS1_PKT2_SA_S7_PKT4_PKT5_S5_PT6_21rocsparse_index_base_b ; -- Begin function _ZN9rocsparseL18bsrxmvn_4x4_kernelILj128ELj64EdiifddEEvT3_20rocsparse_direction_NS_24const_host_device_scalarIT1_EES1_PKS1_PKT2_SA_S7_PKT4_PKT5_S5_PT6_21rocsparse_index_base_b
	.p2align	8
	.type	_ZN9rocsparseL18bsrxmvn_4x4_kernelILj128ELj64EdiifddEEvT3_20rocsparse_direction_NS_24const_host_device_scalarIT1_EES1_PKS1_PKT2_SA_S7_PKT4_PKT5_S5_PT6_21rocsparse_index_base_b,@function
_ZN9rocsparseL18bsrxmvn_4x4_kernelILj128ELj64EdiifddEEvT3_20rocsparse_direction_NS_24const_host_device_scalarIT1_EES1_PKS1_PKT2_SA_S7_PKT4_PKT5_S5_PT6_21rocsparse_index_base_b: ; @_ZN9rocsparseL18bsrxmvn_4x4_kernelILj128ELj64EdiifddEEvT3_20rocsparse_direction_NS_24const_host_device_scalarIT1_EES1_PKS1_PKT2_SA_S7_PKT4_PKT5_S5_PT6_21rocsparse_index_base_b
; %bb.0:
	s_load_dwordx2 s[16:17], s[4:5], 0x58
	s_load_dwordx2 s[8:9], s[4:5], 0x8
	;; [unrolled: 1-line block ×3, first 2 shown]
	s_waitcnt lgkmcnt(0)
	s_bitcmp1_b32 s17, 0
	s_cselect_b64 s[10:11], -1, 0
	v_mov_b32_e32 v2, s8
	s_xor_b64 s[2:3], s[10:11], -1
	s_and_b64 vcc, exec, s[10:11]
	v_mov_b32_e32 v3, s9
	s_cbranch_vccnz .LBB154_2
; %bb.1:
	v_mov_b32_e32 v1, s8
	v_mov_b32_e32 v2, s9
	flat_load_dwordx2 v[2:3], v[1:2]
.LBB154_2:
	v_mov_b32_e32 v9, s1
	s_andn2_b64 vcc, exec, s[2:3]
	v_mov_b32_e32 v8, s0
	s_cbranch_vccnz .LBB154_4
; %bb.3:
	v_mov_b32_e32 v5, s1
	v_mov_b32_e32 v4, s0
	flat_load_dwordx2 v[8:9], v[4:5]
.LBB154_4:
	s_waitcnt vmcnt(0) lgkmcnt(0)
	v_cmp_neq_f64_e32 vcc, 0, v[2:3]
	v_cmp_neq_f64_e64 s[0:1], 1.0, v[8:9]
	s_mov_b64 s[2:3], 0
	s_or_b64 s[0:1], vcc, s[0:1]
	s_and_saveexec_b64 s[8:9], s[0:1]
	s_cbranch_execz .LBB154_10
; %bb.5:
	s_load_dwordx2 s[8:9], s[4:5], 0x18
	s_load_dwordx2 s[0:1], s[4:5], 0x0
	v_lshrrev_b32_e32 v1, 6, v0
	v_lshl_or_b32 v10, s6, 1, v1
	s_mov_b64 s[6:7], 0
	s_waitcnt lgkmcnt(0)
	s_cmp_lg_u64 s[8:9], 0
	s_cbranch_scc0 .LBB154_11
; %bb.6:
	s_load_dword s2, s[4:5], 0x10
                                        ; implicit-def: $vgpr1
	s_waitcnt lgkmcnt(0)
	v_cmp_gt_i32_e32 vcc, s2, v10
	s_and_saveexec_b64 s[2:3], vcc
	s_xor_b64 s[2:3], exec, s[2:3]
	s_cbranch_execz .LBB154_8
; %bb.7:
	v_ashrrev_i32_e32 v11, 31, v10
	v_lshlrev_b64 v[4:5], 2, v[10:11]
	v_mov_b32_e32 v1, s9
	v_add_co_u32_e32 v4, vcc, s8, v4
	v_addc_co_u32_e32 v5, vcc, v1, v5, vcc
	global_load_dword v1, v[4:5], off
	s_mov_b64 s[6:7], exec
	s_waitcnt vmcnt(0)
	v_subrev_u32_e32 v1, s16, v1
.LBB154_8:
	s_or_b64 exec, exec, s[2:3]
	s_mov_b64 s[2:3], s[6:7]
	s_branch .LBB154_12
.LBB154_9:
	v_cmp_gt_i32_e32 vcc, s0, v10
	s_andn2_b64 s[2:3], s[2:3], exec
	s_and_b64 s[6:7], vcc, exec
	s_or_b64 s[2:3], s[2:3], s[6:7]
	s_and_b64 exec, exec, s[2:3]
	s_cbranch_execnz .LBB154_13
.LBB154_10:
	s_endpgm
.LBB154_11:
                                        ; implicit-def: $vgpr1
	s_cbranch_execnz .LBB154_9
.LBB154_12:
	v_mov_b32_e32 v10, v1
	s_and_b64 exec, exec, s[2:3]
	s_cbranch_execz .LBB154_10
.LBB154_13:
	s_load_dwordx8 s[8:15], s[4:5], 0x20
	v_ashrrev_i32_e32 v11, 31, v10
	v_lshlrev_b64 v[4:5], 2, v[10:11]
	v_and_b32_e32 v25, 63, v0
	s_load_dwordx2 s[6:7], s[4:5], 0x40
	s_waitcnt lgkmcnt(0)
	v_mov_b32_e32 v1, s9
	v_add_co_u32_e32 v6, vcc, s8, v4
	v_addc_co_u32_e32 v7, vcc, v1, v5, vcc
	v_add_co_u32_e32 v1, vcc, 4, v6
	global_load_dword v27, v[6:7], off
	v_addc_co_u32_e32 v6, vcc, 0, v7, vcc
	v_mov_b32_e32 v7, s11
	v_add_co_u32_e32 v4, vcc, s10, v4
	s_cmp_eq_u64 s[10:11], 0
	v_addc_co_u32_e32 v5, vcc, v7, v5, vcc
	s_cselect_b64 vcc, -1, 0
	v_cndmask_b32_e32 v5, v5, v6, vcc
	v_cndmask_b32_e32 v4, v4, v1, vcc
	global_load_dword v1, v[4:5], off
	v_mov_b32_e32 v6, s15
	s_cmp_eq_u32 s1, 1
	s_waitcnt vmcnt(1)
	v_subrev_u32_e32 v0, s16, v27
	v_add_u32_e32 v0, v0, v25
	s_waitcnt vmcnt(0)
	v_subrev_u32_e32 v26, s16, v1
	v_ashrrev_i32_e32 v1, 31, v0
	v_lshlrev_b64 v[4:5], 6, v[0:1]
	v_cmp_lt_i32_e64 s[0:1], v0, v26
	v_add_co_u32_e32 v4, vcc, s14, v4
	v_addc_co_u32_e32 v5, vcc, v6, v5, vcc
	s_cbranch_scc1 .LBB154_25
; %bb.14:
	v_mov_b32_e32 v13, 0
	v_mov_b32_e32 v15, 0
	;; [unrolled: 1-line block ×8, first 2 shown]
	s_and_saveexec_b64 s[8:9], s[0:1]
	s_cbranch_execz .LBB154_24
; %bb.15:
	v_add_u32_e32 v1, v27, v25
	v_subrev_u32_e32 v1, s16, v1
	v_add_u32_e32 v1, 64, v1
	v_max_i32_e32 v1, v1, v26
	v_not_b32_e32 v6, v27
	v_add3_u32 v1, s16, v1, v6
	v_sub_u32_e32 v1, v1, v25
	s_movk_i32 s2, 0xc0
	v_and_b32_e32 v6, 0xc0, v1
	v_cmp_ne_u32_e32 vcc, s2, v6
	v_mov_b32_e32 v19, 0
	v_mov_b32_e32 v17, 0
	;; [unrolled: 1-line block ×11, first 2 shown]
	s_and_saveexec_b64 s[10:11], vcc
	s_cbranch_execz .LBB154_19
; %bb.16:
	v_lshrrev_b32_e32 v6, 6, v1
	v_add_u32_e32 v6, 1, v6
	v_and_b32_e32 v6, 3, v6
	v_sub_u32_e32 v21, 0, v6
	v_mov_b32_e32 v13, 0
	v_mov_b32_e32 v7, v5
	;; [unrolled: 1-line block ×6, first 2 shown]
	s_mov_b64 s[14:15], 0
	v_mov_b32_e32 v22, s13
	v_mov_b32_e32 v23, s7
	;; [unrolled: 1-line block ×7, first 2 shown]
.LBB154_17:                             ; =>This Inner Loop Header: Depth=1
	v_ashrrev_i32_e32 v12, 31, v11
	v_lshlrev_b64 v[28:29], 2, v[11:12]
	v_add_co_u32_e64 v21, s[2:3], 1, v21
	v_add_co_u32_e32 v44, vcc, s12, v28
	v_addc_co_u32_e32 v45, vcc, v22, v29, vcc
	global_load_dword v12, v[44:45], off
	global_load_dwordx4 v[28:31], v[6:7], off
	global_load_dwordx4 v[32:35], v[6:7], off offset:16
	global_load_dwordx4 v[36:39], v[6:7], off offset:32
	global_load_dwordx4 v[40:43], v[6:7], off offset:48
	s_or_b64 s[14:15], s[2:3], s[14:15]
	v_add_u32_e32 v11, 64, v11
	s_waitcnt vmcnt(4)
	v_subrev_u32_e32 v12, s16, v12
	v_lshlrev_b32_e32 v44, 2, v12
	v_ashrrev_i32_e32 v45, 31, v44
	v_lshlrev_b64 v[44:45], 3, v[44:45]
	s_waitcnt vmcnt(2)
	v_cvt_f64_f32_e32 v[54:55], v32
	v_add_co_u32_e32 v52, vcc, s6, v44
	v_addc_co_u32_e32 v53, vcc, v23, v45, vcc
	global_load_dwordx4 v[44:47], v[52:53], off
	global_load_dwordx4 v[48:51], v[52:53], off offset:16
	v_cvt_f64_f32_e32 v[52:53], v28
	s_waitcnt vmcnt(3)
	v_cvt_f64_f32_e32 v[56:57], v36
	s_waitcnt vmcnt(2)
	v_cvt_f64_f32_e32 v[58:59], v40
	v_cvt_f64_f32_e32 v[28:29], v29
	;; [unrolled: 1-line block ×5, first 2 shown]
	v_add_co_u32_e32 v6, vcc, 0x1000, v6
	v_addc_co_u32_e32 v7, vcc, 0, v7, vcc
	s_waitcnt vmcnt(1)
	v_fma_f64 v[19:20], v[52:53], v[44:45], v[19:20]
	v_fma_f64 v[17:18], v[54:55], v[44:45], v[17:18]
	;; [unrolled: 1-line block ×8, first 2 shown]
	v_cvt_f64_f32_e32 v[28:29], v30
	v_cvt_f64_f32_e32 v[32:33], v34
	;; [unrolled: 1-line block ×4, first 2 shown]
	s_waitcnt vmcnt(0)
	v_fma_f64 v[19:20], v[28:29], v[48:49], v[19:20]
	v_fma_f64 v[16:17], v[32:33], v[48:49], v[17:18]
	;; [unrolled: 1-line block ×4, first 2 shown]
	v_cvt_f64_f32_e32 v[28:29], v31
	v_cvt_f64_f32_e32 v[30:31], v35
	;; [unrolled: 1-line block ×4, first 2 shown]
	v_fma_f64 v[19:20], v[28:29], v[50:51], v[19:20]
	v_fma_f64 v[17:18], v[30:31], v[50:51], v[16:17]
	;; [unrolled: 1-line block ×4, first 2 shown]
	s_andn2_b64 exec, exec, s[14:15]
	s_cbranch_execnz .LBB154_17
; %bb.18:
	s_or_b64 exec, exec, s[14:15]
.LBB154_19:
	s_or_b64 exec, exec, s[10:11]
	s_movk_i32 s2, 0xbf
	v_cmp_lt_u32_e32 vcc, s2, v1
	s_and_saveexec_b64 s[10:11], vcc
	s_cbranch_execz .LBB154_23
; %bb.20:
	s_mov_b64 s[14:15], 0
	v_mov_b32_e32 v1, s13
	v_mov_b32_e32 v28, s7
	s_movk_i32 s17, 0x1000
	s_movk_i32 s18, 0x2000
	;; [unrolled: 1-line block ×3, first 2 shown]
.LBB154_21:                             ; =>This Inner Loop Header: Depth=1
	v_ashrrev_i32_e32 v12, 31, v11
	v_lshlrev_b64 v[21:22], 2, v[11:12]
	v_add_u32_e32 v11, 0x100, v11
	v_add_co_u32_e32 v49, vcc, s12, v21
	v_addc_co_u32_e32 v50, vcc, v1, v22, vcc
	global_load_dword v12, v[49:50], off
	global_load_dwordx4 v[21:24], v[6:7], off offset:48
	global_load_dwordx4 v[29:32], v[6:7], off offset:32
	;; [unrolled: 1-line block ×3, first 2 shown]
	global_load_dwordx4 v[37:40], v[6:7], off
	v_cmp_ge_i32_e64 s[2:3], v11, v26
	s_or_b64 s[14:15], s[2:3], s[14:15]
	s_waitcnt vmcnt(4)
	v_subrev_u32_e32 v12, s16, v12
	v_lshlrev_b32_e32 v41, 2, v12
	v_ashrrev_i32_e32 v42, 31, v41
	v_lshlrev_b64 v[41:42], 3, v[41:42]
	s_waitcnt vmcnt(0)
	v_cvt_f64_f32_e32 v[51:52], v37
	v_add_co_u32_e32 v53, vcc, s6, v41
	v_addc_co_u32_e32 v54, vcc, v28, v42, vcc
	global_load_dwordx4 v[41:44], v[53:54], off offset:16
	global_load_dwordx4 v[45:48], v[53:54], off
	v_cvt_f64_f32_e32 v[37:38], v38
	s_waitcnt vmcnt(0)
	v_fma_f64 v[19:20], v[51:52], v[45:46], v[19:20]
	v_fma_f64 v[19:20], v[37:38], v[47:48], v[19:20]
	v_cvt_f64_f32_e32 v[37:38], v39
	v_fma_f64 v[19:20], v[37:38], v[41:42], v[19:20]
	v_cvt_f64_f32_e32 v[37:38], v40
	v_fma_f64 v[51:52], v[37:38], v[43:44], v[19:20]
	v_cvt_f64_f32_e32 v[19:20], v33
	v_add_co_u32_e32 v33, vcc, s17, v6
	v_fma_f64 v[17:18], v[19:20], v[45:46], v[17:18]
	v_cvt_f64_f32_e32 v[19:20], v34
	v_addc_co_u32_e32 v34, vcc, 0, v7, vcc
	v_fma_f64 v[17:18], v[19:20], v[47:48], v[17:18]
	v_cvt_f64_f32_e32 v[19:20], v35
	v_fma_f64 v[17:18], v[19:20], v[41:42], v[17:18]
	v_cvt_f64_f32_e32 v[19:20], v36
	;; [unrolled: 2-line block ×10, first 2 shown]
	v_fma_f64 v[41:42], v[14:15], v[43:44], v[12:13]
	global_load_dword v12, v[49:50], off offset:256
	v_add_co_u32_e32 v43, vcc, s18, v6
	v_addc_co_u32_e32 v44, vcc, 0, v7, vcc
	s_waitcnt vmcnt(0)
	v_subrev_u32_e32 v12, s16, v12
	v_lshlrev_b32_e32 v35, 2, v12
	v_ashrrev_i32_e32 v36, 31, v35
	global_load_dwordx4 v[12:15], v[43:44], off offset:-4096
	global_load_dwordx4 v[16:19], v[33:34], off offset:48
	global_load_dwordx4 v[20:23], v[33:34], off offset:32
	;; [unrolled: 1-line block ×3, first 2 shown]
	v_lshlrev_b64 v[33:34], 3, v[35:36]
	v_add_co_u32_e32 v47, vcc, s6, v33
	v_addc_co_u32_e32 v48, vcc, v28, v34, vcc
	global_load_dwordx4 v[33:36], v[47:48], off offset:16
	global_load_dwordx4 v[37:40], v[47:48], off
	s_waitcnt vmcnt(5)
	v_cvt_f64_f32_e32 v[45:46], v12
	v_cvt_f64_f32_e32 v[12:13], v13
	s_waitcnt vmcnt(0)
	v_fma_f64 v[45:46], v[45:46], v[37:38], v[51:52]
	v_fma_f64 v[12:13], v[12:13], v[39:40], v[45:46]
	v_cvt_f64_f32_e32 v[45:46], v14
	v_cvt_f64_f32_e32 v[14:15], v15
	v_fma_f64 v[12:13], v[45:46], v[33:34], v[12:13]
	v_fma_f64 v[45:46], v[14:15], v[35:36], v[12:13]
	v_cvt_f64_f32_e32 v[12:13], v29
	v_cvt_f64_f32_e32 v[14:15], v30
	v_fma_f64 v[12:13], v[12:13], v[37:38], v[53:54]
	v_fma_f64 v[12:13], v[14:15], v[39:40], v[12:13]
	v_cvt_f64_f32_e32 v[14:15], v31
	v_fma_f64 v[12:13], v[14:15], v[33:34], v[12:13]
	v_cvt_f64_f32_e32 v[14:15], v32
	v_fma_f64 v[47:48], v[14:15], v[35:36], v[12:13]
	v_cvt_f64_f32_e32 v[12:13], v20
	v_cvt_f64_f32_e32 v[14:15], v21
	v_fma_f64 v[12:13], v[12:13], v[37:38], v[55:56]
	v_fma_f64 v[12:13], v[14:15], v[39:40], v[12:13]
	v_cvt_f64_f32_e32 v[14:15], v22
	v_fma_f64 v[12:13], v[14:15], v[33:34], v[12:13]
	v_cvt_f64_f32_e32 v[14:15], v23
	;; [unrolled: 8-line block ×3, first 2 shown]
	v_fma_f64 v[41:42], v[14:15], v[35:36], v[12:13]
	global_load_dword v12, v[49:50], off offset:512
	s_waitcnt vmcnt(0)
	v_subrev_u32_e32 v12, s16, v12
	v_lshlrev_b32_e32 v33, 2, v12
	v_ashrrev_i32_e32 v34, 31, v33
	v_lshlrev_b64 v[33:34], 3, v[33:34]
	global_load_dwordx4 v[12:15], v[43:44], off
	global_load_dwordx4 v[16:19], v[43:44], off offset:48
	global_load_dwordx4 v[20:23], v[43:44], off offset:32
	;; [unrolled: 1-line block ×3, first 2 shown]
	v_add_co_u32_e32 v53, vcc, s6, v33
	v_addc_co_u32_e32 v54, vcc, v28, v34, vcc
	global_load_dwordx4 v[33:36], v[53:54], off offset:16
	global_load_dwordx4 v[37:40], v[53:54], off
	s_waitcnt vmcnt(5)
	v_cvt_f64_f32_e32 v[43:44], v12
	v_cvt_f64_f32_e32 v[12:13], v13
	s_waitcnt vmcnt(0)
	v_fma_f64 v[43:44], v[43:44], v[37:38], v[45:46]
	v_fma_f64 v[12:13], v[12:13], v[39:40], v[43:44]
	v_cvt_f64_f32_e32 v[43:44], v14
	v_cvt_f64_f32_e32 v[14:15], v15
	v_fma_f64 v[12:13], v[43:44], v[33:34], v[12:13]
	v_fma_f64 v[12:13], v[14:15], v[35:36], v[12:13]
	v_cvt_f64_f32_e32 v[14:15], v29
	v_cvt_f64_f32_e32 v[29:30], v30
	v_fma_f64 v[14:15], v[14:15], v[37:38], v[47:48]
	v_fma_f64 v[14:15], v[29:30], v[39:40], v[14:15]
	v_cvt_f64_f32_e32 v[29:30], v31
	v_fma_f64 v[14:15], v[29:30], v[33:34], v[14:15]
	v_cvt_f64_f32_e32 v[29:30], v32
	v_fma_f64 v[14:15], v[29:30], v[35:36], v[14:15]
	v_cvt_f64_f32_e32 v[29:30], v20
	v_cvt_f64_f32_e32 v[20:21], v21
	v_fma_f64 v[29:30], v[29:30], v[37:38], v[51:52]
	v_fma_f64 v[20:21], v[20:21], v[39:40], v[29:30]
	v_cvt_f64_f32_e32 v[29:30], v22
	v_cvt_f64_f32_e32 v[22:23], v23
	v_fma_f64 v[20:21], v[29:30], v[33:34], v[20:21]
	v_fma_f64 v[21:22], v[22:23], v[35:36], v[20:21]
	v_cvt_f64_f32_e32 v[23:24], v16
	v_cvt_f64_f32_e32 v[16:17], v17
	v_fma_f64 v[23:24], v[23:24], v[37:38], v[41:42]
	v_add_co_u32_e32 v42, vcc, s19, v6
	v_addc_co_u32_e32 v43, vcc, 0, v7, vcc
	v_fma_f64 v[16:17], v[16:17], v[39:40], v[23:24]
	v_cvt_f64_f32_e32 v[23:24], v18
	v_cvt_f64_f32_e32 v[18:19], v19
	v_fma_f64 v[16:17], v[23:24], v[33:34], v[16:17]
	v_fma_f64 v[23:24], v[18:19], v[35:36], v[16:17]
	global_load_dword v16, v[49:50], off offset:768
	s_waitcnt vmcnt(0)
	v_subrev_u32_e32 v16, s16, v16
	v_lshlrev_b32_e32 v41, 2, v16
	global_load_dwordx4 v[16:19], v[42:43], off
	global_load_dwordx4 v[29:32], v[42:43], off offset:48
	global_load_dwordx4 v[33:36], v[42:43], off offset:32
	;; [unrolled: 1-line block ×3, first 2 shown]
	v_ashrrev_i32_e32 v42, 31, v41
	v_lshlrev_b64 v[41:42], 3, v[41:42]
	v_add_co_u32_e32 v51, vcc, s6, v41
	v_addc_co_u32_e32 v52, vcc, v28, v42, vcc
	global_load_dwordx4 v[41:44], v[51:52], off offset:16
	global_load_dwordx4 v[45:48], v[51:52], off
	v_add_co_u32_e32 v6, vcc, 0x4000, v6
	v_addc_co_u32_e32 v7, vcc, 0, v7, vcc
	s_waitcnt vmcnt(5)
	v_cvt_f64_f32_e32 v[49:50], v16
	v_cvt_f64_f32_e32 v[16:17], v17
	s_waitcnt vmcnt(0)
	v_fma_f64 v[12:13], v[49:50], v[45:46], v[12:13]
	v_fma_f64 v[12:13], v[16:17], v[47:48], v[12:13]
	v_cvt_f64_f32_e32 v[16:17], v18
	v_fma_f64 v[12:13], v[16:17], v[41:42], v[12:13]
	v_cvt_f64_f32_e32 v[16:17], v19
	;; [unrolled: 2-line block ×7, first 2 shown]
	v_cvt_f64_f32_e32 v[14:15], v34
	v_fma_f64 v[12:13], v[12:13], v[45:46], v[21:22]
	v_cvt_f64_f32_e32 v[21:22], v30
	v_fma_f64 v[12:13], v[14:15], v[47:48], v[12:13]
	;; [unrolled: 2-line block ×5, first 2 shown]
	v_fma_f64 v[12:13], v[21:22], v[47:48], v[12:13]
	v_cvt_f64_f32_e32 v[21:22], v31
	v_fma_f64 v[12:13], v[21:22], v[41:42], v[12:13]
	v_cvt_f64_f32_e32 v[21:22], v32
	v_fma_f64 v[13:14], v[21:22], v[43:44], v[12:13]
	s_andn2_b64 exec, exec, s[14:15]
	s_cbranch_execnz .LBB154_21
; %bb.22:
	s_or_b64 exec, exec, s[14:15]
.LBB154_23:
	s_or_b64 exec, exec, s[10:11]
.LBB154_24:
	s_or_b64 exec, exec, s[8:9]
	s_cbranch_execz .LBB154_26
	s_branch .LBB154_37
.LBB154_25:
                                        ; implicit-def: $vgpr13_vgpr14
                                        ; implicit-def: $vgpr15_vgpr16
                                        ; implicit-def: $vgpr17_vgpr18
                                        ; implicit-def: $vgpr19_vgpr20
.LBB154_26:
	v_mov_b32_e32 v13, 0
	v_mov_b32_e32 v15, 0
	;; [unrolled: 1-line block ×8, first 2 shown]
	s_and_saveexec_b64 s[2:3], s[0:1]
	s_cbranch_execz .LBB154_36
; %bb.27:
	v_add_u32_e32 v1, v27, v25
	v_subrev_u32_e32 v1, s16, v1
	v_add_u32_e32 v1, 64, v1
	v_max_i32_e32 v1, v1, v26
	v_not_b32_e32 v6, v27
	v_add3_u32 v1, s16, v1, v6
	v_sub_u32_e32 v6, v1, v25
	s_movk_i32 s0, 0xc0
	v_and_b32_e32 v1, 0xc0, v6
	v_mov_b32_e32 v19, 0
	v_mov_b32_e32 v17, 0
	;; [unrolled: 1-line block ×8, first 2 shown]
	v_cmp_ne_u32_e32 vcc, s0, v1
	s_and_saveexec_b64 s[8:9], vcc
	s_cbranch_execz .LBB154_31
; %bb.28:
	v_lshrrev_b32_e32 v1, 6, v6
	v_add_u32_e32 v1, 1, v1
	v_and_b32_e32 v1, 3, v1
	v_mov_b32_e32 v13, 0
	v_mov_b32_e32 v15, 0
	;; [unrolled: 1-line block ×4, first 2 shown]
	v_sub_u32_e32 v7, 0, v1
	v_mov_b32_e32 v14, 0
	s_mov_b64 s[10:11], 0
	v_mov_b32_e32 v11, s13
	v_mov_b32_e32 v16, 0
	;; [unrolled: 1-line block ×5, first 2 shown]
.LBB154_29:                             ; =>This Inner Loop Header: Depth=1
	v_ashrrev_i32_e32 v1, 31, v0
	v_lshlrev_b64 v[21:22], 2, v[0:1]
	v_add_co_u32_e64 v7, s[0:1], 1, v7
	v_add_co_u32_e32 v27, vcc, s12, v21
	v_addc_co_u32_e32 v28, vcc, v11, v22, vcc
	global_load_dword v1, v[27:28], off
	global_load_dwordx4 v[21:24], v[4:5], off
	s_or_b64 s[10:11], s[0:1], s[10:11]
	v_add_u32_e32 v0, 64, v0
	s_waitcnt vmcnt(1)
	v_subrev_u32_e32 v1, s16, v1
	v_lshlrev_b32_e32 v27, 2, v1
	v_ashrrev_i32_e32 v28, 31, v27
	v_lshlrev_b64 v[27:28], 3, v[27:28]
	s_waitcnt vmcnt(0)
	v_cvt_f64_f32_e32 v[49:50], v23
	v_add_co_u32_e32 v47, vcc, s6, v27
	v_addc_co_u32_e32 v48, vcc, v12, v28, vcc
	global_load_dwordx4 v[27:30], v[47:48], off
	global_load_dwordx4 v[31:34], v[4:5], off offset:16
	global_load_dwordx4 v[35:38], v[4:5], off offset:32
	;; [unrolled: 1-line block ×4, first 2 shown]
	v_cvt_f64_f32_e32 v[47:48], v21
	v_cvt_f64_f32_e32 v[21:22], v22
	;; [unrolled: 1-line block ×3, first 2 shown]
	v_add_co_u32_e32 v4, vcc, 0x1000, v4
	v_addc_co_u32_e32 v5, vcc, 0, v5, vcc
	s_waitcnt vmcnt(4)
	v_fma_f64 v[19:20], v[47:48], v[27:28], v[19:20]
	v_fma_f64 v[17:18], v[21:22], v[27:28], v[17:18]
	;; [unrolled: 1-line block ×4, first 2 shown]
	s_waitcnt vmcnt(3)
	v_cvt_f64_f32_e32 v[21:22], v31
	v_cvt_f64_f32_e32 v[23:24], v32
	;; [unrolled: 1-line block ×4, first 2 shown]
	v_fma_f64 v[19:20], v[21:22], v[29:30], v[19:20]
	v_fma_f64 v[17:18], v[23:24], v[29:30], v[17:18]
	;; [unrolled: 1-line block ×4, first 2 shown]
	s_waitcnt vmcnt(2)
	v_cvt_f64_f32_e32 v[21:22], v35
	v_cvt_f64_f32_e32 v[23:24], v36
	v_cvt_f64_f32_e32 v[27:28], v37
	v_cvt_f64_f32_e32 v[29:30], v38
	s_waitcnt vmcnt(1)
	v_fma_f64 v[19:20], v[21:22], v[39:40], v[19:20]
	v_fma_f64 v[17:18], v[23:24], v[39:40], v[17:18]
	;; [unrolled: 1-line block ×4, first 2 shown]
	s_waitcnt vmcnt(0)
	v_cvt_f64_f32_e32 v[21:22], v43
	v_cvt_f64_f32_e32 v[23:24], v44
	;; [unrolled: 1-line block ×4, first 2 shown]
	v_fma_f64 v[19:20], v[21:22], v[41:42], v[19:20]
	v_fma_f64 v[17:18], v[23:24], v[41:42], v[17:18]
	v_fma_f64 v[15:16], v[27:28], v[41:42], v[15:16]
	v_fma_f64 v[13:14], v[29:30], v[41:42], v[13:14]
	s_andn2_b64 exec, exec, s[10:11]
	s_cbranch_execnz .LBB154_29
; %bb.30:
	s_or_b64 exec, exec, s[10:11]
.LBB154_31:
	s_or_b64 exec, exec, s[8:9]
	s_movk_i32 s0, 0xbf
	v_cmp_lt_u32_e32 vcc, s0, v6
	s_and_saveexec_b64 s[8:9], vcc
	s_cbranch_execz .LBB154_35
; %bb.32:
	s_mov_b64 s[10:11], 0
	v_mov_b32_e32 v11, s13
	v_mov_b32_e32 v12, s7
	s_movk_i32 s7, 0x1000
	s_movk_i32 s13, 0x2000
	;; [unrolled: 1-line block ×3, first 2 shown]
.LBB154_33:                             ; =>This Inner Loop Header: Depth=1
	global_load_dwordx4 v[21:24], v[4:5], off
	global_load_dwordx4 v[27:30], v[4:5], off offset:16
	v_ashrrev_i32_e32 v1, 31, v0
	v_lshlrev_b64 v[6:7], 2, v[0:1]
	v_add_u32_e32 v0, 0x100, v0
	v_add_co_u32_e32 v6, vcc, s12, v6
	v_addc_co_u32_e32 v7, vcc, v11, v7, vcc
	global_load_dword v1, v[6:7], off
	s_waitcnt vmcnt(2)
	v_cvt_f64_f32_e32 v[31:32], v21
	v_cvt_f64_f32_e32 v[33:34], v22
	;; [unrolled: 1-line block ×4, first 2 shown]
	global_load_dwordx4 v[21:24], v[4:5], off offset:32
	s_waitcnt vmcnt(2)
	v_cvt_f64_f32_e32 v[39:40], v27
	v_cvt_f64_f32_e32 v[27:28], v28
	v_cvt_f64_f32_e32 v[41:42], v29
	v_cvt_f64_f32_e32 v[29:30], v30
	s_waitcnt vmcnt(1)
	v_subrev_u32_e32 v1, s16, v1
	s_waitcnt vmcnt(0)
	v_cvt_f64_f32_e32 v[43:44], v21
	v_lshlrev_b32_e32 v21, 2, v1
	v_cvt_f64_f32_e32 v[45:46], v22
	v_ashrrev_i32_e32 v22, 31, v21
	v_lshlrev_b64 v[21:22], 3, v[21:22]
	v_cvt_f64_f32_e32 v[47:48], v23
	v_add_co_u32_e32 v51, vcc, s6, v21
	v_addc_co_u32_e32 v52, vcc, v12, v22, vcc
	v_cvt_f64_f32_e32 v[49:50], v24
	global_load_dwordx4 v[21:24], v[51:52], off
	global_load_dword v1, v[6:7], off offset:256
	s_waitcnt vmcnt(1)
	v_fma_f64 v[17:18], v[33:34], v[21:22], v[17:18]
	v_fma_f64 v[15:16], v[35:36], v[21:22], v[15:16]
	;; [unrolled: 1-line block ×4, first 2 shown]
	s_waitcnt vmcnt(0)
	v_subrev_u32_e32 v1, s16, v1
	v_add_co_u32_e32 v37, vcc, s7, v4
	v_addc_co_u32_e32 v38, vcc, 0, v5, vcc
	v_fma_f64 v[17:18], v[27:28], v[23:24], v[17:18]
	v_fma_f64 v[27:28], v[41:42], v[23:24], v[15:16]
	global_load_dwordx4 v[13:16], v[4:5], off offset:48
	v_fma_f64 v[19:20], v[39:40], v[23:24], v[19:20]
	v_fma_f64 v[21:22], v[29:30], v[23:24], v[21:22]
	v_add_co_u32_e64 v41, s[0:1], s13, v4
	v_addc_co_u32_e64 v42, vcc, 0, v5, s[0:1]
	v_cmp_ge_i32_e64 s[0:1], v0, v26
	s_or_b64 s[10:11], s[0:1], s[10:11]
	s_waitcnt vmcnt(0)
	v_cvt_f64_f32_e32 v[23:24], v13
	v_cvt_f64_f32_e32 v[29:30], v14
	;; [unrolled: 1-line block ×4, first 2 shown]
	global_load_dwordx4 v[13:16], v[51:52], off offset:16
	s_waitcnt vmcnt(0)
	v_fma_f64 v[35:36], v[43:44], v[13:14], v[19:20]
	v_fma_f64 v[39:40], v[45:46], v[13:14], v[17:18]
	;; [unrolled: 1-line block ×4, first 2 shown]
	global_load_dwordx4 v[17:20], v[41:42], off offset:-4096
	v_fma_f64 v[35:36], v[23:24], v[15:16], v[35:36]
	v_fma_f64 v[29:30], v[29:30], v[15:16], v[39:40]
	global_load_dwordx4 v[21:24], v[37:38], off offset:16
	v_fma_f64 v[33:34], v[33:34], v[15:16], v[13:14]
	v_lshlrev_b32_e32 v13, 2, v1
	v_ashrrev_i32_e32 v14, 31, v13
	v_lshlrev_b64 v[13:14], 3, v[13:14]
	v_fma_f64 v[27:28], v[31:32], v[15:16], v[27:28]
	v_add_co_u32_e32 v49, vcc, s6, v13
	v_addc_co_u32_e32 v50, vcc, v12, v14, vcc
	global_load_dwordx4 v[13:16], v[49:50], off
	global_load_dword v1, v[6:7], off offset:512
	s_waitcnt vmcnt(3)
	v_cvt_f64_f32_e32 v[31:32], v17
	v_cvt_f64_f32_e32 v[17:18], v18
	;; [unrolled: 1-line block ×4, first 2 shown]
	s_waitcnt vmcnt(2)
	v_cvt_f64_f32_e32 v[45:46], v23
	v_cvt_f64_f32_e32 v[47:48], v24
	;; [unrolled: 1-line block ×4, first 2 shown]
	s_waitcnt vmcnt(1)
	v_fma_f64 v[23:24], v[31:32], v[13:14], v[35:36]
	v_fma_f64 v[29:30], v[17:18], v[13:14], v[29:30]
	;; [unrolled: 1-line block ×4, first 2 shown]
	global_load_dwordx4 v[17:20], v[37:38], off offset:32
	s_waitcnt vmcnt(1)
	v_subrev_u32_e32 v1, s16, v1
	v_fma_f64 v[31:32], v[43:44], v[15:16], v[23:24]
	v_fma_f64 v[29:30], v[21:22], v[15:16], v[29:30]
	;; [unrolled: 1-line block ×4, first 2 shown]
	global_load_dwordx4 v[13:16], v[41:42], off
	global_load_dwordx4 v[21:24], v[37:38], off offset:48
	s_waitcnt vmcnt(2)
	v_cvt_f64_f32_e32 v[33:34], v17
	v_cvt_f64_f32_e32 v[17:18], v18
	;; [unrolled: 1-line block ×4, first 2 shown]
	s_waitcnt vmcnt(1)
	v_cvt_f64_f32_e32 v[45:46], v13
	v_cvt_f64_f32_e32 v[47:48], v14
	;; [unrolled: 1-line block ×4, first 2 shown]
	global_load_dwordx4 v[13:16], v[49:50], off offset:16
	s_waitcnt vmcnt(1)
	v_cvt_f64_f32_e32 v[39:40], v21
	v_cvt_f64_f32_e32 v[21:22], v22
	;; [unrolled: 1-line block ×4, first 2 shown]
	s_waitcnt vmcnt(0)
	v_fma_f64 v[31:32], v[33:34], v[13:14], v[31:32]
	v_fma_f64 v[17:18], v[17:18], v[13:14], v[29:30]
	;; [unrolled: 1-line block ×7, first 2 shown]
	global_load_dwordx4 v[17:20], v[41:42], off offset:16
	v_fma_f64 v[23:24], v[23:24], v[15:16], v[13:14]
	global_load_dwordx4 v[13:16], v[41:42], off offset:32
	s_waitcnt vmcnt(1)
	v_cvt_f64_f32_e32 v[33:34], v19
	v_cvt_f64_f32_e32 v[35:36], v20
	s_waitcnt vmcnt(0)
	v_cvt_f64_f32_e32 v[37:38], v13
	v_lshlrev_b32_e32 v13, 2, v1
	v_cvt_f64_f32_e32 v[39:40], v14
	v_ashrrev_i32_e32 v14, 31, v13
	v_lshlrev_b64 v[13:14], 3, v[13:14]
	v_cvt_f64_f32_e32 v[43:44], v15
	v_add_co_u32_e32 v55, vcc, s6, v13
	v_addc_co_u32_e32 v56, vcc, v12, v14, vcc
	v_cvt_f64_f32_e32 v[49:50], v16
	global_load_dwordx4 v[13:16], v[55:56], off
	v_cvt_f64_f32_e32 v[31:32], v17
	v_cvt_f64_f32_e32 v[17:18], v18
	s_waitcnt vmcnt(0)
	v_fma_f64 v[19:20], v[45:46], v[13:14], v[29:30]
	v_fma_f64 v[21:22], v[47:48], v[13:14], v[21:22]
	;; [unrolled: 1-line block ×6, first 2 shown]
	global_load_dwordx4 v[17:20], v[41:42], off offset:48
	v_add_co_u32_e32 v41, vcc, s14, v4
	v_addc_co_u32_e32 v42, vcc, 0, v5, vcc
	v_fma_f64 v[27:28], v[33:34], v[15:16], v[27:28]
	v_fma_f64 v[29:30], v[35:36], v[15:16], v[13:14]
	global_load_dwordx4 v[13:16], v[41:42], off
	s_waitcnt vmcnt(1)
	v_cvt_f64_f32_e32 v[33:34], v19
	v_cvt_f64_f32_e32 v[35:36], v20
	;; [unrolled: 1-line block ×4, first 2 shown]
	s_waitcnt vmcnt(0)
	v_cvt_f64_f32_e32 v[45:46], v13
	v_cvt_f64_f32_e32 v[47:48], v14
	;; [unrolled: 1-line block ×4, first 2 shown]
	global_load_dwordx4 v[13:16], v[55:56], off offset:16
	s_waitcnt vmcnt(0)
	v_fma_f64 v[19:20], v[37:38], v[13:14], v[23:24]
	v_fma_f64 v[21:22], v[39:40], v[13:14], v[21:22]
	;; [unrolled: 1-line block ×6, first 2 shown]
	global_load_dwordx4 v[17:20], v[41:42], off offset:16
	global_load_dword v1, v[6:7], off offset:768
	v_fma_f64 v[6:7], v[35:36], v[15:16], v[13:14]
	v_fma_f64 v[23:24], v[33:34], v[15:16], v[23:24]
	s_waitcnt vmcnt(1)
	v_cvt_f64_f32_e32 v[29:30], v17
	s_waitcnt vmcnt(0)
	v_subrev_u32_e32 v1, s16, v1
	v_lshlrev_b32_e32 v13, 2, v1
	v_ashrrev_i32_e32 v14, 31, v13
	v_lshlrev_b64 v[13:14], 3, v[13:14]
	v_cvt_f64_f32_e32 v[31:32], v18
	v_add_co_u32_e32 v37, vcc, s6, v13
	v_addc_co_u32_e32 v38, vcc, v12, v14, vcc
	global_load_dwordx4 v[13:16], v[37:38], off
	v_cvt_f64_f32_e32 v[33:34], v19
	v_cvt_f64_f32_e32 v[35:36], v20
	global_load_dwordx4 v[17:20], v[41:42], off offset:32
	v_add_co_u32_e32 v4, vcc, 0x4000, v4
	v_addc_co_u32_e32 v5, vcc, 0, v5, vcc
	s_waitcnt vmcnt(1)
	v_fma_f64 v[27:28], v[45:46], v[13:14], v[27:28]
	v_fma_f64 v[39:40], v[47:48], v[13:14], v[21:22]
	;; [unrolled: 1-line block ×3, first 2 shown]
	global_load_dwordx4 v[21:24], v[37:38], off offset:16
	v_fma_f64 v[6:7], v[53:54], v[13:14], v[6:7]
	v_fma_f64 v[13:14], v[29:30], v[15:16], v[27:28]
	global_load_dwordx4 v[27:30], v[41:42], off offset:48
	v_fma_f64 v[31:32], v[31:32], v[15:16], v[39:40]
	v_fma_f64 v[33:34], v[33:34], v[15:16], v[43:44]
	;; [unrolled: 1-line block ×3, first 2 shown]
	s_waitcnt vmcnt(2)
	v_cvt_f64_f32_e32 v[37:38], v17
	v_cvt_f64_f32_e32 v[17:18], v18
	v_cvt_f64_f32_e32 v[15:16], v19
	v_cvt_f64_f32_e32 v[19:20], v20
	s_waitcnt vmcnt(1)
	v_fma_f64 v[13:14], v[37:38], v[21:22], v[13:14]
	v_fma_f64 v[17:18], v[17:18], v[21:22], v[31:32]
	;; [unrolled: 1-line block ×4, first 2 shown]
	s_waitcnt vmcnt(0)
	v_cvt_f64_f32_e32 v[35:36], v27
	v_cvt_f64_f32_e32 v[21:22], v28
	v_cvt_f64_f32_e32 v[27:28], v29
	v_cvt_f64_f32_e32 v[29:30], v30
	v_fma_f64 v[19:20], v[35:36], v[23:24], v[13:14]
	v_fma_f64 v[17:18], v[21:22], v[23:24], v[17:18]
	;; [unrolled: 1-line block ×4, first 2 shown]
	s_andn2_b64 exec, exec, s[10:11]
	s_cbranch_execnz .LBB154_33
; %bb.34:
	s_or_b64 exec, exec, s[10:11]
.LBB154_35:
	s_or_b64 exec, exec, s[8:9]
.LBB154_36:
	s_or_b64 exec, exec, s[2:3]
.LBB154_37:
	v_mov_b32_dpp v0, v19 row_shr:1 row_mask:0xf bank_mask:0xf
	v_mov_b32_dpp v1, v20 row_shr:1 row_mask:0xf bank_mask:0xf
	v_add_f64 v[0:1], v[19:20], v[0:1]
	v_mov_b32_dpp v4, v17 row_shr:1 row_mask:0xf bank_mask:0xf
	v_mov_b32_dpp v5, v18 row_shr:1 row_mask:0xf bank_mask:0xf
	v_add_f64 v[4:5], v[17:18], v[4:5]
	;; [unrolled: 3-line block ×3, first 2 shown]
	v_cmp_eq_u32_e32 vcc, 63, v25
	v_mov_b32_dpp v6, v0 row_shr:2 row_mask:0xf bank_mask:0xf
	v_mov_b32_dpp v7, v1 row_shr:2 row_mask:0xf bank_mask:0xf
	v_add_f64 v[0:1], v[0:1], v[6:7]
	v_mov_b32_dpp v6, v15 row_shr:1 row_mask:0xf bank_mask:0xf
	v_mov_b32_dpp v7, v16 row_shr:1 row_mask:0xf bank_mask:0xf
	v_add_f64 v[6:7], v[15:16], v[6:7]
	v_mov_b32_dpp v13, v4 row_shr:2 row_mask:0xf bank_mask:0xf
	v_mov_b32_dpp v14, v0 row_shr:4 row_mask:0xf bank_mask:0xe
	v_mov_b32_dpp v15, v1 row_shr:4 row_mask:0xf bank_mask:0xe
	v_add_f64 v[0:1], v[0:1], v[14:15]
	v_mov_b32_dpp v14, v5 row_shr:2 row_mask:0xf bank_mask:0xf
	;; [unrolled: 4-line block ×3, first 2 shown]
	v_add_f64 v[6:7], v[6:7], v[15:16]
	v_mov_b32_dpp v14, v12 row_shr:2 row_mask:0xf bank_mask:0xf
	v_add_f64 v[11:12], v[11:12], v[13:14]
	v_mov_b32_dpp v15, v0 row_shr:8 row_mask:0xf bank_mask:0xc
	v_mov_b32_dpp v16, v1 row_shr:8 row_mask:0xf bank_mask:0xc
	v_add_f64 v[0:1], v[0:1], v[15:16]
	v_mov_b32_dpp v13, v4 row_shr:4 row_mask:0xf bank_mask:0xe
	v_mov_b32_dpp v14, v5 row_shr:4 row_mask:0xf bank_mask:0xe
	;; [unrolled: 1-line block ×3, first 2 shown]
	v_add_f64 v[4:5], v[4:5], v[13:14]
	v_mov_b32_dpp v16, v7 row_shr:4 row_mask:0xf bank_mask:0xe
	v_add_f64 v[6:7], v[6:7], v[15:16]
	v_mov_b32_dpp v14, v11 row_shr:4 row_mask:0xf bank_mask:0xe
	v_mov_b32_dpp v15, v12 row_shr:4 row_mask:0xf bank_mask:0xe
	v_add_f64 v[11:12], v[11:12], v[14:15]
	v_mov_b32_dpp v13, v0 row_bcast:15 row_mask:0xa bank_mask:0xf
	v_mov_b32_dpp v14, v1 row_bcast:15 row_mask:0xa bank_mask:0xf
	v_mov_b32_dpp v15, v4 row_shr:8 row_mask:0xf bank_mask:0xc
	v_mov_b32_dpp v16, v5 row_shr:8 row_mask:0xf bank_mask:0xc
	v_add_f64 v[4:5], v[4:5], v[15:16]
	v_mov_b32_dpp v15, v6 row_shr:8 row_mask:0xf bank_mask:0xc
	v_mov_b32_dpp v16, v7 row_shr:8 row_mask:0xf bank_mask:0xc
	v_add_f64 v[6:7], v[6:7], v[15:16]
	;; [unrolled: 3-line block ×3, first 2 shown]
	v_add_f64 v[0:1], v[0:1], v[13:14]
	v_mov_b32_dpp v13, v4 row_bcast:15 row_mask:0xa bank_mask:0xf
	v_mov_b32_dpp v14, v5 row_bcast:15 row_mask:0xa bank_mask:0xf
	v_add_f64 v[4:5], v[4:5], v[13:14]
	v_mov_b32_dpp v13, v6 row_bcast:15 row_mask:0xa bank_mask:0xf
	v_mov_b32_dpp v14, v7 row_bcast:15 row_mask:0xa bank_mask:0xf
	;; [unrolled: 3-line block ×4, first 2 shown]
	v_mov_b32_dpp v17, v4 row_bcast:31 row_mask:0xc bank_mask:0xf
	v_mov_b32_dpp v18, v5 row_bcast:31 row_mask:0xc bank_mask:0xf
	;; [unrolled: 1-line block ×6, first 2 shown]
	s_and_b64 exec, exec, vcc
	s_cbranch_execz .LBB154_10
; %bb.38:
	v_add_f64 v[0:1], v[0:1], v[19:20]
	v_add_f64 v[17:18], v[4:5], v[17:18]
	;; [unrolled: 1-line block ×4, first 2 shown]
	v_cmp_eq_f64_e32 vcc, 0, v[8:9]
	s_load_dwordx2 s[0:1], s[4:5], 0x50
	v_lshlrev_b32_e32 v10, 2, v10
	v_mul_f64 v[4:5], v[2:3], v[0:1]
	v_mul_f64 v[6:7], v[2:3], v[17:18]
	;; [unrolled: 1-line block ×4, first 2 shown]
	s_and_saveexec_b64 s[2:3], vcc
	s_xor_b64 s[2:3], exec, s[2:3]
	s_cbranch_execz .LBB154_40
; %bb.39:
	v_ashrrev_i32_e32 v11, 31, v10
	v_lshlrev_b64 v[8:9], 3, v[10:11]
	s_waitcnt lgkmcnt(0)
	v_mov_b32_e32 v10, s1
	v_add_co_u32_e32 v8, vcc, s0, v8
	v_addc_co_u32_e32 v9, vcc, v10, v9, vcc
	global_store_dwordx4 v[8:9], v[4:7], off
	global_store_dwordx4 v[8:9], v[0:3], off offset:16
                                        ; implicit-def: $vgpr10
                                        ; implicit-def: $vgpr8_vgpr9
                                        ; implicit-def: $vgpr4_vgpr5
                                        ; implicit-def: $vgpr0_vgpr1
.LBB154_40:
	s_andn2_saveexec_b64 s[2:3], s[2:3]
	s_cbranch_execz .LBB154_10
; %bb.41:
	v_ashrrev_i32_e32 v11, 31, v10
	v_lshlrev_b64 v[10:11], 3, v[10:11]
	s_waitcnt lgkmcnt(0)
	v_mov_b32_e32 v12, s1
	v_add_co_u32_e32 v18, vcc, s0, v10
	v_addc_co_u32_e32 v19, vcc, v12, v11, vcc
	global_load_dwordx4 v[10:13], v[18:19], off
	global_load_dwordx4 v[14:17], v[18:19], off offset:16
	s_waitcnt vmcnt(1)
	v_fma_f64 v[4:5], v[8:9], v[10:11], v[4:5]
	v_fma_f64 v[6:7], v[8:9], v[12:13], v[6:7]
	s_waitcnt vmcnt(0)
	v_fma_f64 v[0:1], v[8:9], v[14:15], v[0:1]
	v_fma_f64 v[2:3], v[8:9], v[16:17], v[2:3]
	global_store_dwordx4 v[18:19], v[4:7], off
	global_store_dwordx4 v[18:19], v[0:3], off offset:16
	s_endpgm
	.section	.rodata,"a",@progbits
	.p2align	6, 0x0
	.amdhsa_kernel _ZN9rocsparseL18bsrxmvn_4x4_kernelILj128ELj64EdiifddEEvT3_20rocsparse_direction_NS_24const_host_device_scalarIT1_EES1_PKS1_PKT2_SA_S7_PKT4_PKT5_S5_PT6_21rocsparse_index_base_b
		.amdhsa_group_segment_fixed_size 0
		.amdhsa_private_segment_fixed_size 0
		.amdhsa_kernarg_size 96
		.amdhsa_user_sgpr_count 6
		.amdhsa_user_sgpr_private_segment_buffer 1
		.amdhsa_user_sgpr_dispatch_ptr 0
		.amdhsa_user_sgpr_queue_ptr 0
		.amdhsa_user_sgpr_kernarg_segment_ptr 1
		.amdhsa_user_sgpr_dispatch_id 0
		.amdhsa_user_sgpr_flat_scratch_init 0
		.amdhsa_user_sgpr_private_segment_size 0
		.amdhsa_uses_dynamic_stack 0
		.amdhsa_system_sgpr_private_segment_wavefront_offset 0
		.amdhsa_system_sgpr_workgroup_id_x 1
		.amdhsa_system_sgpr_workgroup_id_y 0
		.amdhsa_system_sgpr_workgroup_id_z 0
		.amdhsa_system_sgpr_workgroup_info 0
		.amdhsa_system_vgpr_workitem_id 0
		.amdhsa_next_free_vgpr 60
		.amdhsa_next_free_sgpr 20
		.amdhsa_reserve_vcc 1
		.amdhsa_reserve_flat_scratch 0
		.amdhsa_float_round_mode_32 0
		.amdhsa_float_round_mode_16_64 0
		.amdhsa_float_denorm_mode_32 3
		.amdhsa_float_denorm_mode_16_64 3
		.amdhsa_dx10_clamp 1
		.amdhsa_ieee_mode 1
		.amdhsa_fp16_overflow 0
		.amdhsa_exception_fp_ieee_invalid_op 0
		.amdhsa_exception_fp_denorm_src 0
		.amdhsa_exception_fp_ieee_div_zero 0
		.amdhsa_exception_fp_ieee_overflow 0
		.amdhsa_exception_fp_ieee_underflow 0
		.amdhsa_exception_fp_ieee_inexact 0
		.amdhsa_exception_int_div_zero 0
	.end_amdhsa_kernel
	.section	.text._ZN9rocsparseL18bsrxmvn_4x4_kernelILj128ELj64EdiifddEEvT3_20rocsparse_direction_NS_24const_host_device_scalarIT1_EES1_PKS1_PKT2_SA_S7_PKT4_PKT5_S5_PT6_21rocsparse_index_base_b,"axG",@progbits,_ZN9rocsparseL18bsrxmvn_4x4_kernelILj128ELj64EdiifddEEvT3_20rocsparse_direction_NS_24const_host_device_scalarIT1_EES1_PKS1_PKT2_SA_S7_PKT4_PKT5_S5_PT6_21rocsparse_index_base_b,comdat
.Lfunc_end154:
	.size	_ZN9rocsparseL18bsrxmvn_4x4_kernelILj128ELj64EdiifddEEvT3_20rocsparse_direction_NS_24const_host_device_scalarIT1_EES1_PKS1_PKT2_SA_S7_PKT4_PKT5_S5_PT6_21rocsparse_index_base_b, .Lfunc_end154-_ZN9rocsparseL18bsrxmvn_4x4_kernelILj128ELj64EdiifddEEvT3_20rocsparse_direction_NS_24const_host_device_scalarIT1_EES1_PKS1_PKT2_SA_S7_PKT4_PKT5_S5_PT6_21rocsparse_index_base_b
                                        ; -- End function
	.set _ZN9rocsparseL18bsrxmvn_4x4_kernelILj128ELj64EdiifddEEvT3_20rocsparse_direction_NS_24const_host_device_scalarIT1_EES1_PKS1_PKT2_SA_S7_PKT4_PKT5_S5_PT6_21rocsparse_index_base_b.num_vgpr, 60
	.set _ZN9rocsparseL18bsrxmvn_4x4_kernelILj128ELj64EdiifddEEvT3_20rocsparse_direction_NS_24const_host_device_scalarIT1_EES1_PKS1_PKT2_SA_S7_PKT4_PKT5_S5_PT6_21rocsparse_index_base_b.num_agpr, 0
	.set _ZN9rocsparseL18bsrxmvn_4x4_kernelILj128ELj64EdiifddEEvT3_20rocsparse_direction_NS_24const_host_device_scalarIT1_EES1_PKS1_PKT2_SA_S7_PKT4_PKT5_S5_PT6_21rocsparse_index_base_b.numbered_sgpr, 20
	.set _ZN9rocsparseL18bsrxmvn_4x4_kernelILj128ELj64EdiifddEEvT3_20rocsparse_direction_NS_24const_host_device_scalarIT1_EES1_PKS1_PKT2_SA_S7_PKT4_PKT5_S5_PT6_21rocsparse_index_base_b.num_named_barrier, 0
	.set _ZN9rocsparseL18bsrxmvn_4x4_kernelILj128ELj64EdiifddEEvT3_20rocsparse_direction_NS_24const_host_device_scalarIT1_EES1_PKS1_PKT2_SA_S7_PKT4_PKT5_S5_PT6_21rocsparse_index_base_b.private_seg_size, 0
	.set _ZN9rocsparseL18bsrxmvn_4x4_kernelILj128ELj64EdiifddEEvT3_20rocsparse_direction_NS_24const_host_device_scalarIT1_EES1_PKS1_PKT2_SA_S7_PKT4_PKT5_S5_PT6_21rocsparse_index_base_b.uses_vcc, 1
	.set _ZN9rocsparseL18bsrxmvn_4x4_kernelILj128ELj64EdiifddEEvT3_20rocsparse_direction_NS_24const_host_device_scalarIT1_EES1_PKS1_PKT2_SA_S7_PKT4_PKT5_S5_PT6_21rocsparse_index_base_b.uses_flat_scratch, 0
	.set _ZN9rocsparseL18bsrxmvn_4x4_kernelILj128ELj64EdiifddEEvT3_20rocsparse_direction_NS_24const_host_device_scalarIT1_EES1_PKS1_PKT2_SA_S7_PKT4_PKT5_S5_PT6_21rocsparse_index_base_b.has_dyn_sized_stack, 0
	.set _ZN9rocsparseL18bsrxmvn_4x4_kernelILj128ELj64EdiifddEEvT3_20rocsparse_direction_NS_24const_host_device_scalarIT1_EES1_PKS1_PKT2_SA_S7_PKT4_PKT5_S5_PT6_21rocsparse_index_base_b.has_recursion, 0
	.set _ZN9rocsparseL18bsrxmvn_4x4_kernelILj128ELj64EdiifddEEvT3_20rocsparse_direction_NS_24const_host_device_scalarIT1_EES1_PKS1_PKT2_SA_S7_PKT4_PKT5_S5_PT6_21rocsparse_index_base_b.has_indirect_call, 0
	.section	.AMDGPU.csdata,"",@progbits
; Kernel info:
; codeLenInByte = 5060
; TotalNumSgprs: 24
; NumVgprs: 60
; ScratchSize: 0
; MemoryBound: 0
; FloatMode: 240
; IeeeMode: 1
; LDSByteSize: 0 bytes/workgroup (compile time only)
; SGPRBlocks: 2
; VGPRBlocks: 14
; NumSGPRsForWavesPerEU: 24
; NumVGPRsForWavesPerEU: 60
; Occupancy: 4
; WaveLimiterHint : 1
; COMPUTE_PGM_RSRC2:SCRATCH_EN: 0
; COMPUTE_PGM_RSRC2:USER_SGPR: 6
; COMPUTE_PGM_RSRC2:TRAP_HANDLER: 0
; COMPUTE_PGM_RSRC2:TGID_X_EN: 1
; COMPUTE_PGM_RSRC2:TGID_Y_EN: 0
; COMPUTE_PGM_RSRC2:TGID_Z_EN: 0
; COMPUTE_PGM_RSRC2:TIDIG_COMP_CNT: 0
	.section	.text._ZN9rocsparseL18bsrxmvn_4x4_kernelILj128ELj4EdlifddEEvT3_20rocsparse_direction_NS_24const_host_device_scalarIT1_EES1_PKS1_PKT2_SA_S7_PKT4_PKT5_S5_PT6_21rocsparse_index_base_b,"axG",@progbits,_ZN9rocsparseL18bsrxmvn_4x4_kernelILj128ELj4EdlifddEEvT3_20rocsparse_direction_NS_24const_host_device_scalarIT1_EES1_PKS1_PKT2_SA_S7_PKT4_PKT5_S5_PT6_21rocsparse_index_base_b,comdat
	.globl	_ZN9rocsparseL18bsrxmvn_4x4_kernelILj128ELj4EdlifddEEvT3_20rocsparse_direction_NS_24const_host_device_scalarIT1_EES1_PKS1_PKT2_SA_S7_PKT4_PKT5_S5_PT6_21rocsparse_index_base_b ; -- Begin function _ZN9rocsparseL18bsrxmvn_4x4_kernelILj128ELj4EdlifddEEvT3_20rocsparse_direction_NS_24const_host_device_scalarIT1_EES1_PKS1_PKT2_SA_S7_PKT4_PKT5_S5_PT6_21rocsparse_index_base_b
	.p2align	8
	.type	_ZN9rocsparseL18bsrxmvn_4x4_kernelILj128ELj4EdlifddEEvT3_20rocsparse_direction_NS_24const_host_device_scalarIT1_EES1_PKS1_PKT2_SA_S7_PKT4_PKT5_S5_PT6_21rocsparse_index_base_b,@function
_ZN9rocsparseL18bsrxmvn_4x4_kernelILj128ELj4EdlifddEEvT3_20rocsparse_direction_NS_24const_host_device_scalarIT1_EES1_PKS1_PKT2_SA_S7_PKT4_PKT5_S5_PT6_21rocsparse_index_base_b: ; @_ZN9rocsparseL18bsrxmvn_4x4_kernelILj128ELj4EdlifddEEvT3_20rocsparse_direction_NS_24const_host_device_scalarIT1_EES1_PKS1_PKT2_SA_S7_PKT4_PKT5_S5_PT6_21rocsparse_index_base_b
; %bb.0:
	s_load_dwordx2 s[16:17], s[4:5], 0x58
	s_load_dwordx2 s[8:9], s[4:5], 0x8
	;; [unrolled: 1-line block ×3, first 2 shown]
	s_waitcnt lgkmcnt(0)
	s_bitcmp1_b32 s17, 0
	s_cselect_b64 s[10:11], -1, 0
	v_mov_b32_e32 v2, s8
	s_xor_b64 s[2:3], s[10:11], -1
	s_and_b64 vcc, exec, s[10:11]
	v_mov_b32_e32 v3, s9
	s_cbranch_vccnz .LBB155_2
; %bb.1:
	v_mov_b32_e32 v1, s8
	v_mov_b32_e32 v2, s9
	flat_load_dwordx2 v[2:3], v[1:2]
.LBB155_2:
	v_mov_b32_e32 v9, s1
	s_andn2_b64 vcc, exec, s[2:3]
	v_mov_b32_e32 v8, s0
	s_cbranch_vccnz .LBB155_4
; %bb.3:
	v_mov_b32_e32 v5, s1
	v_mov_b32_e32 v4, s0
	flat_load_dwordx2 v[8:9], v[4:5]
.LBB155_4:
	s_waitcnt vmcnt(0) lgkmcnt(0)
	v_cmp_neq_f64_e32 vcc, 0, v[2:3]
	v_cmp_neq_f64_e64 s[0:1], 1.0, v[8:9]
	s_mov_b64 s[2:3], 0
	s_or_b64 s[0:1], vcc, s[0:1]
	s_and_saveexec_b64 s[8:9], s[0:1]
	s_cbranch_execz .LBB155_10
; %bb.5:
	s_load_dwordx2 s[8:9], s[4:5], 0x18
	s_load_dwordx2 s[0:1], s[4:5], 0x0
	v_lshrrev_b32_e32 v1, 2, v0
	v_lshl_or_b32 v10, s6, 5, v1
	s_mov_b64 s[6:7], 0
	s_waitcnt lgkmcnt(0)
	s_cmp_lg_u64 s[8:9], 0
	s_cbranch_scc0 .LBB155_11
; %bb.6:
	s_load_dword s2, s[4:5], 0x10
                                        ; implicit-def: $vgpr1
	s_waitcnt lgkmcnt(0)
	v_cmp_gt_i32_e32 vcc, s2, v10
	s_and_saveexec_b64 s[2:3], vcc
	s_xor_b64 s[2:3], exec, s[2:3]
	s_cbranch_execz .LBB155_8
; %bb.7:
	v_ashrrev_i32_e32 v11, 31, v10
	v_lshlrev_b64 v[4:5], 2, v[10:11]
	v_mov_b32_e32 v1, s9
	v_add_co_u32_e32 v4, vcc, s8, v4
	v_addc_co_u32_e32 v5, vcc, v1, v5, vcc
	global_load_dword v1, v[4:5], off
	s_mov_b64 s[6:7], exec
	s_waitcnt vmcnt(0)
	v_subrev_u32_e32 v1, s16, v1
.LBB155_8:
	s_or_b64 exec, exec, s[2:3]
	s_mov_b64 s[2:3], s[6:7]
	s_branch .LBB155_12
.LBB155_9:
	v_cmp_gt_i32_e32 vcc, s0, v10
	s_andn2_b64 s[2:3], s[2:3], exec
	s_and_b64 s[6:7], vcc, exec
	s_or_b64 s[2:3], s[2:3], s[6:7]
	s_and_b64 exec, exec, s[2:3]
	s_cbranch_execnz .LBB155_13
.LBB155_10:
	s_endpgm
.LBB155_11:
                                        ; implicit-def: $vgpr1
	s_cbranch_execnz .LBB155_9
.LBB155_12:
	v_mov_b32_e32 v10, v1
	s_and_b64 exec, exec, s[2:3]
	s_cbranch_execz .LBB155_10
.LBB155_13:
	s_load_dwordx8 s[8:15], s[4:5], 0x20
	v_ashrrev_i32_e32 v11, 31, v10
	v_lshlrev_b64 v[4:5], 3, v[10:11]
	v_and_b32_e32 v31, 3, v0
	s_waitcnt lgkmcnt(0)
	v_mov_b32_e32 v1, s9
	v_add_co_u32_e32 v6, vcc, s8, v4
	v_addc_co_u32_e32 v7, vcc, v1, v5, vcc
	v_add_co_u32_e32 v1, vcc, 8, v6
	global_load_dwordx2 v[11:12], v[6:7], off
	v_addc_co_u32_e32 v6, vcc, 0, v7, vcc
	v_mov_b32_e32 v7, s11
	v_add_co_u32_e32 v4, vcc, s10, v4
	s_cmp_eq_u64 s[10:11], 0
	v_addc_co_u32_e32 v5, vcc, v7, v5, vcc
	s_cselect_b64 vcc, -1, 0
	v_cndmask_b32_e32 v5, v5, v6, vcc
	v_cndmask_b32_e32 v4, v4, v1, vcc
	global_load_dwordx2 v[4:5], v[4:5], off
	s_load_dwordx2 s[10:11], s[4:5], 0x40
	v_mov_b32_e32 v13, s15
	s_cmp_eq_u32 s1, 1
	s_waitcnt vmcnt(1)
	v_subrev_co_u32_e32 v0, vcc, s16, v11
	v_subbrev_co_u32_e32 v1, vcc, 0, v12, vcc
	v_add_co_u32_e32 v0, vcc, v0, v31
	v_addc_co_u32_e32 v1, vcc, 0, v1, vcc
	v_lshlrev_b64 v[6:7], 6, v[0:1]
	s_waitcnt vmcnt(0)
	v_subrev_co_u32_e32 v4, vcc, s16, v4
	v_subbrev_co_u32_e32 v5, vcc, 0, v5, vcc
	v_cmp_lt_i64_e64 s[0:1], v[0:1], v[4:5]
	v_add_co_u32_e32 v6, vcc, s14, v6
	v_addc_co_u32_e32 v7, vcc, v13, v7, vcc
	s_cbranch_scc1 .LBB155_25
; %bb.14:
	v_mov_b32_e32 v17, 0
	v_mov_b32_e32 v19, 0
	;; [unrolled: 1-line block ×8, first 2 shown]
	s_and_saveexec_b64 s[14:15], s[0:1]
	s_cbranch_execz .LBB155_24
; %bb.15:
	v_or_b32_e32 v13, 4, v31
	v_subrev_co_u32_e32 v13, vcc, s16, v13
	v_subb_co_u32_e64 v14, s[2:3], 0, 0, vcc
	v_add_co_u32_e32 v13, vcc, v13, v11
	v_addc_co_u32_e32 v14, vcc, v14, v12, vcc
	v_cmp_gt_i64_e32 vcc, v[13:14], v[4:5]
	v_not_b32_e32 v16, v11
	v_cndmask_b32_e32 v14, v5, v14, vcc
	v_cndmask_b32_e32 v13, v4, v13, vcc
	v_sub_co_u32_e32 v17, vcc, s16, v31
	v_not_b32_e32 v15, v12
	v_subb_co_u32_e64 v18, s[2:3], 0, 0, vcc
	v_add_co_u32_e32 v16, vcc, v17, v16
	v_addc_co_u32_e32 v15, vcc, v18, v15, vcc
	v_add_co_u32_e32 v21, vcc, v16, v13
	v_addc_co_u32_e32 v22, vcc, v15, v14, vcc
	v_and_b32_e32 v13, 12, v21
	v_mov_b32_e32 v14, 0
	v_cmp_ne_u64_e32 vcc, 12, v[13:14]
	v_mov_b32_e32 v25, 0
	v_mov_b32_e32 v23, 0
	;; [unrolled: 1-line block ×12, first 2 shown]
	s_and_saveexec_b64 s[18:19], vcc
	s_cbranch_execz .LBB155_19
; %bb.16:
	v_lshrrev_b32_e32 v13, 2, v21
	v_add_u32_e32 v13, 1, v13
	v_and_b32_e32 v15, 3, v13
	v_lshlrev_b64 v[13:14], 2, v[0:1]
	v_mov_b32_e32 v16, s13
	v_add_co_u32_e32 v27, vcc, s12, v13
	v_addc_co_u32_e32 v28, vcc, v16, v14, vcc
	v_sub_co_u32_e32 v29, vcc, 0, v15
	v_mov_b32_e32 v17, 0
	v_mov_b32_e32 v14, v7
	;; [unrolled: 1-line block ×6, first 2 shown]
	s_mov_b64 s[20:21], 0
	v_subb_co_u32_e64 v30, s[2:3], 0, 0, vcc
	v_mov_b32_e32 v18, 0
	s_movk_i32 s17, 0x100
	s_waitcnt lgkmcnt(0)
	v_mov_b32_e32 v32, s11
	v_mov_b32_e32 v13, v6
	;; [unrolled: 1-line block ×6, first 2 shown]
.LBB155_17:                             ; =>This Inner Loop Header: Depth=1
	global_load_dword v45, v[27:28], off
	global_load_dwordx4 v[33:36], v[13:14], off
	global_load_dwordx4 v[37:40], v[13:14], off offset:16
	global_load_dwordx4 v[41:44], v[13:14], off offset:32
	v_add_co_u32_e64 v15, s[2:3], 4, v15
	v_add_co_u32_e64 v27, s[6:7], 16, v27
	;; [unrolled: 1-line block ×3, first 2 shown]
	v_addc_co_u32_e64 v16, s[2:3], 0, v16, s[2:3]
	v_addc_co_u32_e64 v28, s[2:3], 0, v28, s[6:7]
	;; [unrolled: 1-line block ×3, first 2 shown]
	v_cmp_eq_u64_e64 s[2:3], 0, v[29:30]
	s_or_b64 s[20:21], s[2:3], s[20:21]
	s_waitcnt vmcnt(3)
	v_subrev_u32_e32 v45, s16, v45
	v_lshlrev_b32_e32 v45, 2, v45
	v_ashrrev_i32_e32 v46, 31, v45
	v_lshlrev_b64 v[45:46], 3, v[45:46]
	s_waitcnt vmcnt(2)
	v_cvt_f64_f32_e32 v[49:50], v33
	v_add_co_u32_e32 v51, vcc, s10, v45
	v_addc_co_u32_e32 v52, vcc, v32, v46, vcc
	global_load_dwordx4 v[45:48], v[51:52], off
	v_cvt_f64_f32_e32 v[33:34], v34
	s_waitcnt vmcnt(0)
	v_fma_f64 v[49:50], v[49:50], v[45:46], v[25:26]
	v_cvt_f64_f32_e32 v[25:26], v37
	v_fma_f64 v[53:54], v[25:26], v[45:46], v[23:24]
	v_cvt_f64_f32_e32 v[23:24], v41
	v_fma_f64 v[19:20], v[23:24], v[45:46], v[19:20]
	global_load_dwordx4 v[23:26], v[13:14], off offset:48
	v_add_co_u32_e32 v13, vcc, s17, v13
	v_addc_co_u32_e32 v14, vcc, 0, v14, vcc
	s_waitcnt vmcnt(0)
	v_cvt_f64_f32_e32 v[55:56], v23
	v_cvt_f64_f32_e32 v[23:24], v24
	v_fma_f64 v[17:18], v[55:56], v[45:46], v[17:18]
	v_fma_f64 v[45:46], v[33:34], v[47:48], v[49:50]
	v_cvt_f64_f32_e32 v[33:34], v38
	v_fma_f64 v[37:38], v[33:34], v[47:48], v[53:54]
	v_cvt_f64_f32_e32 v[33:34], v42
	;; [unrolled: 2-line block ×3, first 2 shown]
	v_cvt_f64_f32_e32 v[41:42], v36
	v_fma_f64 v[19:20], v[33:34], v[47:48], v[19:20]
	global_load_dwordx4 v[33:36], v[51:52], off offset:16
	s_waitcnt vmcnt(0)
	v_fma_f64 v[23:24], v[23:24], v[33:34], v[45:46]
	v_cvt_f64_f32_e32 v[45:46], v39
	v_fma_f64 v[37:38], v[45:46], v[33:34], v[37:38]
	v_cvt_f64_f32_e32 v[45:46], v43
	;; [unrolled: 2-line block ×4, first 2 shown]
	v_cvt_f64_f32_e32 v[39:40], v44
	v_cvt_f64_f32_e32 v[43:44], v26
	v_fma_f64 v[25:26], v[41:42], v[35:36], v[23:24]
	v_fma_f64 v[23:24], v[33:34], v[35:36], v[37:38]
	;; [unrolled: 1-line block ×4, first 2 shown]
	s_andn2_b64 exec, exec, s[20:21]
	s_cbranch_execnz .LBB155_17
; %bb.18:
	s_or_b64 exec, exec, s[20:21]
.LBB155_19:
	s_or_b64 exec, exec, s[18:19]
	v_cmp_lt_u64_e32 vcc, 11, v[21:22]
	s_and_saveexec_b64 s[2:3], vcc
	s_cbranch_execz .LBB155_23
; %bb.20:
	v_lshlrev_b64 v[21:22], 2, v[15:16]
	v_mov_b32_e32 v27, s13
	v_add_co_u32_e32 v21, vcc, s12, v21
	v_addc_co_u32_e32 v22, vcc, v27, v22, vcc
	v_add_co_u32_e32 v21, vcc, 32, v21
	v_addc_co_u32_e32 v22, vcc, 0, v22, vcc
	s_mov_b64 s[6:7], 0
	s_waitcnt lgkmcnt(0)
	v_mov_b32_e32 v27, s11
	s_movk_i32 s8, 0x400
.LBB155_21:                             ; =>This Inner Loop Header: Depth=1
	global_load_dword v28, v[21:22], off offset:-32
	global_load_dwordx4 v[32:35], v[13:14], off offset:48
	global_load_dwordx4 v[36:39], v[13:14], off offset:32
	;; [unrolled: 1-line block ×3, first 2 shown]
	global_load_dwordx4 v[44:47], v[13:14], off
	s_waitcnt vmcnt(4)
	v_subrev_u32_e32 v28, s16, v28
	v_lshlrev_b32_e32 v28, 2, v28
	v_ashrrev_i32_e32 v29, 31, v28
	v_lshlrev_b64 v[28:29], 3, v[28:29]
	s_waitcnt vmcnt(0)
	v_cvt_f64_f32_e32 v[56:57], v44
	v_add_co_u32_e32 v28, vcc, s10, v28
	v_addc_co_u32_e32 v29, vcc, v27, v29, vcc
	global_load_dwordx4 v[48:51], v[28:29], off offset:16
	global_load_dwordx4 v[52:55], v[28:29], off
	v_cvt_f64_f32_e32 v[28:29], v45
	s_waitcnt vmcnt(0)
	v_fma_f64 v[25:26], v[56:57], v[52:53], v[25:26]
	v_fma_f64 v[25:26], v[28:29], v[54:55], v[25:26]
	v_cvt_f64_f32_e32 v[28:29], v46
	v_fma_f64 v[25:26], v[28:29], v[48:49], v[25:26]
	v_cvt_f64_f32_e32 v[28:29], v47
	;; [unrolled: 2-line block ×14, first 2 shown]
	v_fma_f64 v[48:49], v[19:20], v[50:51], v[17:18]
	global_load_dword v17, v[21:22], off offset:-16
	s_waitcnt vmcnt(0)
	v_subrev_u32_e32 v17, s16, v17
	v_lshlrev_b32_e32 v40, 2, v17
	v_ashrrev_i32_e32 v41, 31, v40
	global_load_dwordx4 v[17:20], v[13:14], off offset:304
	global_load_dwordx4 v[23:26], v[13:14], off offset:288
	;; [unrolled: 1-line block ×4, first 2 shown]
	v_lshlrev_b64 v[40:41], 3, v[40:41]
	v_add_co_u32_e32 v52, vcc, s10, v40
	v_addc_co_u32_e32 v53, vcc, v27, v41, vcc
	global_load_dwordx4 v[40:43], v[52:53], off offset:16
	global_load_dwordx4 v[44:47], v[52:53], off
	s_waitcnt vmcnt(2)
	v_cvt_f64_f32_e32 v[50:51], v36
	v_cvt_f64_f32_e32 v[36:37], v37
	s_waitcnt vmcnt(0)
	v_fma_f64 v[28:29], v[50:51], v[44:45], v[28:29]
	v_fma_f64 v[28:29], v[36:37], v[46:47], v[28:29]
	v_cvt_f64_f32_e32 v[36:37], v38
	v_fma_f64 v[28:29], v[36:37], v[40:41], v[28:29]
	v_cvt_f64_f32_e32 v[36:37], v39
	;; [unrolled: 2-line block ×3, first 2 shown]
	v_cvt_f64_f32_e32 v[32:33], v33
	v_fma_f64 v[36:37], v[36:37], v[44:45], v[56:57]
	v_fma_f64 v[32:33], v[32:33], v[46:47], v[36:37]
	v_cvt_f64_f32_e32 v[36:37], v34
	v_cvt_f64_f32_e32 v[34:35], v35
	v_fma_f64 v[32:33], v[36:37], v[40:41], v[32:33]
	v_fma_f64 v[50:51], v[34:35], v[42:43], v[32:33]
	v_cvt_f64_f32_e32 v[32:33], v23
	v_cvt_f64_f32_e32 v[23:24], v24
	v_fma_f64 v[32:33], v[32:33], v[44:45], v[58:59]
	v_fma_f64 v[23:24], v[23:24], v[46:47], v[32:33]
	v_cvt_f64_f32_e32 v[32:33], v25
	v_cvt_f64_f32_e32 v[25:26], v26
	v_fma_f64 v[23:24], v[32:33], v[40:41], v[23:24]
	v_fma_f64 v[52:53], v[25:26], v[42:43], v[23:24]
	v_cvt_f64_f32_e32 v[23:24], v17
	v_cvt_f64_f32_e32 v[17:18], v18
	v_fma_f64 v[23:24], v[23:24], v[44:45], v[48:49]
	v_fma_f64 v[17:18], v[17:18], v[46:47], v[23:24]
	v_cvt_f64_f32_e32 v[23:24], v19
	v_cvt_f64_f32_e32 v[19:20], v20
	v_fma_f64 v[17:18], v[23:24], v[40:41], v[17:18]
	v_fma_f64 v[48:49], v[19:20], v[42:43], v[17:18]
	global_load_dword v17, v[21:22], off
	s_waitcnt vmcnt(0)
	v_subrev_u32_e32 v17, s16, v17
	v_lshlrev_b32_e32 v40, 2, v17
	v_ashrrev_i32_e32 v41, 31, v40
	global_load_dwordx4 v[17:20], v[13:14], off offset:560
	global_load_dwordx4 v[23:26], v[13:14], off offset:544
	;; [unrolled: 1-line block ×4, first 2 shown]
	v_lshlrev_b64 v[40:41], 3, v[40:41]
	v_add_co_u32_e32 v56, vcc, s10, v40
	v_addc_co_u32_e32 v57, vcc, v27, v41, vcc
	global_load_dwordx4 v[40:43], v[56:57], off offset:16
	global_load_dwordx4 v[44:47], v[56:57], off
	s_waitcnt vmcnt(2)
	v_cvt_f64_f32_e32 v[54:55], v36
	v_cvt_f64_f32_e32 v[36:37], v37
	s_waitcnt vmcnt(0)
	v_fma_f64 v[28:29], v[54:55], v[44:45], v[28:29]
	v_fma_f64 v[28:29], v[36:37], v[46:47], v[28:29]
	v_cvt_f64_f32_e32 v[36:37], v38
	v_fma_f64 v[28:29], v[36:37], v[40:41], v[28:29]
	v_cvt_f64_f32_e32 v[36:37], v39
	;; [unrolled: 2-line block ×3, first 2 shown]
	v_cvt_f64_f32_e32 v[32:33], v33
	v_fma_f64 v[36:37], v[36:37], v[44:45], v[50:51]
	v_fma_f64 v[32:33], v[32:33], v[46:47], v[36:37]
	v_cvt_f64_f32_e32 v[36:37], v34
	v_cvt_f64_f32_e32 v[34:35], v35
	v_fma_f64 v[32:33], v[36:37], v[40:41], v[32:33]
	v_fma_f64 v[50:51], v[34:35], v[42:43], v[32:33]
	v_cvt_f64_f32_e32 v[32:33], v23
	;; [unrolled: 4-line block ×5, first 2 shown]
	v_cvt_f64_f32_e32 v[19:20], v20
	v_fma_f64 v[17:18], v[23:24], v[40:41], v[17:18]
	v_fma_f64 v[48:49], v[19:20], v[42:43], v[17:18]
	global_load_dword v17, v[21:22], off offset:16
	s_waitcnt vmcnt(0)
	v_subrev_u32_e32 v17, s16, v17
	v_lshlrev_b32_e32 v40, 2, v17
	v_ashrrev_i32_e32 v41, 31, v40
	global_load_dwordx4 v[32:35], v[13:14], off offset:816
	global_load_dwordx4 v[17:20], v[13:14], off offset:800
	;; [unrolled: 1-line block ×4, first 2 shown]
	v_lshlrev_b64 v[40:41], 3, v[40:41]
	v_add_co_u32_e32 v56, vcc, s10, v40
	v_addc_co_u32_e32 v57, vcc, v27, v41, vcc
	global_load_dwordx4 v[40:43], v[56:57], off offset:16
	global_load_dwordx4 v[44:47], v[56:57], off
	v_add_co_u32_e32 v13, vcc, s8, v13
	v_addc_co_u32_e32 v14, vcc, 0, v14, vcc
	v_add_co_u32_e32 v15, vcc, 16, v15
	v_addc_co_u32_e32 v16, vcc, 0, v16, vcc
	;; [unrolled: 2-line block ×3, first 2 shown]
	v_cmp_ge_i64_e32 vcc, v[15:16], v[4:5]
	s_or_b64 s[6:7], vcc, s[6:7]
	s_waitcnt vmcnt(2)
	v_cvt_f64_f32_e32 v[54:55], v23
	v_cvt_f64_f32_e32 v[23:24], v24
	s_waitcnt vmcnt(0)
	v_fma_f64 v[28:29], v[54:55], v[44:45], v[28:29]
	v_fma_f64 v[23:24], v[23:24], v[46:47], v[28:29]
	v_cvt_f64_f32_e32 v[28:29], v25
	v_cvt_f64_f32_e32 v[25:26], v26
	v_fma_f64 v[23:24], v[28:29], v[40:41], v[23:24]
	v_cvt_f64_f32_e32 v[28:29], v37
	v_fma_f64 v[25:26], v[25:26], v[42:43], v[23:24]
	;; [unrolled: 2-line block ×3, first 2 shown]
	v_fma_f64 v[23:24], v[28:29], v[46:47], v[23:24]
	v_cvt_f64_f32_e32 v[28:29], v38
	v_fma_f64 v[23:24], v[28:29], v[40:41], v[23:24]
	v_cvt_f64_f32_e32 v[28:29], v39
	;; [unrolled: 2-line block ×3, first 2 shown]
	v_cvt_f64_f32_e32 v[17:18], v18
	v_fma_f64 v[28:29], v[28:29], v[44:45], v[52:53]
	v_fma_f64 v[17:18], v[17:18], v[46:47], v[28:29]
	v_cvt_f64_f32_e32 v[28:29], v19
	v_cvt_f64_f32_e32 v[19:20], v20
	v_fma_f64 v[17:18], v[28:29], v[40:41], v[17:18]
	v_cvt_f64_f32_e32 v[28:29], v33
	v_fma_f64 v[19:20], v[19:20], v[42:43], v[17:18]
	;; [unrolled: 2-line block ×3, first 2 shown]
	v_fma_f64 v[17:18], v[28:29], v[46:47], v[17:18]
	v_cvt_f64_f32_e32 v[28:29], v34
	v_fma_f64 v[17:18], v[28:29], v[40:41], v[17:18]
	v_cvt_f64_f32_e32 v[28:29], v35
	v_fma_f64 v[17:18], v[28:29], v[42:43], v[17:18]
	s_andn2_b64 exec, exec, s[6:7]
	s_cbranch_execnz .LBB155_21
; %bb.22:
	s_or_b64 exec, exec, s[6:7]
.LBB155_23:
	s_or_b64 exec, exec, s[2:3]
.LBB155_24:
	s_or_b64 exec, exec, s[14:15]
	s_cbranch_execz .LBB155_26
	s_branch .LBB155_37
.LBB155_25:
                                        ; implicit-def: $vgpr17_vgpr18
                                        ; implicit-def: $vgpr19_vgpr20
                                        ; implicit-def: $vgpr23_vgpr24
                                        ; implicit-def: $vgpr25_vgpr26
.LBB155_26:
	v_mov_b32_e32 v17, 0
	v_mov_b32_e32 v19, 0
	v_mov_b32_e32 v23, 0
	v_mov_b32_e32 v25, 0
	v_mov_b32_e32 v18, 0
	v_mov_b32_e32 v20, 0
	v_mov_b32_e32 v24, 0
	v_mov_b32_e32 v26, 0
	s_and_saveexec_b64 s[2:3], s[0:1]
	s_cbranch_execz .LBB155_36
; %bb.27:
	v_or_b32_e32 v13, 4, v31
	v_subrev_co_u32_e32 v13, vcc, s16, v13
	v_subb_co_u32_e64 v14, s[0:1], 0, 0, vcc
	v_add_co_u32_e32 v13, vcc, v13, v11
	v_addc_co_u32_e32 v14, vcc, v14, v12, vcc
	v_cmp_gt_i64_e32 vcc, v[13:14], v[4:5]
	v_not_b32_e32 v11, v11
	v_cndmask_b32_e32 v14, v5, v14, vcc
	v_cndmask_b32_e32 v13, v4, v13, vcc
	v_sub_co_u32_e32 v15, vcc, s16, v31
	v_not_b32_e32 v12, v12
	v_subb_co_u32_e64 v16, s[0:1], 0, 0, vcc
	v_add_co_u32_e32 v11, vcc, v15, v11
	v_addc_co_u32_e32 v12, vcc, v16, v12, vcc
	v_add_co_u32_e32 v11, vcc, v11, v13
	v_addc_co_u32_e32 v12, vcc, v12, v14, vcc
	v_and_b32_e32 v13, 12, v11
	v_mov_b32_e32 v14, 0
	v_cmp_ne_u64_e32 vcc, 12, v[13:14]
	v_mov_b32_e32 v25, 0
	v_mov_b32_e32 v23, 0
	;; [unrolled: 1-line block ×8, first 2 shown]
	s_and_saveexec_b64 s[6:7], vcc
	s_cbranch_execz .LBB155_31
; %bb.28:
	v_lshrrev_b32_e32 v13, 2, v11
	v_add_u32_e32 v13, 1, v13
	v_and_b32_e32 v15, 3, v13
	v_lshlrev_b64 v[13:14], 2, v[0:1]
	v_mov_b32_e32 v16, s13
	v_add_co_u32_e32 v13, vcc, s12, v13
	v_addc_co_u32_e32 v14, vcc, v16, v14, vcc
	v_sub_co_u32_e32 v15, vcc, 0, v15
	v_mov_b32_e32 v17, 0
	v_mov_b32_e32 v19, 0
	;; [unrolled: 1-line block ×4, first 2 shown]
	s_mov_b64 s[8:9], 0
	v_subb_co_u32_e64 v16, s[0:1], 0, 0, vcc
	v_mov_b32_e32 v18, 0
	s_movk_i32 s14, 0x100
	v_mov_b32_e32 v20, 0
	v_mov_b32_e32 v24, 0
	;; [unrolled: 1-line block ×3, first 2 shown]
	s_waitcnt lgkmcnt(0)
	v_mov_b32_e32 v21, s11
.LBB155_29:                             ; =>This Inner Loop Header: Depth=1
	global_load_dword v22, v[13:14], off
	global_load_dwordx4 v[27:30], v[6:7], off offset:16
	global_load_dwordx4 v[32:35], v[6:7], off
	v_add_co_u32_e64 v0, s[0:1], 4, v0
	v_addc_co_u32_e64 v1, s[0:1], 0, v1, s[0:1]
	v_add_co_u32_e64 v13, s[0:1], 16, v13
	v_addc_co_u32_e64 v14, s[0:1], 0, v14, s[0:1]
	;; [unrolled: 2-line block ×3, first 2 shown]
	v_cmp_eq_u64_e64 s[0:1], 0, v[15:16]
	s_or_b64 s[8:9], s[0:1], s[8:9]
	s_waitcnt vmcnt(2)
	v_subrev_u32_e32 v22, s16, v22
	v_lshlrev_b32_e32 v36, 2, v22
	v_ashrrev_i32_e32 v37, 31, v36
	v_lshlrev_b64 v[36:37], 3, v[36:37]
	s_waitcnt vmcnt(0)
	v_cvt_f64_f32_e32 v[54:55], v34
	v_add_co_u32_e32 v52, vcc, s10, v36
	v_addc_co_u32_e32 v53, vcc, v21, v37, vcc
	global_load_dwordx4 v[36:39], v[52:53], off
	global_load_dwordx4 v[40:43], v[52:53], off offset:16
	global_load_dwordx4 v[44:47], v[6:7], off offset:32
	;; [unrolled: 1-line block ×3, first 2 shown]
	v_cvt_f64_f32_e32 v[52:53], v32
	v_cvt_f64_f32_e32 v[32:33], v33
	;; [unrolled: 1-line block ×7, first 2 shown]
	v_add_co_u32_e32 v6, vcc, s14, v6
	v_addc_co_u32_e32 v7, vcc, 0, v7, vcc
	s_waitcnt vmcnt(3)
	v_fma_f64 v[25:26], v[52:53], v[36:37], v[25:26]
	v_fma_f64 v[22:23], v[32:33], v[36:37], v[23:24]
	;; [unrolled: 1-line block ×4, first 2 shown]
	s_waitcnt vmcnt(1)
	v_cvt_f64_f32_e32 v[32:33], v44
	v_cvt_f64_f32_e32 v[34:35], v45
	s_waitcnt vmcnt(0)
	v_cvt_f64_f32_e32 v[36:37], v48
	v_fma_f64 v[24:25], v[56:57], v[38:39], v[25:26]
	v_fma_f64 v[22:23], v[27:28], v[38:39], v[22:23]
	;; [unrolled: 1-line block ×4, first 2 shown]
	v_cvt_f64_f32_e32 v[26:27], v46
	v_cvt_f64_f32_e32 v[28:29], v47
	v_fma_f64 v[24:25], v[32:33], v[40:41], v[24:25]
	v_fma_f64 v[22:23], v[34:35], v[40:41], v[22:23]
	;; [unrolled: 1-line block ×4, first 2 shown]
	v_cvt_f64_f32_e32 v[27:28], v49
	v_cvt_f64_f32_e32 v[29:30], v50
	v_cvt_f64_f32_e32 v[32:33], v51
	v_fma_f64 v[25:26], v[36:37], v[42:43], v[24:25]
	v_fma_f64 v[23:24], v[27:28], v[42:43], v[22:23]
	;; [unrolled: 1-line block ×4, first 2 shown]
	s_andn2_b64 exec, exec, s[8:9]
	s_cbranch_execnz .LBB155_29
; %bb.30:
	s_or_b64 exec, exec, s[8:9]
.LBB155_31:
	s_or_b64 exec, exec, s[6:7]
	v_cmp_lt_u64_e32 vcc, 11, v[11:12]
	s_and_saveexec_b64 s[0:1], vcc
	s_cbranch_execz .LBB155_35
; %bb.32:
	v_lshlrev_b64 v[11:12], 2, v[0:1]
	v_mov_b32_e32 v13, s13
	v_add_co_u32_e32 v11, vcc, s12, v11
	v_addc_co_u32_e32 v12, vcc, v13, v12, vcc
	v_add_co_u32_e32 v11, vcc, 32, v11
	v_addc_co_u32_e32 v12, vcc, 0, v12, vcc
	s_mov_b64 s[6:7], 0
	s_waitcnt lgkmcnt(0)
	v_mov_b32_e32 v13, s11
	s_movk_i32 s8, 0x400
.LBB155_33:                             ; =>This Inner Loop Header: Depth=1
	global_load_dword v14, v[11:12], off offset:-32
	global_load_dwordx4 v[27:30], v[6:7], off offset:48
	global_load_dwordx4 v[32:35], v[6:7], off offset:32
	;; [unrolled: 1-line block ×3, first 2 shown]
	global_load_dwordx4 v[40:43], v[6:7], off
	s_waitcnt vmcnt(4)
	v_subrev_u32_e32 v14, s16, v14
	v_lshlrev_b32_e32 v14, 2, v14
	v_ashrrev_i32_e32 v15, 31, v14
	v_lshlrev_b64 v[14:15], 3, v[14:15]
	s_waitcnt vmcnt(0)
	v_cvt_f64_f32_e32 v[21:22], v40
	v_add_co_u32_e32 v14, vcc, s10, v14
	v_addc_co_u32_e32 v15, vcc, v13, v15, vcc
	global_load_dwordx4 v[44:47], v[14:15], off offset:16
	global_load_dwordx4 v[48:51], v[14:15], off
	s_waitcnt vmcnt(0)
	v_fma_f64 v[14:15], v[21:22], v[48:49], v[25:26]
	v_cvt_f64_f32_e32 v[21:22], v41
	v_fma_f64 v[21:22], v[21:22], v[48:49], v[23:24]
	v_cvt_f64_f32_e32 v[23:24], v42
	;; [unrolled: 2-line block ×15, first 2 shown]
	v_fma_f64 v[46:47], v[14:15], v[46:47], v[16:17]
	global_load_dword v14, v[11:12], off offset:-16
	s_waitcnt vmcnt(0)
	v_subrev_u32_e32 v14, s16, v14
	v_lshlrev_b32_e32 v32, 2, v14
	v_ashrrev_i32_e32 v33, 31, v32
	global_load_dwordx4 v[14:17], v[6:7], off offset:304
	global_load_dwordx4 v[18:21], v[6:7], off offset:288
	;; [unrolled: 1-line block ×4, first 2 shown]
	v_lshlrev_b64 v[32:33], 3, v[32:33]
	v_add_co_u32_e32 v50, vcc, s10, v32
	v_addc_co_u32_e32 v51, vcc, v13, v33, vcc
	global_load_dwordx4 v[32:35], v[50:51], off offset:16
	global_load_dwordx4 v[36:39], v[50:51], off
	s_waitcnt vmcnt(2)
	v_cvt_f64_f32_e32 v[48:49], v26
	v_cvt_f64_f32_e32 v[26:27], v27
	s_waitcnt vmcnt(0)
	v_fma_f64 v[26:27], v[26:27], v[36:37], v[42:43]
	v_cvt_f64_f32_e32 v[42:43], v28
	v_cvt_f64_f32_e32 v[28:29], v29
	v_fma_f64 v[40:41], v[48:49], v[36:37], v[40:41]
	v_fma_f64 v[42:43], v[42:43], v[36:37], v[44:45]
	;; [unrolled: 1-line block ×3, first 2 shown]
	v_cvt_f64_f32_e32 v[36:37], v22
	v_cvt_f64_f32_e32 v[22:23], v23
	v_fma_f64 v[36:37], v[36:37], v[38:39], v[40:41]
	v_fma_f64 v[22:23], v[22:23], v[38:39], v[26:27]
	v_cvt_f64_f32_e32 v[26:27], v24
	v_cvt_f64_f32_e32 v[24:25], v25
	v_fma_f64 v[26:27], v[26:27], v[38:39], v[42:43]
	v_fma_f64 v[24:25], v[24:25], v[38:39], v[28:29]
	;; [unrolled: 4-line block ×5, first 2 shown]
	v_cvt_f64_f32_e32 v[14:15], v16
	v_fma_f64 v[44:45], v[14:15], v[34:35], v[22:23]
	v_cvt_f64_f32_e32 v[14:15], v17
	v_fma_f64 v[46:47], v[14:15], v[34:35], v[20:21]
	global_load_dword v14, v[11:12], off
	s_waitcnt vmcnt(0)
	v_subrev_u32_e32 v14, s16, v14
	v_lshlrev_b32_e32 v32, 2, v14
	v_ashrrev_i32_e32 v33, 31, v32
	global_load_dwordx4 v[14:17], v[6:7], off offset:560
	global_load_dwordx4 v[18:21], v[6:7], off offset:544
	;; [unrolled: 1-line block ×4, first 2 shown]
	v_lshlrev_b64 v[32:33], 3, v[32:33]
	v_add_co_u32_e32 v50, vcc, s10, v32
	v_addc_co_u32_e32 v51, vcc, v13, v33, vcc
	global_load_dwordx4 v[32:35], v[50:51], off offset:16
	global_load_dwordx4 v[36:39], v[50:51], off
	s_waitcnt vmcnt(2)
	v_cvt_f64_f32_e32 v[48:49], v26
	v_cvt_f64_f32_e32 v[26:27], v27
	s_waitcnt vmcnt(0)
	v_fma_f64 v[26:27], v[26:27], v[36:37], v[42:43]
	v_cvt_f64_f32_e32 v[42:43], v28
	v_cvt_f64_f32_e32 v[28:29], v29
	v_fma_f64 v[40:41], v[48:49], v[36:37], v[40:41]
	v_fma_f64 v[42:43], v[42:43], v[36:37], v[44:45]
	;; [unrolled: 1-line block ×3, first 2 shown]
	v_cvt_f64_f32_e32 v[36:37], v22
	v_cvt_f64_f32_e32 v[22:23], v23
	v_fma_f64 v[36:37], v[36:37], v[38:39], v[40:41]
	v_fma_f64 v[22:23], v[22:23], v[38:39], v[26:27]
	v_cvt_f64_f32_e32 v[26:27], v24
	v_cvt_f64_f32_e32 v[24:25], v25
	v_fma_f64 v[26:27], v[26:27], v[38:39], v[42:43]
	v_fma_f64 v[24:25], v[24:25], v[38:39], v[28:29]
	;; [unrolled: 4-line block ×5, first 2 shown]
	v_cvt_f64_f32_e32 v[14:15], v16
	v_fma_f64 v[44:45], v[14:15], v[34:35], v[22:23]
	v_cvt_f64_f32_e32 v[14:15], v17
	v_fma_f64 v[46:47], v[14:15], v[34:35], v[20:21]
	global_load_dword v14, v[11:12], off offset:16
	s_waitcnt vmcnt(0)
	v_subrev_u32_e32 v14, s16, v14
	v_lshlrev_b32_e32 v32, 2, v14
	v_ashrrev_i32_e32 v33, 31, v32
	global_load_dwordx4 v[14:17], v[6:7], off offset:816
	global_load_dwordx4 v[18:21], v[6:7], off offset:800
	;; [unrolled: 1-line block ×4, first 2 shown]
	v_lshlrev_b64 v[32:33], 3, v[32:33]
	v_add_co_u32_e32 v50, vcc, s10, v32
	v_addc_co_u32_e32 v51, vcc, v13, v33, vcc
	global_load_dwordx4 v[32:35], v[50:51], off offset:16
	global_load_dwordx4 v[36:39], v[50:51], off
	v_add_co_u32_e32 v6, vcc, s8, v6
	v_addc_co_u32_e32 v7, vcc, 0, v7, vcc
	v_add_co_u32_e32 v0, vcc, 16, v0
	v_addc_co_u32_e32 v1, vcc, 0, v1, vcc
	;; [unrolled: 2-line block ×3, first 2 shown]
	v_cmp_ge_i64_e32 vcc, v[0:1], v[4:5]
	s_or_b64 s[6:7], vcc, s[6:7]
	s_waitcnt vmcnt(2)
	v_cvt_f64_f32_e32 v[48:49], v26
	v_cvt_f64_f32_e32 v[26:27], v27
	s_waitcnt vmcnt(0)
	v_fma_f64 v[40:41], v[48:49], v[36:37], v[40:41]
	v_fma_f64 v[26:27], v[26:27], v[36:37], v[42:43]
	v_cvt_f64_f32_e32 v[42:43], v28
	v_cvt_f64_f32_e32 v[28:29], v29
	v_fma_f64 v[42:43], v[42:43], v[36:37], v[44:45]
	v_fma_f64 v[28:29], v[28:29], v[36:37], v[46:47]
	v_cvt_f64_f32_e32 v[36:37], v22
	v_cvt_f64_f32_e32 v[22:23], v23
	v_fma_f64 v[36:37], v[36:37], v[38:39], v[40:41]
	v_fma_f64 v[22:23], v[22:23], v[38:39], v[26:27]
	v_cvt_f64_f32_e32 v[26:27], v24
	v_cvt_f64_f32_e32 v[24:25], v25
	v_fma_f64 v[26:27], v[26:27], v[38:39], v[42:43]
	v_fma_f64 v[24:25], v[24:25], v[38:39], v[28:29]
	v_cvt_f64_f32_e32 v[28:29], v18
	v_cvt_f64_f32_e32 v[18:19], v19
	v_fma_f64 v[28:29], v[28:29], v[32:33], v[36:37]
	v_fma_f64 v[18:19], v[18:19], v[32:33], v[22:23]
	v_cvt_f64_f32_e32 v[22:23], v20
	v_cvt_f64_f32_e32 v[20:21], v21
	v_fma_f64 v[36:37], v[22:23], v[32:33], v[26:27]
	v_fma_f64 v[21:22], v[20:21], v[32:33], v[24:25]
	v_cvt_f64_f32_e32 v[23:24], v14
	v_cvt_f64_f32_e32 v[14:15], v15
	v_fma_f64 v[25:26], v[23:24], v[34:35], v[28:29]
	v_fma_f64 v[23:24], v[14:15], v[34:35], v[18:19]
	v_cvt_f64_f32_e32 v[14:15], v16
	v_fma_f64 v[19:20], v[14:15], v[34:35], v[36:37]
	v_cvt_f64_f32_e32 v[14:15], v17
	v_fma_f64 v[17:18], v[14:15], v[34:35], v[21:22]
	s_andn2_b64 exec, exec, s[6:7]
	s_cbranch_execnz .LBB155_33
; %bb.34:
	s_or_b64 exec, exec, s[6:7]
.LBB155_35:
	s_or_b64 exec, exec, s[0:1]
.LBB155_36:
	s_or_b64 exec, exec, s[2:3]
.LBB155_37:
	v_mov_b32_dpp v0, v25 row_shr:1 row_mask:0xf bank_mask:0xf
	v_mov_b32_dpp v1, v26 row_shr:1 row_mask:0xf bank_mask:0xf
	;; [unrolled: 1-line block ×8, first 2 shown]
	v_add_f64 v[0:1], v[25:26], v[0:1]
	v_add_f64 v[4:5], v[23:24], v[4:5]
	v_add_f64 v[6:7], v[19:20], v[6:7]
	v_add_f64 v[11:12], v[17:18], v[11:12]
	v_cmp_eq_u32_e32 vcc, 3, v31
	v_mov_b32_dpp v19, v0 row_shr:2 row_mask:0xf bank_mask:0xf
	v_mov_b32_dpp v20, v1 row_shr:2 row_mask:0xf bank_mask:0xf
	;; [unrolled: 1-line block ×8, first 2 shown]
	s_and_b64 exec, exec, vcc
	s_cbranch_execz .LBB155_10
; %bb.38:
	v_add_f64 v[0:1], v[0:1], v[19:20]
	v_add_f64 v[17:18], v[4:5], v[17:18]
	;; [unrolled: 1-line block ×4, first 2 shown]
	v_cmp_eq_f64_e32 vcc, 0, v[8:9]
	s_load_dwordx2 s[0:1], s[4:5], 0x50
	v_lshlrev_b32_e32 v10, 2, v10
	v_mul_f64 v[4:5], v[2:3], v[0:1]
	v_mul_f64 v[6:7], v[2:3], v[17:18]
	v_mul_f64 v[0:1], v[2:3], v[15:16]
	v_mul_f64 v[2:3], v[2:3], v[11:12]
	s_and_saveexec_b64 s[2:3], vcc
	s_xor_b64 s[2:3], exec, s[2:3]
	s_cbranch_execz .LBB155_40
; %bb.39:
	v_ashrrev_i32_e32 v11, 31, v10
	v_lshlrev_b64 v[8:9], 3, v[10:11]
	s_waitcnt lgkmcnt(0)
	v_mov_b32_e32 v10, s1
	v_add_co_u32_e32 v8, vcc, s0, v8
	v_addc_co_u32_e32 v9, vcc, v10, v9, vcc
	global_store_dwordx4 v[8:9], v[4:7], off
	global_store_dwordx4 v[8:9], v[0:3], off offset:16
                                        ; implicit-def: $vgpr10
                                        ; implicit-def: $vgpr8_vgpr9
                                        ; implicit-def: $vgpr4_vgpr5
                                        ; implicit-def: $vgpr0_vgpr1
.LBB155_40:
	s_andn2_saveexec_b64 s[2:3], s[2:3]
	s_cbranch_execz .LBB155_10
; %bb.41:
	v_ashrrev_i32_e32 v11, 31, v10
	v_lshlrev_b64 v[10:11], 3, v[10:11]
	s_waitcnt lgkmcnt(0)
	v_mov_b32_e32 v12, s1
	v_add_co_u32_e32 v18, vcc, s0, v10
	v_addc_co_u32_e32 v19, vcc, v12, v11, vcc
	global_load_dwordx4 v[10:13], v[18:19], off
	global_load_dwordx4 v[14:17], v[18:19], off offset:16
	s_waitcnt vmcnt(1)
	v_fma_f64 v[4:5], v[8:9], v[10:11], v[4:5]
	v_fma_f64 v[6:7], v[8:9], v[12:13], v[6:7]
	s_waitcnt vmcnt(0)
	v_fma_f64 v[0:1], v[8:9], v[14:15], v[0:1]
	v_fma_f64 v[2:3], v[8:9], v[16:17], v[2:3]
	global_store_dwordx4 v[18:19], v[4:7], off
	global_store_dwordx4 v[18:19], v[0:3], off offset:16
	s_endpgm
	.section	.rodata,"a",@progbits
	.p2align	6, 0x0
	.amdhsa_kernel _ZN9rocsparseL18bsrxmvn_4x4_kernelILj128ELj4EdlifddEEvT3_20rocsparse_direction_NS_24const_host_device_scalarIT1_EES1_PKS1_PKT2_SA_S7_PKT4_PKT5_S5_PT6_21rocsparse_index_base_b
		.amdhsa_group_segment_fixed_size 0
		.amdhsa_private_segment_fixed_size 0
		.amdhsa_kernarg_size 96
		.amdhsa_user_sgpr_count 6
		.amdhsa_user_sgpr_private_segment_buffer 1
		.amdhsa_user_sgpr_dispatch_ptr 0
		.amdhsa_user_sgpr_queue_ptr 0
		.amdhsa_user_sgpr_kernarg_segment_ptr 1
		.amdhsa_user_sgpr_dispatch_id 0
		.amdhsa_user_sgpr_flat_scratch_init 0
		.amdhsa_user_sgpr_private_segment_size 0
		.amdhsa_uses_dynamic_stack 0
		.amdhsa_system_sgpr_private_segment_wavefront_offset 0
		.amdhsa_system_sgpr_workgroup_id_x 1
		.amdhsa_system_sgpr_workgroup_id_y 0
		.amdhsa_system_sgpr_workgroup_id_z 0
		.amdhsa_system_sgpr_workgroup_info 0
		.amdhsa_system_vgpr_workitem_id 0
		.amdhsa_next_free_vgpr 60
		.amdhsa_next_free_sgpr 22
		.amdhsa_reserve_vcc 1
		.amdhsa_reserve_flat_scratch 0
		.amdhsa_float_round_mode_32 0
		.amdhsa_float_round_mode_16_64 0
		.amdhsa_float_denorm_mode_32 3
		.amdhsa_float_denorm_mode_16_64 3
		.amdhsa_dx10_clamp 1
		.amdhsa_ieee_mode 1
		.amdhsa_fp16_overflow 0
		.amdhsa_exception_fp_ieee_invalid_op 0
		.amdhsa_exception_fp_denorm_src 0
		.amdhsa_exception_fp_ieee_div_zero 0
		.amdhsa_exception_fp_ieee_overflow 0
		.amdhsa_exception_fp_ieee_underflow 0
		.amdhsa_exception_fp_ieee_inexact 0
		.amdhsa_exception_int_div_zero 0
	.end_amdhsa_kernel
	.section	.text._ZN9rocsparseL18bsrxmvn_4x4_kernelILj128ELj4EdlifddEEvT3_20rocsparse_direction_NS_24const_host_device_scalarIT1_EES1_PKS1_PKT2_SA_S7_PKT4_PKT5_S5_PT6_21rocsparse_index_base_b,"axG",@progbits,_ZN9rocsparseL18bsrxmvn_4x4_kernelILj128ELj4EdlifddEEvT3_20rocsparse_direction_NS_24const_host_device_scalarIT1_EES1_PKS1_PKT2_SA_S7_PKT4_PKT5_S5_PT6_21rocsparse_index_base_b,comdat
.Lfunc_end155:
	.size	_ZN9rocsparseL18bsrxmvn_4x4_kernelILj128ELj4EdlifddEEvT3_20rocsparse_direction_NS_24const_host_device_scalarIT1_EES1_PKS1_PKT2_SA_S7_PKT4_PKT5_S5_PT6_21rocsparse_index_base_b, .Lfunc_end155-_ZN9rocsparseL18bsrxmvn_4x4_kernelILj128ELj4EdlifddEEvT3_20rocsparse_direction_NS_24const_host_device_scalarIT1_EES1_PKS1_PKT2_SA_S7_PKT4_PKT5_S5_PT6_21rocsparse_index_base_b
                                        ; -- End function
	.set _ZN9rocsparseL18bsrxmvn_4x4_kernelILj128ELj4EdlifddEEvT3_20rocsparse_direction_NS_24const_host_device_scalarIT1_EES1_PKS1_PKT2_SA_S7_PKT4_PKT5_S5_PT6_21rocsparse_index_base_b.num_vgpr, 60
	.set _ZN9rocsparseL18bsrxmvn_4x4_kernelILj128ELj4EdlifddEEvT3_20rocsparse_direction_NS_24const_host_device_scalarIT1_EES1_PKS1_PKT2_SA_S7_PKT4_PKT5_S5_PT6_21rocsparse_index_base_b.num_agpr, 0
	.set _ZN9rocsparseL18bsrxmvn_4x4_kernelILj128ELj4EdlifddEEvT3_20rocsparse_direction_NS_24const_host_device_scalarIT1_EES1_PKS1_PKT2_SA_S7_PKT4_PKT5_S5_PT6_21rocsparse_index_base_b.numbered_sgpr, 22
	.set _ZN9rocsparseL18bsrxmvn_4x4_kernelILj128ELj4EdlifddEEvT3_20rocsparse_direction_NS_24const_host_device_scalarIT1_EES1_PKS1_PKT2_SA_S7_PKT4_PKT5_S5_PT6_21rocsparse_index_base_b.num_named_barrier, 0
	.set _ZN9rocsparseL18bsrxmvn_4x4_kernelILj128ELj4EdlifddEEvT3_20rocsparse_direction_NS_24const_host_device_scalarIT1_EES1_PKS1_PKT2_SA_S7_PKT4_PKT5_S5_PT6_21rocsparse_index_base_b.private_seg_size, 0
	.set _ZN9rocsparseL18bsrxmvn_4x4_kernelILj128ELj4EdlifddEEvT3_20rocsparse_direction_NS_24const_host_device_scalarIT1_EES1_PKS1_PKT2_SA_S7_PKT4_PKT5_S5_PT6_21rocsparse_index_base_b.uses_vcc, 1
	.set _ZN9rocsparseL18bsrxmvn_4x4_kernelILj128ELj4EdlifddEEvT3_20rocsparse_direction_NS_24const_host_device_scalarIT1_EES1_PKS1_PKT2_SA_S7_PKT4_PKT5_S5_PT6_21rocsparse_index_base_b.uses_flat_scratch, 0
	.set _ZN9rocsparseL18bsrxmvn_4x4_kernelILj128ELj4EdlifddEEvT3_20rocsparse_direction_NS_24const_host_device_scalarIT1_EES1_PKS1_PKT2_SA_S7_PKT4_PKT5_S5_PT6_21rocsparse_index_base_b.has_dyn_sized_stack, 0
	.set _ZN9rocsparseL18bsrxmvn_4x4_kernelILj128ELj4EdlifddEEvT3_20rocsparse_direction_NS_24const_host_device_scalarIT1_EES1_PKS1_PKT2_SA_S7_PKT4_PKT5_S5_PT6_21rocsparse_index_base_b.has_recursion, 0
	.set _ZN9rocsparseL18bsrxmvn_4x4_kernelILj128ELj4EdlifddEEvT3_20rocsparse_direction_NS_24const_host_device_scalarIT1_EES1_PKS1_PKT2_SA_S7_PKT4_PKT5_S5_PT6_21rocsparse_index_base_b.has_indirect_call, 0
	.section	.AMDGPU.csdata,"",@progbits
; Kernel info:
; codeLenInByte = 4728
; TotalNumSgprs: 26
; NumVgprs: 60
; ScratchSize: 0
; MemoryBound: 0
; FloatMode: 240
; IeeeMode: 1
; LDSByteSize: 0 bytes/workgroup (compile time only)
; SGPRBlocks: 3
; VGPRBlocks: 14
; NumSGPRsForWavesPerEU: 26
; NumVGPRsForWavesPerEU: 60
; Occupancy: 4
; WaveLimiterHint : 1
; COMPUTE_PGM_RSRC2:SCRATCH_EN: 0
; COMPUTE_PGM_RSRC2:USER_SGPR: 6
; COMPUTE_PGM_RSRC2:TRAP_HANDLER: 0
; COMPUTE_PGM_RSRC2:TGID_X_EN: 1
; COMPUTE_PGM_RSRC2:TGID_Y_EN: 0
; COMPUTE_PGM_RSRC2:TGID_Z_EN: 0
; COMPUTE_PGM_RSRC2:TIDIG_COMP_CNT: 0
	.section	.text._ZN9rocsparseL18bsrxmvn_4x4_kernelILj128ELj8EdlifddEEvT3_20rocsparse_direction_NS_24const_host_device_scalarIT1_EES1_PKS1_PKT2_SA_S7_PKT4_PKT5_S5_PT6_21rocsparse_index_base_b,"axG",@progbits,_ZN9rocsparseL18bsrxmvn_4x4_kernelILj128ELj8EdlifddEEvT3_20rocsparse_direction_NS_24const_host_device_scalarIT1_EES1_PKS1_PKT2_SA_S7_PKT4_PKT5_S5_PT6_21rocsparse_index_base_b,comdat
	.globl	_ZN9rocsparseL18bsrxmvn_4x4_kernelILj128ELj8EdlifddEEvT3_20rocsparse_direction_NS_24const_host_device_scalarIT1_EES1_PKS1_PKT2_SA_S7_PKT4_PKT5_S5_PT6_21rocsparse_index_base_b ; -- Begin function _ZN9rocsparseL18bsrxmvn_4x4_kernelILj128ELj8EdlifddEEvT3_20rocsparse_direction_NS_24const_host_device_scalarIT1_EES1_PKS1_PKT2_SA_S7_PKT4_PKT5_S5_PT6_21rocsparse_index_base_b
	.p2align	8
	.type	_ZN9rocsparseL18bsrxmvn_4x4_kernelILj128ELj8EdlifddEEvT3_20rocsparse_direction_NS_24const_host_device_scalarIT1_EES1_PKS1_PKT2_SA_S7_PKT4_PKT5_S5_PT6_21rocsparse_index_base_b,@function
_ZN9rocsparseL18bsrxmvn_4x4_kernelILj128ELj8EdlifddEEvT3_20rocsparse_direction_NS_24const_host_device_scalarIT1_EES1_PKS1_PKT2_SA_S7_PKT4_PKT5_S5_PT6_21rocsparse_index_base_b: ; @_ZN9rocsparseL18bsrxmvn_4x4_kernelILj128ELj8EdlifddEEvT3_20rocsparse_direction_NS_24const_host_device_scalarIT1_EES1_PKS1_PKT2_SA_S7_PKT4_PKT5_S5_PT6_21rocsparse_index_base_b
; %bb.0:
	s_load_dwordx2 s[16:17], s[4:5], 0x58
	s_load_dwordx2 s[8:9], s[4:5], 0x8
	;; [unrolled: 1-line block ×3, first 2 shown]
	s_waitcnt lgkmcnt(0)
	s_bitcmp1_b32 s17, 0
	s_cselect_b64 s[10:11], -1, 0
	v_mov_b32_e32 v2, s8
	s_xor_b64 s[2:3], s[10:11], -1
	s_and_b64 vcc, exec, s[10:11]
	v_mov_b32_e32 v3, s9
	s_cbranch_vccnz .LBB156_2
; %bb.1:
	v_mov_b32_e32 v1, s8
	v_mov_b32_e32 v2, s9
	flat_load_dwordx2 v[2:3], v[1:2]
.LBB156_2:
	v_mov_b32_e32 v9, s1
	s_andn2_b64 vcc, exec, s[2:3]
	v_mov_b32_e32 v8, s0
	s_cbranch_vccnz .LBB156_4
; %bb.3:
	v_mov_b32_e32 v5, s1
	v_mov_b32_e32 v4, s0
	flat_load_dwordx2 v[8:9], v[4:5]
.LBB156_4:
	s_waitcnt vmcnt(0) lgkmcnt(0)
	v_cmp_neq_f64_e32 vcc, 0, v[2:3]
	v_cmp_neq_f64_e64 s[0:1], 1.0, v[8:9]
	s_mov_b64 s[2:3], 0
	s_or_b64 s[0:1], vcc, s[0:1]
	s_and_saveexec_b64 s[8:9], s[0:1]
	s_cbranch_execz .LBB156_10
; %bb.5:
	s_load_dwordx2 s[8:9], s[4:5], 0x18
	s_load_dwordx2 s[0:1], s[4:5], 0x0
	v_lshrrev_b32_e32 v1, 3, v0
	v_lshl_or_b32 v10, s6, 4, v1
	s_mov_b64 s[6:7], 0
	s_waitcnt lgkmcnt(0)
	s_cmp_lg_u64 s[8:9], 0
	s_cbranch_scc0 .LBB156_11
; %bb.6:
	s_load_dword s2, s[4:5], 0x10
                                        ; implicit-def: $vgpr1
	s_waitcnt lgkmcnt(0)
	v_cmp_gt_i32_e32 vcc, s2, v10
	s_and_saveexec_b64 s[2:3], vcc
	s_xor_b64 s[2:3], exec, s[2:3]
	s_cbranch_execz .LBB156_8
; %bb.7:
	v_ashrrev_i32_e32 v11, 31, v10
	v_lshlrev_b64 v[4:5], 2, v[10:11]
	v_mov_b32_e32 v1, s9
	v_add_co_u32_e32 v4, vcc, s8, v4
	v_addc_co_u32_e32 v5, vcc, v1, v5, vcc
	global_load_dword v1, v[4:5], off
	s_mov_b64 s[6:7], exec
	s_waitcnt vmcnt(0)
	v_subrev_u32_e32 v1, s16, v1
.LBB156_8:
	s_or_b64 exec, exec, s[2:3]
	s_mov_b64 s[2:3], s[6:7]
	s_branch .LBB156_12
.LBB156_9:
	v_cmp_gt_i32_e32 vcc, s0, v10
	s_andn2_b64 s[2:3], s[2:3], exec
	s_and_b64 s[6:7], vcc, exec
	s_or_b64 s[2:3], s[2:3], s[6:7]
	s_and_b64 exec, exec, s[2:3]
	s_cbranch_execnz .LBB156_13
.LBB156_10:
	s_endpgm
.LBB156_11:
                                        ; implicit-def: $vgpr1
	s_cbranch_execnz .LBB156_9
.LBB156_12:
	v_mov_b32_e32 v10, v1
	s_and_b64 exec, exec, s[2:3]
	s_cbranch_execz .LBB156_10
.LBB156_13:
	s_load_dwordx8 s[8:15], s[4:5], 0x20
	v_ashrrev_i32_e32 v11, 31, v10
	v_lshlrev_b64 v[4:5], 3, v[10:11]
	v_and_b32_e32 v31, 7, v0
	s_waitcnt lgkmcnt(0)
	v_mov_b32_e32 v1, s9
	v_add_co_u32_e32 v6, vcc, s8, v4
	v_addc_co_u32_e32 v7, vcc, v1, v5, vcc
	v_add_co_u32_e32 v1, vcc, 8, v6
	global_load_dwordx2 v[11:12], v[6:7], off
	v_addc_co_u32_e32 v6, vcc, 0, v7, vcc
	v_mov_b32_e32 v7, s11
	v_add_co_u32_e32 v4, vcc, s10, v4
	s_cmp_eq_u64 s[10:11], 0
	v_addc_co_u32_e32 v5, vcc, v7, v5, vcc
	s_cselect_b64 vcc, -1, 0
	v_cndmask_b32_e32 v5, v5, v6, vcc
	v_cndmask_b32_e32 v4, v4, v1, vcc
	global_load_dwordx2 v[4:5], v[4:5], off
	s_load_dwordx2 s[10:11], s[4:5], 0x40
	v_mov_b32_e32 v13, s15
	s_cmp_eq_u32 s1, 1
	s_waitcnt vmcnt(1)
	v_subrev_co_u32_e32 v0, vcc, s16, v11
	v_subbrev_co_u32_e32 v1, vcc, 0, v12, vcc
	v_add_co_u32_e32 v0, vcc, v0, v31
	v_addc_co_u32_e32 v1, vcc, 0, v1, vcc
	v_lshlrev_b64 v[6:7], 6, v[0:1]
	s_waitcnt vmcnt(0)
	v_subrev_co_u32_e32 v4, vcc, s16, v4
	v_subbrev_co_u32_e32 v5, vcc, 0, v5, vcc
	v_cmp_lt_i64_e64 s[0:1], v[0:1], v[4:5]
	v_add_co_u32_e32 v6, vcc, s14, v6
	v_addc_co_u32_e32 v7, vcc, v13, v7, vcc
	s_cbranch_scc1 .LBB156_25
; %bb.14:
	v_mov_b32_e32 v17, 0
	v_mov_b32_e32 v19, 0
	v_mov_b32_e32 v21, 0
	v_mov_b32_e32 v23, 0
	v_mov_b32_e32 v18, 0
	v_mov_b32_e32 v20, 0
	v_mov_b32_e32 v22, 0
	v_mov_b32_e32 v24, 0
	s_and_saveexec_b64 s[14:15], s[0:1]
	s_cbranch_execz .LBB156_24
; %bb.15:
	v_or_b32_e32 v13, 8, v31
	v_subrev_co_u32_e32 v13, vcc, s16, v13
	v_subb_co_u32_e64 v14, s[2:3], 0, 0, vcc
	v_add_co_u32_e32 v13, vcc, v13, v11
	v_addc_co_u32_e32 v14, vcc, v14, v12, vcc
	v_cmp_gt_i64_e32 vcc, v[13:14], v[4:5]
	v_not_b32_e32 v16, v11
	v_cndmask_b32_e32 v14, v5, v14, vcc
	v_cndmask_b32_e32 v13, v4, v13, vcc
	v_sub_co_u32_e32 v17, vcc, s16, v31
	v_not_b32_e32 v15, v12
	v_subb_co_u32_e64 v18, s[2:3], 0, 0, vcc
	v_add_co_u32_e32 v16, vcc, v17, v16
	v_addc_co_u32_e32 v15, vcc, v18, v15, vcc
	v_add_co_u32_e32 v25, vcc, v16, v13
	v_addc_co_u32_e32 v26, vcc, v15, v14, vcc
	v_and_b32_e32 v13, 24, v25
	v_mov_b32_e32 v14, 0
	v_cmp_ne_u64_e32 vcc, 24, v[13:14]
	v_mov_b32_e32 v23, 0
	v_mov_b32_e32 v21, 0
	;; [unrolled: 1-line block ×12, first 2 shown]
	s_and_saveexec_b64 s[18:19], vcc
	s_cbranch_execz .LBB156_19
; %bb.16:
	v_lshrrev_b32_e32 v13, 3, v25
	v_add_u32_e32 v13, 1, v13
	v_and_b32_e32 v15, 3, v13
	v_lshlrev_b64 v[13:14], 2, v[0:1]
	v_mov_b32_e32 v16, s13
	v_add_co_u32_e32 v27, vcc, s12, v13
	v_addc_co_u32_e32 v28, vcc, v16, v14, vcc
	v_sub_co_u32_e32 v29, vcc, 0, v15
	v_mov_b32_e32 v17, 0
	v_mov_b32_e32 v14, v7
	;; [unrolled: 1-line block ×6, first 2 shown]
	s_mov_b64 s[20:21], 0
	v_subb_co_u32_e64 v30, s[2:3], 0, 0, vcc
	v_mov_b32_e32 v18, 0
	s_movk_i32 s17, 0x200
	s_waitcnt lgkmcnt(0)
	v_mov_b32_e32 v32, s11
	v_mov_b32_e32 v13, v6
	;; [unrolled: 1-line block ×6, first 2 shown]
.LBB156_17:                             ; =>This Inner Loop Header: Depth=1
	global_load_dword v45, v[27:28], off
	global_load_dwordx4 v[33:36], v[13:14], off
	global_load_dwordx4 v[37:40], v[13:14], off offset:16
	global_load_dwordx4 v[41:44], v[13:14], off offset:32
	v_add_co_u32_e64 v15, s[2:3], 8, v15
	v_add_co_u32_e64 v27, s[6:7], 32, v27
	;; [unrolled: 1-line block ×3, first 2 shown]
	v_addc_co_u32_e64 v16, s[2:3], 0, v16, s[2:3]
	v_addc_co_u32_e64 v28, s[2:3], 0, v28, s[6:7]
	;; [unrolled: 1-line block ×3, first 2 shown]
	v_cmp_eq_u64_e64 s[2:3], 0, v[29:30]
	s_or_b64 s[20:21], s[2:3], s[20:21]
	s_waitcnt vmcnt(3)
	v_subrev_u32_e32 v45, s16, v45
	v_lshlrev_b32_e32 v45, 2, v45
	v_ashrrev_i32_e32 v46, 31, v45
	v_lshlrev_b64 v[45:46], 3, v[45:46]
	s_waitcnt vmcnt(2)
	v_cvt_f64_f32_e32 v[49:50], v33
	v_add_co_u32_e32 v51, vcc, s10, v45
	v_addc_co_u32_e32 v52, vcc, v32, v46, vcc
	global_load_dwordx4 v[45:48], v[51:52], off
	v_cvt_f64_f32_e32 v[33:34], v34
	s_waitcnt vmcnt(0)
	v_fma_f64 v[23:24], v[49:50], v[45:46], v[23:24]
	v_cvt_f64_f32_e32 v[49:50], v37
	v_fma_f64 v[49:50], v[49:50], v[45:46], v[21:22]
	v_cvt_f64_f32_e32 v[21:22], v41
	;; [unrolled: 2-line block ×3, first 2 shown]
	v_fma_f64 v[53:54], v[21:22], v[45:46], v[19:20]
	global_load_dwordx4 v[19:22], v[13:14], off offset:48
	v_add_co_u32_e32 v13, vcc, s17, v13
	v_fma_f64 v[37:38], v[33:34], v[47:48], v[49:50]
	v_cvt_f64_f32_e32 v[33:34], v42
	v_addc_co_u32_e32 v14, vcc, 0, v14, vcc
	v_fma_f64 v[41:42], v[33:34], v[47:48], v[53:54]
	s_waitcnt vmcnt(0)
	v_cvt_f64_f32_e32 v[55:56], v19
	v_cvt_f64_f32_e32 v[19:20], v20
	v_fma_f64 v[17:18], v[55:56], v[45:46], v[17:18]
	v_cvt_f64_f32_e32 v[45:46], v36
	v_fma_f64 v[17:18], v[19:20], v[47:48], v[17:18]
	v_cvt_f64_f32_e32 v[19:20], v35
	global_load_dwordx4 v[33:36], v[51:52], off offset:16
	s_waitcnt vmcnt(0)
	v_fma_f64 v[19:20], v[19:20], v[33:34], v[23:24]
	v_cvt_f64_f32_e32 v[23:24], v39
	v_fma_f64 v[37:38], v[23:24], v[33:34], v[37:38]
	v_cvt_f64_f32_e32 v[23:24], v43
	;; [unrolled: 2-line block ×4, first 2 shown]
	v_cvt_f64_f32_e32 v[39:40], v44
	v_cvt_f64_f32_e32 v[43:44], v22
	v_fma_f64 v[23:24], v[45:46], v[35:36], v[19:20]
	v_fma_f64 v[21:22], v[33:34], v[35:36], v[37:38]
	;; [unrolled: 1-line block ×4, first 2 shown]
	s_andn2_b64 exec, exec, s[20:21]
	s_cbranch_execnz .LBB156_17
; %bb.18:
	s_or_b64 exec, exec, s[20:21]
.LBB156_19:
	s_or_b64 exec, exec, s[18:19]
	v_cmp_lt_u64_e32 vcc, 23, v[25:26]
	s_and_saveexec_b64 s[2:3], vcc
	s_cbranch_execz .LBB156_23
; %bb.20:
	v_lshlrev_b64 v[25:26], 2, v[15:16]
	v_mov_b32_e32 v27, s13
	v_add_co_u32_e32 v25, vcc, s12, v25
	v_addc_co_u32_e32 v26, vcc, v27, v26, vcc
	v_add_co_u32_e32 v25, vcc, 64, v25
	v_addc_co_u32_e32 v26, vcc, 0, v26, vcc
	s_mov_b64 s[6:7], 0
	s_waitcnt lgkmcnt(0)
	v_mov_b32_e32 v27, s11
	s_movk_i32 s8, 0x800
.LBB156_21:                             ; =>This Inner Loop Header: Depth=1
	global_load_dword v28, v[25:26], off offset:-64
	global_load_dwordx4 v[32:35], v[13:14], off offset:48
	global_load_dwordx4 v[36:39], v[13:14], off offset:32
	;; [unrolled: 1-line block ×3, first 2 shown]
	global_load_dwordx4 v[44:47], v[13:14], off
	s_waitcnt vmcnt(4)
	v_subrev_u32_e32 v28, s16, v28
	v_lshlrev_b32_e32 v28, 2, v28
	v_ashrrev_i32_e32 v29, 31, v28
	v_lshlrev_b64 v[28:29], 3, v[28:29]
	s_waitcnt vmcnt(0)
	v_cvt_f64_f32_e32 v[56:57], v44
	v_add_co_u32_e32 v28, vcc, s10, v28
	v_addc_co_u32_e32 v29, vcc, v27, v29, vcc
	global_load_dwordx4 v[48:51], v[28:29], off offset:16
	global_load_dwordx4 v[52:55], v[28:29], off
	v_cvt_f64_f32_e32 v[28:29], v45
	s_waitcnt vmcnt(0)
	v_fma_f64 v[23:24], v[56:57], v[52:53], v[23:24]
	v_fma_f64 v[23:24], v[28:29], v[54:55], v[23:24]
	v_cvt_f64_f32_e32 v[28:29], v46
	v_fma_f64 v[23:24], v[28:29], v[48:49], v[23:24]
	v_cvt_f64_f32_e32 v[28:29], v47
	;; [unrolled: 2-line block ×14, first 2 shown]
	v_fma_f64 v[48:49], v[19:20], v[50:51], v[17:18]
	global_load_dword v17, v[25:26], off offset:-32
	s_waitcnt vmcnt(0)
	v_subrev_u32_e32 v17, s16, v17
	v_lshlrev_b32_e32 v40, 2, v17
	v_ashrrev_i32_e32 v41, 31, v40
	global_load_dwordx4 v[17:20], v[13:14], off offset:560
	global_load_dwordx4 v[21:24], v[13:14], off offset:544
	;; [unrolled: 1-line block ×4, first 2 shown]
	v_lshlrev_b64 v[40:41], 3, v[40:41]
	v_add_co_u32_e32 v52, vcc, s10, v40
	v_addc_co_u32_e32 v53, vcc, v27, v41, vcc
	global_load_dwordx4 v[40:43], v[52:53], off offset:16
	global_load_dwordx4 v[44:47], v[52:53], off
	s_waitcnt vmcnt(2)
	v_cvt_f64_f32_e32 v[50:51], v36
	v_cvt_f64_f32_e32 v[36:37], v37
	s_waitcnt vmcnt(0)
	v_fma_f64 v[28:29], v[50:51], v[44:45], v[28:29]
	v_fma_f64 v[28:29], v[36:37], v[46:47], v[28:29]
	v_cvt_f64_f32_e32 v[36:37], v38
	v_fma_f64 v[28:29], v[36:37], v[40:41], v[28:29]
	v_cvt_f64_f32_e32 v[36:37], v39
	;; [unrolled: 2-line block ×3, first 2 shown]
	v_cvt_f64_f32_e32 v[32:33], v33
	v_fma_f64 v[36:37], v[36:37], v[44:45], v[56:57]
	v_fma_f64 v[32:33], v[32:33], v[46:47], v[36:37]
	v_cvt_f64_f32_e32 v[36:37], v34
	v_cvt_f64_f32_e32 v[34:35], v35
	v_fma_f64 v[32:33], v[36:37], v[40:41], v[32:33]
	v_fma_f64 v[50:51], v[34:35], v[42:43], v[32:33]
	v_cvt_f64_f32_e32 v[32:33], v21
	;; [unrolled: 4-line block ×5, first 2 shown]
	v_cvt_f64_f32_e32 v[19:20], v20
	v_fma_f64 v[17:18], v[21:22], v[40:41], v[17:18]
	v_fma_f64 v[48:49], v[19:20], v[42:43], v[17:18]
	global_load_dword v17, v[25:26], off
	s_waitcnt vmcnt(0)
	v_subrev_u32_e32 v17, s16, v17
	v_lshlrev_b32_e32 v40, 2, v17
	v_ashrrev_i32_e32 v41, 31, v40
	global_load_dwordx4 v[17:20], v[13:14], off offset:1072
	global_load_dwordx4 v[21:24], v[13:14], off offset:1056
	;; [unrolled: 1-line block ×4, first 2 shown]
	v_lshlrev_b64 v[40:41], 3, v[40:41]
	v_add_co_u32_e32 v56, vcc, s10, v40
	v_addc_co_u32_e32 v57, vcc, v27, v41, vcc
	global_load_dwordx4 v[40:43], v[56:57], off offset:16
	global_load_dwordx4 v[44:47], v[56:57], off
	s_waitcnt vmcnt(2)
	v_cvt_f64_f32_e32 v[54:55], v36
	v_cvt_f64_f32_e32 v[36:37], v37
	s_waitcnt vmcnt(0)
	v_fma_f64 v[28:29], v[54:55], v[44:45], v[28:29]
	v_fma_f64 v[28:29], v[36:37], v[46:47], v[28:29]
	v_cvt_f64_f32_e32 v[36:37], v38
	v_fma_f64 v[28:29], v[36:37], v[40:41], v[28:29]
	v_cvt_f64_f32_e32 v[36:37], v39
	;; [unrolled: 2-line block ×3, first 2 shown]
	v_cvt_f64_f32_e32 v[32:33], v33
	v_fma_f64 v[36:37], v[36:37], v[44:45], v[50:51]
	v_fma_f64 v[32:33], v[32:33], v[46:47], v[36:37]
	v_cvt_f64_f32_e32 v[36:37], v34
	v_cvt_f64_f32_e32 v[34:35], v35
	v_fma_f64 v[32:33], v[36:37], v[40:41], v[32:33]
	v_fma_f64 v[50:51], v[34:35], v[42:43], v[32:33]
	v_cvt_f64_f32_e32 v[32:33], v21
	;; [unrolled: 4-line block ×5, first 2 shown]
	v_cvt_f64_f32_e32 v[19:20], v20
	v_fma_f64 v[17:18], v[21:22], v[40:41], v[17:18]
	v_fma_f64 v[48:49], v[19:20], v[42:43], v[17:18]
	global_load_dword v17, v[25:26], off offset:32
	s_waitcnt vmcnt(0)
	v_subrev_u32_e32 v17, s16, v17
	v_lshlrev_b32_e32 v40, 2, v17
	v_ashrrev_i32_e32 v41, 31, v40
	global_load_dwordx4 v[32:35], v[13:14], off offset:1584
	global_load_dwordx4 v[17:20], v[13:14], off offset:1568
	;; [unrolled: 1-line block ×4, first 2 shown]
	v_lshlrev_b64 v[40:41], 3, v[40:41]
	v_add_co_u32_e32 v56, vcc, s10, v40
	v_addc_co_u32_e32 v57, vcc, v27, v41, vcc
	global_load_dwordx4 v[40:43], v[56:57], off offset:16
	global_load_dwordx4 v[44:47], v[56:57], off
	v_add_co_u32_e32 v13, vcc, s8, v13
	v_addc_co_u32_e32 v14, vcc, 0, v14, vcc
	v_add_co_u32_e32 v15, vcc, 32, v15
	v_addc_co_u32_e32 v16, vcc, 0, v16, vcc
	;; [unrolled: 2-line block ×3, first 2 shown]
	v_cmp_ge_i64_e32 vcc, v[15:16], v[4:5]
	s_or_b64 s[6:7], vcc, s[6:7]
	s_waitcnt vmcnt(2)
	v_cvt_f64_f32_e32 v[54:55], v21
	v_cvt_f64_f32_e32 v[21:22], v22
	s_waitcnt vmcnt(0)
	v_fma_f64 v[28:29], v[54:55], v[44:45], v[28:29]
	v_fma_f64 v[21:22], v[21:22], v[46:47], v[28:29]
	v_cvt_f64_f32_e32 v[28:29], v23
	v_cvt_f64_f32_e32 v[23:24], v24
	v_fma_f64 v[21:22], v[28:29], v[40:41], v[21:22]
	v_cvt_f64_f32_e32 v[28:29], v37
	v_fma_f64 v[23:24], v[23:24], v[42:43], v[21:22]
	;; [unrolled: 2-line block ×3, first 2 shown]
	v_fma_f64 v[21:22], v[28:29], v[46:47], v[21:22]
	v_cvt_f64_f32_e32 v[28:29], v38
	v_fma_f64 v[21:22], v[28:29], v[40:41], v[21:22]
	v_cvt_f64_f32_e32 v[28:29], v39
	;; [unrolled: 2-line block ×3, first 2 shown]
	v_cvt_f64_f32_e32 v[17:18], v18
	v_fma_f64 v[28:29], v[28:29], v[44:45], v[52:53]
	v_fma_f64 v[17:18], v[17:18], v[46:47], v[28:29]
	v_cvt_f64_f32_e32 v[28:29], v19
	v_cvt_f64_f32_e32 v[19:20], v20
	v_fma_f64 v[17:18], v[28:29], v[40:41], v[17:18]
	v_cvt_f64_f32_e32 v[28:29], v33
	v_fma_f64 v[19:20], v[19:20], v[42:43], v[17:18]
	;; [unrolled: 2-line block ×3, first 2 shown]
	v_fma_f64 v[17:18], v[28:29], v[46:47], v[17:18]
	v_cvt_f64_f32_e32 v[28:29], v34
	v_fma_f64 v[17:18], v[28:29], v[40:41], v[17:18]
	v_cvt_f64_f32_e32 v[28:29], v35
	v_fma_f64 v[17:18], v[28:29], v[42:43], v[17:18]
	s_andn2_b64 exec, exec, s[6:7]
	s_cbranch_execnz .LBB156_21
; %bb.22:
	s_or_b64 exec, exec, s[6:7]
.LBB156_23:
	s_or_b64 exec, exec, s[2:3]
.LBB156_24:
	s_or_b64 exec, exec, s[14:15]
	s_cbranch_execz .LBB156_26
	s_branch .LBB156_37
.LBB156_25:
                                        ; implicit-def: $vgpr17_vgpr18
                                        ; implicit-def: $vgpr19_vgpr20
                                        ; implicit-def: $vgpr21_vgpr22
                                        ; implicit-def: $vgpr23_vgpr24
.LBB156_26:
	v_mov_b32_e32 v17, 0
	v_mov_b32_e32 v19, 0
	;; [unrolled: 1-line block ×8, first 2 shown]
	s_and_saveexec_b64 s[2:3], s[0:1]
	s_cbranch_execz .LBB156_36
; %bb.27:
	v_or_b32_e32 v13, 8, v31
	v_subrev_co_u32_e32 v13, vcc, s16, v13
	v_subb_co_u32_e64 v14, s[0:1], 0, 0, vcc
	v_add_co_u32_e32 v13, vcc, v13, v11
	v_addc_co_u32_e32 v14, vcc, v14, v12, vcc
	v_cmp_gt_i64_e32 vcc, v[13:14], v[4:5]
	v_not_b32_e32 v11, v11
	v_cndmask_b32_e32 v14, v5, v14, vcc
	v_cndmask_b32_e32 v13, v4, v13, vcc
	v_sub_co_u32_e32 v15, vcc, s16, v31
	v_not_b32_e32 v12, v12
	v_subb_co_u32_e64 v16, s[0:1], 0, 0, vcc
	v_add_co_u32_e32 v11, vcc, v15, v11
	v_addc_co_u32_e32 v12, vcc, v16, v12, vcc
	v_add_co_u32_e32 v11, vcc, v11, v13
	v_addc_co_u32_e32 v12, vcc, v12, v14, vcc
	v_and_b32_e32 v13, 24, v11
	v_mov_b32_e32 v14, 0
	v_cmp_ne_u64_e32 vcc, 24, v[13:14]
	v_mov_b32_e32 v23, 0
	v_mov_b32_e32 v21, 0
	;; [unrolled: 1-line block ×8, first 2 shown]
	s_and_saveexec_b64 s[6:7], vcc
	s_cbranch_execz .LBB156_31
; %bb.28:
	v_lshrrev_b32_e32 v13, 3, v11
	v_add_u32_e32 v13, 1, v13
	v_and_b32_e32 v15, 3, v13
	v_lshlrev_b64 v[13:14], 2, v[0:1]
	v_mov_b32_e32 v16, s13
	v_add_co_u32_e32 v13, vcc, s12, v13
	v_addc_co_u32_e32 v14, vcc, v16, v14, vcc
	v_sub_co_u32_e32 v15, vcc, 0, v15
	v_mov_b32_e32 v17, 0
	v_mov_b32_e32 v19, 0
	;; [unrolled: 1-line block ×4, first 2 shown]
	s_mov_b64 s[8:9], 0
	v_subb_co_u32_e64 v16, s[0:1], 0, 0, vcc
	v_mov_b32_e32 v18, 0
	s_movk_i32 s14, 0x200
	v_mov_b32_e32 v20, 0
	v_mov_b32_e32 v22, 0
	;; [unrolled: 1-line block ×3, first 2 shown]
	s_waitcnt lgkmcnt(0)
	v_mov_b32_e32 v25, s11
.LBB156_29:                             ; =>This Inner Loop Header: Depth=1
	global_load_dword v30, v[13:14], off
	global_load_dwordx4 v[26:29], v[6:7], off offset:16
	global_load_dwordx4 v[32:35], v[6:7], off
	v_add_co_u32_e64 v0, s[0:1], 8, v0
	v_addc_co_u32_e64 v1, s[0:1], 0, v1, s[0:1]
	v_add_co_u32_e64 v13, s[0:1], 32, v13
	v_addc_co_u32_e64 v14, s[0:1], 0, v14, s[0:1]
	;; [unrolled: 2-line block ×3, first 2 shown]
	v_cmp_eq_u64_e64 s[0:1], 0, v[15:16]
	s_or_b64 s[8:9], s[0:1], s[8:9]
	s_waitcnt vmcnt(2)
	v_subrev_u32_e32 v30, s16, v30
	v_lshlrev_b32_e32 v36, 2, v30
	v_ashrrev_i32_e32 v37, 31, v36
	v_lshlrev_b64 v[36:37], 3, v[36:37]
	s_waitcnt vmcnt(0)
	v_cvt_f64_f32_e32 v[54:55], v34
	v_add_co_u32_e32 v52, vcc, s10, v36
	v_addc_co_u32_e32 v53, vcc, v25, v37, vcc
	global_load_dwordx4 v[36:39], v[52:53], off
	global_load_dwordx4 v[40:43], v[52:53], off offset:16
	global_load_dwordx4 v[44:47], v[6:7], off offset:32
	global_load_dwordx4 v[48:51], v[6:7], off offset:48
	v_cvt_f64_f32_e32 v[52:53], v32
	v_cvt_f64_f32_e32 v[32:33], v33
	;; [unrolled: 1-line block ×7, first 2 shown]
	v_add_co_u32_e32 v6, vcc, s14, v6
	v_addc_co_u32_e32 v7, vcc, 0, v7, vcc
	s_waitcnt vmcnt(3)
	v_fma_f64 v[23:24], v[52:53], v[36:37], v[23:24]
	v_fma_f64 v[21:22], v[32:33], v[36:37], v[21:22]
	;; [unrolled: 1-line block ×4, first 2 shown]
	s_waitcnt vmcnt(1)
	v_cvt_f64_f32_e32 v[32:33], v44
	v_cvt_f64_f32_e32 v[34:35], v45
	s_waitcnt vmcnt(0)
	v_cvt_f64_f32_e32 v[36:37], v48
	v_fma_f64 v[23:24], v[56:57], v[38:39], v[23:24]
	v_fma_f64 v[21:22], v[26:27], v[38:39], v[21:22]
	;; [unrolled: 1-line block ×4, first 2 shown]
	v_cvt_f64_f32_e32 v[26:27], v46
	v_cvt_f64_f32_e32 v[28:29], v47
	v_fma_f64 v[23:24], v[32:33], v[40:41], v[23:24]
	v_fma_f64 v[21:22], v[34:35], v[40:41], v[21:22]
	;; [unrolled: 1-line block ×4, first 2 shown]
	v_cvt_f64_f32_e32 v[26:27], v49
	v_cvt_f64_f32_e32 v[28:29], v50
	;; [unrolled: 1-line block ×3, first 2 shown]
	v_fma_f64 v[23:24], v[36:37], v[42:43], v[23:24]
	v_fma_f64 v[21:22], v[26:27], v[42:43], v[21:22]
	;; [unrolled: 1-line block ×4, first 2 shown]
	s_andn2_b64 exec, exec, s[8:9]
	s_cbranch_execnz .LBB156_29
; %bb.30:
	s_or_b64 exec, exec, s[8:9]
.LBB156_31:
	s_or_b64 exec, exec, s[6:7]
	v_cmp_lt_u64_e32 vcc, 23, v[11:12]
	s_and_saveexec_b64 s[0:1], vcc
	s_cbranch_execz .LBB156_35
; %bb.32:
	v_lshlrev_b64 v[11:12], 2, v[0:1]
	v_mov_b32_e32 v13, s13
	v_add_co_u32_e32 v11, vcc, s12, v11
	v_addc_co_u32_e32 v12, vcc, v13, v12, vcc
	v_add_co_u32_e32 v11, vcc, 64, v11
	v_addc_co_u32_e32 v12, vcc, 0, v12, vcc
	s_mov_b64 s[6:7], 0
	s_waitcnt lgkmcnt(0)
	v_mov_b32_e32 v13, s11
	s_movk_i32 s8, 0x800
.LBB156_33:                             ; =>This Inner Loop Header: Depth=1
	global_load_dword v14, v[11:12], off offset:-64
	global_load_dwordx4 v[25:28], v[6:7], off offset:48
	global_load_dwordx4 v[32:35], v[6:7], off offset:32
	;; [unrolled: 1-line block ×3, first 2 shown]
	global_load_dwordx4 v[40:43], v[6:7], off
	s_waitcnt vmcnt(4)
	v_subrev_u32_e32 v14, s16, v14
	v_lshlrev_b32_e32 v14, 2, v14
	v_ashrrev_i32_e32 v15, 31, v14
	v_lshlrev_b64 v[14:15], 3, v[14:15]
	s_waitcnt vmcnt(0)
	v_cvt_f64_f32_e32 v[29:30], v40
	v_add_co_u32_e32 v14, vcc, s10, v14
	v_addc_co_u32_e32 v15, vcc, v13, v15, vcc
	global_load_dwordx4 v[44:47], v[14:15], off offset:16
	global_load_dwordx4 v[48:51], v[14:15], off
	s_waitcnt vmcnt(0)
	v_fma_f64 v[14:15], v[29:30], v[48:49], v[23:24]
	v_cvt_f64_f32_e32 v[23:24], v41
	v_fma_f64 v[21:22], v[23:24], v[48:49], v[21:22]
	v_cvt_f64_f32_e32 v[23:24], v42
	;; [unrolled: 2-line block ×15, first 2 shown]
	v_fma_f64 v[46:47], v[14:15], v[46:47], v[16:17]
	global_load_dword v14, v[11:12], off offset:-32
	s_waitcnt vmcnt(0)
	v_subrev_u32_e32 v14, s16, v14
	v_lshlrev_b32_e32 v32, 2, v14
	v_ashrrev_i32_e32 v33, 31, v32
	global_load_dwordx4 v[14:17], v[6:7], off offset:560
	global_load_dwordx4 v[18:21], v[6:7], off offset:544
	;; [unrolled: 1-line block ×4, first 2 shown]
	v_lshlrev_b64 v[32:33], 3, v[32:33]
	v_add_co_u32_e32 v50, vcc, s10, v32
	v_addc_co_u32_e32 v51, vcc, v13, v33, vcc
	global_load_dwordx4 v[32:35], v[50:51], off offset:16
	global_load_dwordx4 v[36:39], v[50:51], off
	s_waitcnt vmcnt(2)
	v_cvt_f64_f32_e32 v[48:49], v26
	v_cvt_f64_f32_e32 v[26:27], v27
	s_waitcnt vmcnt(0)
	v_fma_f64 v[26:27], v[26:27], v[36:37], v[42:43]
	v_cvt_f64_f32_e32 v[42:43], v28
	v_cvt_f64_f32_e32 v[28:29], v29
	v_fma_f64 v[40:41], v[48:49], v[36:37], v[40:41]
	v_fma_f64 v[42:43], v[42:43], v[36:37], v[44:45]
	;; [unrolled: 1-line block ×3, first 2 shown]
	v_cvt_f64_f32_e32 v[36:37], v22
	v_cvt_f64_f32_e32 v[22:23], v23
	v_fma_f64 v[36:37], v[36:37], v[38:39], v[40:41]
	v_fma_f64 v[22:23], v[22:23], v[38:39], v[26:27]
	v_cvt_f64_f32_e32 v[26:27], v24
	v_cvt_f64_f32_e32 v[24:25], v25
	v_fma_f64 v[26:27], v[26:27], v[38:39], v[42:43]
	v_fma_f64 v[24:25], v[24:25], v[38:39], v[28:29]
	;; [unrolled: 4-line block ×5, first 2 shown]
	v_cvt_f64_f32_e32 v[14:15], v16
	v_fma_f64 v[44:45], v[14:15], v[34:35], v[22:23]
	v_cvt_f64_f32_e32 v[14:15], v17
	v_fma_f64 v[46:47], v[14:15], v[34:35], v[20:21]
	global_load_dword v14, v[11:12], off
	s_waitcnt vmcnt(0)
	v_subrev_u32_e32 v14, s16, v14
	v_lshlrev_b32_e32 v32, 2, v14
	v_ashrrev_i32_e32 v33, 31, v32
	global_load_dwordx4 v[14:17], v[6:7], off offset:1072
	global_load_dwordx4 v[18:21], v[6:7], off offset:1056
	;; [unrolled: 1-line block ×4, first 2 shown]
	v_lshlrev_b64 v[32:33], 3, v[32:33]
	v_add_co_u32_e32 v50, vcc, s10, v32
	v_addc_co_u32_e32 v51, vcc, v13, v33, vcc
	global_load_dwordx4 v[32:35], v[50:51], off offset:16
	global_load_dwordx4 v[36:39], v[50:51], off
	s_waitcnt vmcnt(2)
	v_cvt_f64_f32_e32 v[48:49], v26
	v_cvt_f64_f32_e32 v[26:27], v27
	s_waitcnt vmcnt(0)
	v_fma_f64 v[26:27], v[26:27], v[36:37], v[42:43]
	v_cvt_f64_f32_e32 v[42:43], v28
	v_cvt_f64_f32_e32 v[28:29], v29
	v_fma_f64 v[40:41], v[48:49], v[36:37], v[40:41]
	v_fma_f64 v[42:43], v[42:43], v[36:37], v[44:45]
	;; [unrolled: 1-line block ×3, first 2 shown]
	v_cvt_f64_f32_e32 v[36:37], v22
	v_cvt_f64_f32_e32 v[22:23], v23
	v_fma_f64 v[36:37], v[36:37], v[38:39], v[40:41]
	v_fma_f64 v[22:23], v[22:23], v[38:39], v[26:27]
	v_cvt_f64_f32_e32 v[26:27], v24
	v_cvt_f64_f32_e32 v[24:25], v25
	v_fma_f64 v[26:27], v[26:27], v[38:39], v[42:43]
	v_fma_f64 v[24:25], v[24:25], v[38:39], v[28:29]
	;; [unrolled: 4-line block ×5, first 2 shown]
	v_cvt_f64_f32_e32 v[14:15], v16
	v_fma_f64 v[44:45], v[14:15], v[34:35], v[22:23]
	v_cvt_f64_f32_e32 v[14:15], v17
	v_fma_f64 v[46:47], v[14:15], v[34:35], v[20:21]
	global_load_dword v14, v[11:12], off offset:32
	s_waitcnt vmcnt(0)
	v_subrev_u32_e32 v14, s16, v14
	v_lshlrev_b32_e32 v32, 2, v14
	v_ashrrev_i32_e32 v33, 31, v32
	global_load_dwordx4 v[14:17], v[6:7], off offset:1584
	global_load_dwordx4 v[18:21], v[6:7], off offset:1568
	;; [unrolled: 1-line block ×4, first 2 shown]
	v_lshlrev_b64 v[32:33], 3, v[32:33]
	v_add_co_u32_e32 v50, vcc, s10, v32
	v_addc_co_u32_e32 v51, vcc, v13, v33, vcc
	global_load_dwordx4 v[32:35], v[50:51], off offset:16
	global_load_dwordx4 v[36:39], v[50:51], off
	v_add_co_u32_e32 v6, vcc, s8, v6
	v_addc_co_u32_e32 v7, vcc, 0, v7, vcc
	v_add_co_u32_e32 v0, vcc, 32, v0
	v_addc_co_u32_e32 v1, vcc, 0, v1, vcc
	v_add_co_u32_e32 v11, vcc, 0x80, v11
	v_addc_co_u32_e32 v12, vcc, 0, v12, vcc
	v_cmp_ge_i64_e32 vcc, v[0:1], v[4:5]
	s_or_b64 s[6:7], vcc, s[6:7]
	s_waitcnt vmcnt(2)
	v_cvt_f64_f32_e32 v[48:49], v26
	v_cvt_f64_f32_e32 v[26:27], v27
	s_waitcnt vmcnt(0)
	v_fma_f64 v[40:41], v[48:49], v[36:37], v[40:41]
	v_fma_f64 v[26:27], v[26:27], v[36:37], v[42:43]
	v_cvt_f64_f32_e32 v[42:43], v28
	v_cvt_f64_f32_e32 v[28:29], v29
	v_fma_f64 v[42:43], v[42:43], v[36:37], v[44:45]
	v_fma_f64 v[28:29], v[28:29], v[36:37], v[46:47]
	v_cvt_f64_f32_e32 v[36:37], v22
	v_cvt_f64_f32_e32 v[22:23], v23
	;; [unrolled: 4-line block ×6, first 2 shown]
	v_fma_f64 v[23:24], v[20:21], v[34:35], v[28:29]
	v_fma_f64 v[21:22], v[14:15], v[34:35], v[18:19]
	v_cvt_f64_f32_e32 v[14:15], v16
	v_fma_f64 v[19:20], v[14:15], v[34:35], v[26:27]
	v_cvt_f64_f32_e32 v[14:15], v17
	v_fma_f64 v[17:18], v[14:15], v[34:35], v[32:33]
	s_andn2_b64 exec, exec, s[6:7]
	s_cbranch_execnz .LBB156_33
; %bb.34:
	s_or_b64 exec, exec, s[6:7]
.LBB156_35:
	s_or_b64 exec, exec, s[0:1]
.LBB156_36:
	s_or_b64 exec, exec, s[2:3]
.LBB156_37:
	v_mov_b32_dpp v0, v23 row_shr:1 row_mask:0xf bank_mask:0xf
	v_mov_b32_dpp v1, v24 row_shr:1 row_mask:0xf bank_mask:0xf
	v_add_f64 v[0:1], v[23:24], v[0:1]
	v_mov_b32_dpp v4, v21 row_shr:1 row_mask:0xf bank_mask:0xf
	v_mov_b32_dpp v5, v22 row_shr:1 row_mask:0xf bank_mask:0xf
	;; [unrolled: 1-line block ×4, first 2 shown]
	v_add_f64 v[4:5], v[21:22], v[4:5]
	v_add_f64 v[6:7], v[19:20], v[6:7]
	v_mov_b32_dpp v13, v17 row_shr:1 row_mask:0xf bank_mask:0xf
	v_mov_b32_dpp v14, v18 row_shr:1 row_mask:0xf bank_mask:0xf
	v_add_f64 v[13:14], v[17:18], v[13:14]
	v_mov_b32_dpp v11, v0 row_shr:2 row_mask:0xf bank_mask:0xf
	v_mov_b32_dpp v12, v1 row_shr:2 row_mask:0xf bank_mask:0xf
	;; [unrolled: 3-line block ×6, first 2 shown]
	v_mov_b32_dpp v17, v4 row_shr:4 row_mask:0xf bank_mask:0xe
	v_mov_b32_dpp v18, v5 row_shr:4 row_mask:0xf bank_mask:0xe
	;; [unrolled: 1-line block ×4, first 2 shown]
	v_cmp_eq_u32_e32 vcc, 7, v31
	v_mov_b32_dpp v13, v11 row_shr:4 row_mask:0xf bank_mask:0xe
	v_mov_b32_dpp v14, v12 row_shr:4 row_mask:0xf bank_mask:0xe
	s_and_b64 exec, exec, vcc
	s_cbranch_execz .LBB156_10
; %bb.38:
	v_add_f64 v[0:1], v[0:1], v[19:20]
	v_add_f64 v[17:18], v[4:5], v[17:18]
	;; [unrolled: 1-line block ×4, first 2 shown]
	v_cmp_eq_f64_e32 vcc, 0, v[8:9]
	s_load_dwordx2 s[0:1], s[4:5], 0x50
	v_lshlrev_b32_e32 v10, 2, v10
	v_mul_f64 v[4:5], v[2:3], v[0:1]
	v_mul_f64 v[6:7], v[2:3], v[17:18]
	;; [unrolled: 1-line block ×4, first 2 shown]
	s_and_saveexec_b64 s[2:3], vcc
	s_xor_b64 s[2:3], exec, s[2:3]
	s_cbranch_execz .LBB156_40
; %bb.39:
	v_ashrrev_i32_e32 v11, 31, v10
	v_lshlrev_b64 v[8:9], 3, v[10:11]
	s_waitcnt lgkmcnt(0)
	v_mov_b32_e32 v10, s1
	v_add_co_u32_e32 v8, vcc, s0, v8
	v_addc_co_u32_e32 v9, vcc, v10, v9, vcc
	global_store_dwordx4 v[8:9], v[4:7], off
	global_store_dwordx4 v[8:9], v[0:3], off offset:16
                                        ; implicit-def: $vgpr10
                                        ; implicit-def: $vgpr8_vgpr9
                                        ; implicit-def: $vgpr4_vgpr5
                                        ; implicit-def: $vgpr0_vgpr1
.LBB156_40:
	s_andn2_saveexec_b64 s[2:3], s[2:3]
	s_cbranch_execz .LBB156_10
; %bb.41:
	v_ashrrev_i32_e32 v11, 31, v10
	v_lshlrev_b64 v[10:11], 3, v[10:11]
	s_waitcnt lgkmcnt(0)
	v_mov_b32_e32 v12, s1
	v_add_co_u32_e32 v18, vcc, s0, v10
	v_addc_co_u32_e32 v19, vcc, v12, v11, vcc
	global_load_dwordx4 v[10:13], v[18:19], off
	global_load_dwordx4 v[14:17], v[18:19], off offset:16
	s_waitcnt vmcnt(1)
	v_fma_f64 v[4:5], v[8:9], v[10:11], v[4:5]
	v_fma_f64 v[6:7], v[8:9], v[12:13], v[6:7]
	s_waitcnt vmcnt(0)
	v_fma_f64 v[0:1], v[8:9], v[14:15], v[0:1]
	v_fma_f64 v[2:3], v[8:9], v[16:17], v[2:3]
	global_store_dwordx4 v[18:19], v[4:7], off
	global_store_dwordx4 v[18:19], v[0:3], off offset:16
	s_endpgm
	.section	.rodata,"a",@progbits
	.p2align	6, 0x0
	.amdhsa_kernel _ZN9rocsparseL18bsrxmvn_4x4_kernelILj128ELj8EdlifddEEvT3_20rocsparse_direction_NS_24const_host_device_scalarIT1_EES1_PKS1_PKT2_SA_S7_PKT4_PKT5_S5_PT6_21rocsparse_index_base_b
		.amdhsa_group_segment_fixed_size 0
		.amdhsa_private_segment_fixed_size 0
		.amdhsa_kernarg_size 96
		.amdhsa_user_sgpr_count 6
		.amdhsa_user_sgpr_private_segment_buffer 1
		.amdhsa_user_sgpr_dispatch_ptr 0
		.amdhsa_user_sgpr_queue_ptr 0
		.amdhsa_user_sgpr_kernarg_segment_ptr 1
		.amdhsa_user_sgpr_dispatch_id 0
		.amdhsa_user_sgpr_flat_scratch_init 0
		.amdhsa_user_sgpr_private_segment_size 0
		.amdhsa_uses_dynamic_stack 0
		.amdhsa_system_sgpr_private_segment_wavefront_offset 0
		.amdhsa_system_sgpr_workgroup_id_x 1
		.amdhsa_system_sgpr_workgroup_id_y 0
		.amdhsa_system_sgpr_workgroup_id_z 0
		.amdhsa_system_sgpr_workgroup_info 0
		.amdhsa_system_vgpr_workitem_id 0
		.amdhsa_next_free_vgpr 60
		.amdhsa_next_free_sgpr 22
		.amdhsa_reserve_vcc 1
		.amdhsa_reserve_flat_scratch 0
		.amdhsa_float_round_mode_32 0
		.amdhsa_float_round_mode_16_64 0
		.amdhsa_float_denorm_mode_32 3
		.amdhsa_float_denorm_mode_16_64 3
		.amdhsa_dx10_clamp 1
		.amdhsa_ieee_mode 1
		.amdhsa_fp16_overflow 0
		.amdhsa_exception_fp_ieee_invalid_op 0
		.amdhsa_exception_fp_denorm_src 0
		.amdhsa_exception_fp_ieee_div_zero 0
		.amdhsa_exception_fp_ieee_overflow 0
		.amdhsa_exception_fp_ieee_underflow 0
		.amdhsa_exception_fp_ieee_inexact 0
		.amdhsa_exception_int_div_zero 0
	.end_amdhsa_kernel
	.section	.text._ZN9rocsparseL18bsrxmvn_4x4_kernelILj128ELj8EdlifddEEvT3_20rocsparse_direction_NS_24const_host_device_scalarIT1_EES1_PKS1_PKT2_SA_S7_PKT4_PKT5_S5_PT6_21rocsparse_index_base_b,"axG",@progbits,_ZN9rocsparseL18bsrxmvn_4x4_kernelILj128ELj8EdlifddEEvT3_20rocsparse_direction_NS_24const_host_device_scalarIT1_EES1_PKS1_PKT2_SA_S7_PKT4_PKT5_S5_PT6_21rocsparse_index_base_b,comdat
.Lfunc_end156:
	.size	_ZN9rocsparseL18bsrxmvn_4x4_kernelILj128ELj8EdlifddEEvT3_20rocsparse_direction_NS_24const_host_device_scalarIT1_EES1_PKS1_PKT2_SA_S7_PKT4_PKT5_S5_PT6_21rocsparse_index_base_b, .Lfunc_end156-_ZN9rocsparseL18bsrxmvn_4x4_kernelILj128ELj8EdlifddEEvT3_20rocsparse_direction_NS_24const_host_device_scalarIT1_EES1_PKS1_PKT2_SA_S7_PKT4_PKT5_S5_PT6_21rocsparse_index_base_b
                                        ; -- End function
	.set _ZN9rocsparseL18bsrxmvn_4x4_kernelILj128ELj8EdlifddEEvT3_20rocsparse_direction_NS_24const_host_device_scalarIT1_EES1_PKS1_PKT2_SA_S7_PKT4_PKT5_S5_PT6_21rocsparse_index_base_b.num_vgpr, 60
	.set _ZN9rocsparseL18bsrxmvn_4x4_kernelILj128ELj8EdlifddEEvT3_20rocsparse_direction_NS_24const_host_device_scalarIT1_EES1_PKS1_PKT2_SA_S7_PKT4_PKT5_S5_PT6_21rocsparse_index_base_b.num_agpr, 0
	.set _ZN9rocsparseL18bsrxmvn_4x4_kernelILj128ELj8EdlifddEEvT3_20rocsparse_direction_NS_24const_host_device_scalarIT1_EES1_PKS1_PKT2_SA_S7_PKT4_PKT5_S5_PT6_21rocsparse_index_base_b.numbered_sgpr, 22
	.set _ZN9rocsparseL18bsrxmvn_4x4_kernelILj128ELj8EdlifddEEvT3_20rocsparse_direction_NS_24const_host_device_scalarIT1_EES1_PKS1_PKT2_SA_S7_PKT4_PKT5_S5_PT6_21rocsparse_index_base_b.num_named_barrier, 0
	.set _ZN9rocsparseL18bsrxmvn_4x4_kernelILj128ELj8EdlifddEEvT3_20rocsparse_direction_NS_24const_host_device_scalarIT1_EES1_PKS1_PKT2_SA_S7_PKT4_PKT5_S5_PT6_21rocsparse_index_base_b.private_seg_size, 0
	.set _ZN9rocsparseL18bsrxmvn_4x4_kernelILj128ELj8EdlifddEEvT3_20rocsparse_direction_NS_24const_host_device_scalarIT1_EES1_PKS1_PKT2_SA_S7_PKT4_PKT5_S5_PT6_21rocsparse_index_base_b.uses_vcc, 1
	.set _ZN9rocsparseL18bsrxmvn_4x4_kernelILj128ELj8EdlifddEEvT3_20rocsparse_direction_NS_24const_host_device_scalarIT1_EES1_PKS1_PKT2_SA_S7_PKT4_PKT5_S5_PT6_21rocsparse_index_base_b.uses_flat_scratch, 0
	.set _ZN9rocsparseL18bsrxmvn_4x4_kernelILj128ELj8EdlifddEEvT3_20rocsparse_direction_NS_24const_host_device_scalarIT1_EES1_PKS1_PKT2_SA_S7_PKT4_PKT5_S5_PT6_21rocsparse_index_base_b.has_dyn_sized_stack, 0
	.set _ZN9rocsparseL18bsrxmvn_4x4_kernelILj128ELj8EdlifddEEvT3_20rocsparse_direction_NS_24const_host_device_scalarIT1_EES1_PKS1_PKT2_SA_S7_PKT4_PKT5_S5_PT6_21rocsparse_index_base_b.has_recursion, 0
	.set _ZN9rocsparseL18bsrxmvn_4x4_kernelILj128ELj8EdlifddEEvT3_20rocsparse_direction_NS_24const_host_device_scalarIT1_EES1_PKS1_PKT2_SA_S7_PKT4_PKT5_S5_PT6_21rocsparse_index_base_b.has_indirect_call, 0
	.section	.AMDGPU.csdata,"",@progbits
; Kernel info:
; codeLenInByte = 4832
; TotalNumSgprs: 26
; NumVgprs: 60
; ScratchSize: 0
; MemoryBound: 0
; FloatMode: 240
; IeeeMode: 1
; LDSByteSize: 0 bytes/workgroup (compile time only)
; SGPRBlocks: 3
; VGPRBlocks: 14
; NumSGPRsForWavesPerEU: 26
; NumVGPRsForWavesPerEU: 60
; Occupancy: 4
; WaveLimiterHint : 1
; COMPUTE_PGM_RSRC2:SCRATCH_EN: 0
; COMPUTE_PGM_RSRC2:USER_SGPR: 6
; COMPUTE_PGM_RSRC2:TRAP_HANDLER: 0
; COMPUTE_PGM_RSRC2:TGID_X_EN: 1
; COMPUTE_PGM_RSRC2:TGID_Y_EN: 0
; COMPUTE_PGM_RSRC2:TGID_Z_EN: 0
; COMPUTE_PGM_RSRC2:TIDIG_COMP_CNT: 0
	.section	.text._ZN9rocsparseL18bsrxmvn_4x4_kernelILj128ELj16EdlifddEEvT3_20rocsparse_direction_NS_24const_host_device_scalarIT1_EES1_PKS1_PKT2_SA_S7_PKT4_PKT5_S5_PT6_21rocsparse_index_base_b,"axG",@progbits,_ZN9rocsparseL18bsrxmvn_4x4_kernelILj128ELj16EdlifddEEvT3_20rocsparse_direction_NS_24const_host_device_scalarIT1_EES1_PKS1_PKT2_SA_S7_PKT4_PKT5_S5_PT6_21rocsparse_index_base_b,comdat
	.globl	_ZN9rocsparseL18bsrxmvn_4x4_kernelILj128ELj16EdlifddEEvT3_20rocsparse_direction_NS_24const_host_device_scalarIT1_EES1_PKS1_PKT2_SA_S7_PKT4_PKT5_S5_PT6_21rocsparse_index_base_b ; -- Begin function _ZN9rocsparseL18bsrxmvn_4x4_kernelILj128ELj16EdlifddEEvT3_20rocsparse_direction_NS_24const_host_device_scalarIT1_EES1_PKS1_PKT2_SA_S7_PKT4_PKT5_S5_PT6_21rocsparse_index_base_b
	.p2align	8
	.type	_ZN9rocsparseL18bsrxmvn_4x4_kernelILj128ELj16EdlifddEEvT3_20rocsparse_direction_NS_24const_host_device_scalarIT1_EES1_PKS1_PKT2_SA_S7_PKT4_PKT5_S5_PT6_21rocsparse_index_base_b,@function
_ZN9rocsparseL18bsrxmvn_4x4_kernelILj128ELj16EdlifddEEvT3_20rocsparse_direction_NS_24const_host_device_scalarIT1_EES1_PKS1_PKT2_SA_S7_PKT4_PKT5_S5_PT6_21rocsparse_index_base_b: ; @_ZN9rocsparseL18bsrxmvn_4x4_kernelILj128ELj16EdlifddEEvT3_20rocsparse_direction_NS_24const_host_device_scalarIT1_EES1_PKS1_PKT2_SA_S7_PKT4_PKT5_S5_PT6_21rocsparse_index_base_b
; %bb.0:
	s_load_dwordx2 s[16:17], s[4:5], 0x58
	s_load_dwordx2 s[8:9], s[4:5], 0x8
	;; [unrolled: 1-line block ×3, first 2 shown]
	s_waitcnt lgkmcnt(0)
	s_bitcmp1_b32 s17, 0
	s_cselect_b64 s[10:11], -1, 0
	v_mov_b32_e32 v2, s8
	s_xor_b64 s[2:3], s[10:11], -1
	s_and_b64 vcc, exec, s[10:11]
	v_mov_b32_e32 v3, s9
	s_cbranch_vccnz .LBB157_2
; %bb.1:
	v_mov_b32_e32 v1, s8
	v_mov_b32_e32 v2, s9
	flat_load_dwordx2 v[2:3], v[1:2]
.LBB157_2:
	v_mov_b32_e32 v9, s1
	s_andn2_b64 vcc, exec, s[2:3]
	v_mov_b32_e32 v8, s0
	s_cbranch_vccnz .LBB157_4
; %bb.3:
	v_mov_b32_e32 v5, s1
	v_mov_b32_e32 v4, s0
	flat_load_dwordx2 v[8:9], v[4:5]
.LBB157_4:
	s_waitcnt vmcnt(0) lgkmcnt(0)
	v_cmp_neq_f64_e32 vcc, 0, v[2:3]
	v_cmp_neq_f64_e64 s[0:1], 1.0, v[8:9]
	s_mov_b64 s[2:3], 0
	s_or_b64 s[0:1], vcc, s[0:1]
	s_and_saveexec_b64 s[8:9], s[0:1]
	s_cbranch_execz .LBB157_10
; %bb.5:
	s_load_dwordx2 s[8:9], s[4:5], 0x18
	s_load_dwordx2 s[0:1], s[4:5], 0x0
	v_lshrrev_b32_e32 v1, 4, v0
	v_lshl_or_b32 v10, s6, 3, v1
	s_mov_b64 s[6:7], 0
	s_waitcnt lgkmcnt(0)
	s_cmp_lg_u64 s[8:9], 0
	s_cbranch_scc0 .LBB157_11
; %bb.6:
	s_load_dword s2, s[4:5], 0x10
                                        ; implicit-def: $vgpr1
	s_waitcnt lgkmcnt(0)
	v_cmp_gt_i32_e32 vcc, s2, v10
	s_and_saveexec_b64 s[2:3], vcc
	s_xor_b64 s[2:3], exec, s[2:3]
	s_cbranch_execz .LBB157_8
; %bb.7:
	v_ashrrev_i32_e32 v11, 31, v10
	v_lshlrev_b64 v[4:5], 2, v[10:11]
	v_mov_b32_e32 v1, s9
	v_add_co_u32_e32 v4, vcc, s8, v4
	v_addc_co_u32_e32 v5, vcc, v1, v5, vcc
	global_load_dword v1, v[4:5], off
	s_mov_b64 s[6:7], exec
	s_waitcnt vmcnt(0)
	v_subrev_u32_e32 v1, s16, v1
.LBB157_8:
	s_or_b64 exec, exec, s[2:3]
	s_mov_b64 s[2:3], s[6:7]
	s_branch .LBB157_12
.LBB157_9:
	v_cmp_gt_i32_e32 vcc, s0, v10
	s_andn2_b64 s[2:3], s[2:3], exec
	s_and_b64 s[6:7], vcc, exec
	s_or_b64 s[2:3], s[2:3], s[6:7]
	s_and_b64 exec, exec, s[2:3]
	s_cbranch_execnz .LBB157_13
.LBB157_10:
	s_endpgm
.LBB157_11:
                                        ; implicit-def: $vgpr1
	s_cbranch_execnz .LBB157_9
.LBB157_12:
	v_mov_b32_e32 v10, v1
	s_and_b64 exec, exec, s[2:3]
	s_cbranch_execz .LBB157_10
.LBB157_13:
	s_load_dwordx8 s[8:15], s[4:5], 0x20
	v_ashrrev_i32_e32 v11, 31, v10
	v_lshlrev_b64 v[4:5], 3, v[10:11]
	v_and_b32_e32 v31, 15, v0
	s_waitcnt lgkmcnt(0)
	v_mov_b32_e32 v1, s9
	v_add_co_u32_e32 v6, vcc, s8, v4
	v_addc_co_u32_e32 v7, vcc, v1, v5, vcc
	v_add_co_u32_e32 v1, vcc, 8, v6
	global_load_dwordx2 v[11:12], v[6:7], off
	v_addc_co_u32_e32 v6, vcc, 0, v7, vcc
	v_mov_b32_e32 v7, s11
	v_add_co_u32_e32 v4, vcc, s10, v4
	s_cmp_eq_u64 s[10:11], 0
	v_addc_co_u32_e32 v5, vcc, v7, v5, vcc
	s_cselect_b64 vcc, -1, 0
	v_cndmask_b32_e32 v5, v5, v6, vcc
	v_cndmask_b32_e32 v4, v4, v1, vcc
	global_load_dwordx2 v[4:5], v[4:5], off
	s_load_dwordx2 s[10:11], s[4:5], 0x40
	v_mov_b32_e32 v13, s15
	s_cmp_eq_u32 s1, 1
	s_waitcnt vmcnt(1)
	v_subrev_co_u32_e32 v0, vcc, s16, v11
	v_subbrev_co_u32_e32 v1, vcc, 0, v12, vcc
	v_add_co_u32_e32 v0, vcc, v0, v31
	v_addc_co_u32_e32 v1, vcc, 0, v1, vcc
	v_lshlrev_b64 v[6:7], 6, v[0:1]
	s_waitcnt vmcnt(0)
	v_subrev_co_u32_e32 v4, vcc, s16, v4
	v_subbrev_co_u32_e32 v5, vcc, 0, v5, vcc
	v_cmp_lt_i64_e64 s[0:1], v[0:1], v[4:5]
	v_add_co_u32_e32 v6, vcc, s14, v6
	v_addc_co_u32_e32 v7, vcc, v13, v7, vcc
	s_cbranch_scc1 .LBB157_25
; %bb.14:
	v_mov_b32_e32 v17, 0
	v_mov_b32_e32 v19, 0
	;; [unrolled: 1-line block ×8, first 2 shown]
	s_and_saveexec_b64 s[14:15], s[0:1]
	s_cbranch_execz .LBB157_24
; %bb.15:
	v_or_b32_e32 v13, 16, v31
	v_subrev_co_u32_e32 v13, vcc, s16, v13
	v_subb_co_u32_e64 v14, s[2:3], 0, 0, vcc
	v_add_co_u32_e32 v13, vcc, v13, v11
	v_addc_co_u32_e32 v14, vcc, v14, v12, vcc
	v_cmp_gt_i64_e32 vcc, v[13:14], v[4:5]
	v_not_b32_e32 v16, v11
	v_cndmask_b32_e32 v14, v5, v14, vcc
	v_cndmask_b32_e32 v13, v4, v13, vcc
	v_sub_co_u32_e32 v17, vcc, s16, v31
	v_not_b32_e32 v15, v12
	v_subb_co_u32_e64 v18, s[2:3], 0, 0, vcc
	v_add_co_u32_e32 v16, vcc, v17, v16
	v_addc_co_u32_e32 v15, vcc, v18, v15, vcc
	v_add_co_u32_e32 v25, vcc, v16, v13
	v_addc_co_u32_e32 v26, vcc, v15, v14, vcc
	v_and_b32_e32 v13, 48, v25
	v_mov_b32_e32 v14, 0
	v_cmp_ne_u64_e32 vcc, 48, v[13:14]
	v_mov_b32_e32 v23, 0
	v_mov_b32_e32 v21, 0
	;; [unrolled: 1-line block ×12, first 2 shown]
	s_and_saveexec_b64 s[18:19], vcc
	s_cbranch_execz .LBB157_19
; %bb.16:
	v_lshrrev_b32_e32 v13, 4, v25
	v_add_u32_e32 v13, 1, v13
	v_and_b32_e32 v15, 3, v13
	v_lshlrev_b64 v[13:14], 2, v[0:1]
	v_mov_b32_e32 v16, s13
	v_add_co_u32_e32 v27, vcc, s12, v13
	v_addc_co_u32_e32 v28, vcc, v16, v14, vcc
	v_sub_co_u32_e32 v29, vcc, 0, v15
	v_mov_b32_e32 v17, 0
	v_mov_b32_e32 v14, v7
	;; [unrolled: 1-line block ×6, first 2 shown]
	s_mov_b64 s[20:21], 0
	v_subb_co_u32_e64 v30, s[2:3], 0, 0, vcc
	v_mov_b32_e32 v18, 0
	s_movk_i32 s17, 0x400
	s_waitcnt lgkmcnt(0)
	v_mov_b32_e32 v32, s11
	v_mov_b32_e32 v13, v6
	;; [unrolled: 1-line block ×6, first 2 shown]
.LBB157_17:                             ; =>This Inner Loop Header: Depth=1
	global_load_dword v45, v[27:28], off
	global_load_dwordx4 v[33:36], v[13:14], off
	global_load_dwordx4 v[37:40], v[13:14], off offset:16
	global_load_dwordx4 v[41:44], v[13:14], off offset:32
	v_add_co_u32_e64 v15, s[2:3], 16, v15
	v_add_co_u32_e64 v27, s[6:7], 64, v27
	;; [unrolled: 1-line block ×3, first 2 shown]
	v_addc_co_u32_e64 v16, s[2:3], 0, v16, s[2:3]
	v_addc_co_u32_e64 v28, s[2:3], 0, v28, s[6:7]
	;; [unrolled: 1-line block ×3, first 2 shown]
	v_cmp_eq_u64_e64 s[2:3], 0, v[29:30]
	s_or_b64 s[20:21], s[2:3], s[20:21]
	s_waitcnt vmcnt(3)
	v_subrev_u32_e32 v45, s16, v45
	v_lshlrev_b32_e32 v45, 2, v45
	v_ashrrev_i32_e32 v46, 31, v45
	v_lshlrev_b64 v[45:46], 3, v[45:46]
	s_waitcnt vmcnt(2)
	v_cvt_f64_f32_e32 v[49:50], v33
	v_add_co_u32_e32 v51, vcc, s10, v45
	v_addc_co_u32_e32 v52, vcc, v32, v46, vcc
	global_load_dwordx4 v[45:48], v[51:52], off
	v_cvt_f64_f32_e32 v[33:34], v34
	s_waitcnt vmcnt(0)
	v_fma_f64 v[23:24], v[49:50], v[45:46], v[23:24]
	v_cvt_f64_f32_e32 v[49:50], v37
	v_fma_f64 v[49:50], v[49:50], v[45:46], v[21:22]
	v_cvt_f64_f32_e32 v[21:22], v41
	;; [unrolled: 2-line block ×3, first 2 shown]
	v_fma_f64 v[53:54], v[21:22], v[45:46], v[19:20]
	global_load_dwordx4 v[19:22], v[13:14], off offset:48
	v_add_co_u32_e32 v13, vcc, s17, v13
	v_fma_f64 v[37:38], v[33:34], v[47:48], v[49:50]
	v_cvt_f64_f32_e32 v[33:34], v42
	v_addc_co_u32_e32 v14, vcc, 0, v14, vcc
	v_fma_f64 v[41:42], v[33:34], v[47:48], v[53:54]
	s_waitcnt vmcnt(0)
	v_cvt_f64_f32_e32 v[55:56], v19
	v_cvt_f64_f32_e32 v[19:20], v20
	v_fma_f64 v[17:18], v[55:56], v[45:46], v[17:18]
	v_cvt_f64_f32_e32 v[45:46], v36
	v_fma_f64 v[17:18], v[19:20], v[47:48], v[17:18]
	v_cvt_f64_f32_e32 v[19:20], v35
	global_load_dwordx4 v[33:36], v[51:52], off offset:16
	s_waitcnt vmcnt(0)
	v_fma_f64 v[19:20], v[19:20], v[33:34], v[23:24]
	v_cvt_f64_f32_e32 v[23:24], v39
	v_fma_f64 v[37:38], v[23:24], v[33:34], v[37:38]
	v_cvt_f64_f32_e32 v[23:24], v43
	;; [unrolled: 2-line block ×4, first 2 shown]
	v_cvt_f64_f32_e32 v[39:40], v44
	v_cvt_f64_f32_e32 v[43:44], v22
	v_fma_f64 v[23:24], v[45:46], v[35:36], v[19:20]
	v_fma_f64 v[21:22], v[33:34], v[35:36], v[37:38]
	;; [unrolled: 1-line block ×4, first 2 shown]
	s_andn2_b64 exec, exec, s[20:21]
	s_cbranch_execnz .LBB157_17
; %bb.18:
	s_or_b64 exec, exec, s[20:21]
.LBB157_19:
	s_or_b64 exec, exec, s[18:19]
	v_cmp_lt_u64_e32 vcc, 47, v[25:26]
	s_and_saveexec_b64 s[2:3], vcc
	s_cbranch_execz .LBB157_23
; %bb.20:
	v_lshlrev_b64 v[25:26], 2, v[15:16]
	v_mov_b32_e32 v27, s13
	v_add_co_u32_e32 v25, vcc, s12, v25
	v_addc_co_u32_e32 v26, vcc, v27, v26, vcc
	v_add_co_u32_e32 v25, vcc, 0x80, v25
	v_addc_co_u32_e32 v26, vcc, 0, v26, vcc
	s_mov_b64 s[6:7], 0
	s_waitcnt lgkmcnt(0)
	v_mov_b32_e32 v27, s11
	s_movk_i32 s8, 0x1000
.LBB157_21:                             ; =>This Inner Loop Header: Depth=1
	global_load_dword v28, v[25:26], off offset:-128
	global_load_dwordx4 v[32:35], v[13:14], off offset:48
	global_load_dwordx4 v[36:39], v[13:14], off offset:32
	;; [unrolled: 1-line block ×3, first 2 shown]
	global_load_dwordx4 v[44:47], v[13:14], off
	s_waitcnt vmcnt(4)
	v_subrev_u32_e32 v28, s16, v28
	v_lshlrev_b32_e32 v28, 2, v28
	v_ashrrev_i32_e32 v29, 31, v28
	v_lshlrev_b64 v[28:29], 3, v[28:29]
	s_waitcnt vmcnt(0)
	v_cvt_f64_f32_e32 v[56:57], v44
	v_add_co_u32_e32 v28, vcc, s10, v28
	v_addc_co_u32_e32 v29, vcc, v27, v29, vcc
	global_load_dwordx4 v[48:51], v[28:29], off offset:16
	global_load_dwordx4 v[52:55], v[28:29], off
	v_cvt_f64_f32_e32 v[28:29], v45
	s_waitcnt vmcnt(0)
	v_fma_f64 v[23:24], v[56:57], v[52:53], v[23:24]
	v_fma_f64 v[23:24], v[28:29], v[54:55], v[23:24]
	v_cvt_f64_f32_e32 v[28:29], v46
	v_fma_f64 v[23:24], v[28:29], v[48:49], v[23:24]
	v_cvt_f64_f32_e32 v[28:29], v47
	;; [unrolled: 2-line block ×14, first 2 shown]
	v_fma_f64 v[48:49], v[19:20], v[50:51], v[17:18]
	global_load_dword v17, v[25:26], off offset:-64
	s_waitcnt vmcnt(0)
	v_subrev_u32_e32 v17, s16, v17
	v_lshlrev_b32_e32 v40, 2, v17
	v_ashrrev_i32_e32 v41, 31, v40
	global_load_dwordx4 v[17:20], v[13:14], off offset:1072
	global_load_dwordx4 v[21:24], v[13:14], off offset:1056
	;; [unrolled: 1-line block ×4, first 2 shown]
	v_lshlrev_b64 v[40:41], 3, v[40:41]
	v_add_co_u32_e32 v52, vcc, s10, v40
	v_addc_co_u32_e32 v53, vcc, v27, v41, vcc
	global_load_dwordx4 v[40:43], v[52:53], off offset:16
	global_load_dwordx4 v[44:47], v[52:53], off
	s_waitcnt vmcnt(2)
	v_cvt_f64_f32_e32 v[50:51], v36
	v_cvt_f64_f32_e32 v[36:37], v37
	s_waitcnt vmcnt(0)
	v_fma_f64 v[28:29], v[50:51], v[44:45], v[28:29]
	v_fma_f64 v[28:29], v[36:37], v[46:47], v[28:29]
	v_cvt_f64_f32_e32 v[36:37], v38
	v_fma_f64 v[28:29], v[36:37], v[40:41], v[28:29]
	v_cvt_f64_f32_e32 v[36:37], v39
	;; [unrolled: 2-line block ×3, first 2 shown]
	v_cvt_f64_f32_e32 v[32:33], v33
	v_fma_f64 v[36:37], v[36:37], v[44:45], v[56:57]
	v_fma_f64 v[32:33], v[32:33], v[46:47], v[36:37]
	v_cvt_f64_f32_e32 v[36:37], v34
	v_cvt_f64_f32_e32 v[34:35], v35
	v_fma_f64 v[32:33], v[36:37], v[40:41], v[32:33]
	v_fma_f64 v[50:51], v[34:35], v[42:43], v[32:33]
	v_cvt_f64_f32_e32 v[32:33], v21
	;; [unrolled: 4-line block ×5, first 2 shown]
	v_cvt_f64_f32_e32 v[19:20], v20
	v_fma_f64 v[17:18], v[21:22], v[40:41], v[17:18]
	v_fma_f64 v[48:49], v[19:20], v[42:43], v[17:18]
	global_load_dword v17, v[25:26], off
	s_waitcnt vmcnt(0)
	v_subrev_u32_e32 v17, s16, v17
	v_lshlrev_b32_e32 v40, 2, v17
	v_ashrrev_i32_e32 v41, 31, v40
	global_load_dwordx4 v[17:20], v[13:14], off offset:2096
	global_load_dwordx4 v[21:24], v[13:14], off offset:2080
	;; [unrolled: 1-line block ×4, first 2 shown]
	v_lshlrev_b64 v[40:41], 3, v[40:41]
	v_add_co_u32_e32 v56, vcc, s10, v40
	v_addc_co_u32_e32 v57, vcc, v27, v41, vcc
	global_load_dwordx4 v[40:43], v[56:57], off offset:16
	global_load_dwordx4 v[44:47], v[56:57], off
	s_waitcnt vmcnt(2)
	v_cvt_f64_f32_e32 v[54:55], v36
	v_cvt_f64_f32_e32 v[36:37], v37
	s_waitcnt vmcnt(0)
	v_fma_f64 v[28:29], v[54:55], v[44:45], v[28:29]
	v_fma_f64 v[28:29], v[36:37], v[46:47], v[28:29]
	v_cvt_f64_f32_e32 v[36:37], v38
	v_fma_f64 v[28:29], v[36:37], v[40:41], v[28:29]
	v_cvt_f64_f32_e32 v[36:37], v39
	;; [unrolled: 2-line block ×3, first 2 shown]
	v_cvt_f64_f32_e32 v[32:33], v33
	v_fma_f64 v[36:37], v[36:37], v[44:45], v[50:51]
	v_fma_f64 v[32:33], v[32:33], v[46:47], v[36:37]
	v_cvt_f64_f32_e32 v[36:37], v34
	v_cvt_f64_f32_e32 v[34:35], v35
	v_fma_f64 v[32:33], v[36:37], v[40:41], v[32:33]
	v_fma_f64 v[50:51], v[34:35], v[42:43], v[32:33]
	v_cvt_f64_f32_e32 v[32:33], v21
	v_cvt_f64_f32_e32 v[21:22], v22
	v_fma_f64 v[32:33], v[32:33], v[44:45], v[52:53]
	v_fma_f64 v[21:22], v[21:22], v[46:47], v[32:33]
	v_cvt_f64_f32_e32 v[32:33], v23
	v_cvt_f64_f32_e32 v[23:24], v24
	v_fma_f64 v[21:22], v[32:33], v[40:41], v[21:22]
	v_fma_f64 v[52:53], v[23:24], v[42:43], v[21:22]
	v_cvt_f64_f32_e32 v[21:22], v17
	v_cvt_f64_f32_e32 v[17:18], v18
	v_fma_f64 v[21:22], v[21:22], v[44:45], v[48:49]
	v_fma_f64 v[17:18], v[17:18], v[46:47], v[21:22]
	v_cvt_f64_f32_e32 v[21:22], v19
	v_cvt_f64_f32_e32 v[19:20], v20
	v_fma_f64 v[17:18], v[21:22], v[40:41], v[17:18]
	v_fma_f64 v[48:49], v[19:20], v[42:43], v[17:18]
	global_load_dword v17, v[25:26], off offset:64
	s_waitcnt vmcnt(0)
	v_subrev_u32_e32 v17, s16, v17
	v_lshlrev_b32_e32 v40, 2, v17
	v_ashrrev_i32_e32 v41, 31, v40
	global_load_dwordx4 v[32:35], v[13:14], off offset:3120
	global_load_dwordx4 v[17:20], v[13:14], off offset:3104
	global_load_dwordx4 v[36:39], v[13:14], off offset:3088
	global_load_dwordx4 v[21:24], v[13:14], off offset:3072
	v_lshlrev_b64 v[40:41], 3, v[40:41]
	v_add_co_u32_e32 v56, vcc, s10, v40
	v_addc_co_u32_e32 v57, vcc, v27, v41, vcc
	global_load_dwordx4 v[40:43], v[56:57], off offset:16
	global_load_dwordx4 v[44:47], v[56:57], off
	v_add_co_u32_e32 v13, vcc, s8, v13
	v_addc_co_u32_e32 v14, vcc, 0, v14, vcc
	v_add_co_u32_e32 v15, vcc, 64, v15
	v_addc_co_u32_e32 v16, vcc, 0, v16, vcc
	;; [unrolled: 2-line block ×3, first 2 shown]
	v_cmp_ge_i64_e32 vcc, v[15:16], v[4:5]
	s_or_b64 s[6:7], vcc, s[6:7]
	s_waitcnt vmcnt(2)
	v_cvt_f64_f32_e32 v[54:55], v21
	v_cvt_f64_f32_e32 v[21:22], v22
	s_waitcnt vmcnt(0)
	v_fma_f64 v[28:29], v[54:55], v[44:45], v[28:29]
	v_fma_f64 v[21:22], v[21:22], v[46:47], v[28:29]
	v_cvt_f64_f32_e32 v[28:29], v23
	v_cvt_f64_f32_e32 v[23:24], v24
	v_fma_f64 v[21:22], v[28:29], v[40:41], v[21:22]
	v_cvt_f64_f32_e32 v[28:29], v37
	v_fma_f64 v[23:24], v[23:24], v[42:43], v[21:22]
	;; [unrolled: 2-line block ×3, first 2 shown]
	v_fma_f64 v[21:22], v[28:29], v[46:47], v[21:22]
	v_cvt_f64_f32_e32 v[28:29], v38
	v_fma_f64 v[21:22], v[28:29], v[40:41], v[21:22]
	v_cvt_f64_f32_e32 v[28:29], v39
	;; [unrolled: 2-line block ×3, first 2 shown]
	v_cvt_f64_f32_e32 v[17:18], v18
	v_fma_f64 v[28:29], v[28:29], v[44:45], v[52:53]
	v_fma_f64 v[17:18], v[17:18], v[46:47], v[28:29]
	v_cvt_f64_f32_e32 v[28:29], v19
	v_cvt_f64_f32_e32 v[19:20], v20
	v_fma_f64 v[17:18], v[28:29], v[40:41], v[17:18]
	v_cvt_f64_f32_e32 v[28:29], v33
	v_fma_f64 v[19:20], v[19:20], v[42:43], v[17:18]
	;; [unrolled: 2-line block ×3, first 2 shown]
	v_fma_f64 v[17:18], v[28:29], v[46:47], v[17:18]
	v_cvt_f64_f32_e32 v[28:29], v34
	v_fma_f64 v[17:18], v[28:29], v[40:41], v[17:18]
	v_cvt_f64_f32_e32 v[28:29], v35
	v_fma_f64 v[17:18], v[28:29], v[42:43], v[17:18]
	s_andn2_b64 exec, exec, s[6:7]
	s_cbranch_execnz .LBB157_21
; %bb.22:
	s_or_b64 exec, exec, s[6:7]
.LBB157_23:
	s_or_b64 exec, exec, s[2:3]
.LBB157_24:
	s_or_b64 exec, exec, s[14:15]
	s_cbranch_execz .LBB157_26
	s_branch .LBB157_37
.LBB157_25:
                                        ; implicit-def: $vgpr17_vgpr18
                                        ; implicit-def: $vgpr19_vgpr20
                                        ; implicit-def: $vgpr21_vgpr22
                                        ; implicit-def: $vgpr23_vgpr24
.LBB157_26:
	v_mov_b32_e32 v17, 0
	v_mov_b32_e32 v19, 0
	;; [unrolled: 1-line block ×8, first 2 shown]
	s_and_saveexec_b64 s[2:3], s[0:1]
	s_cbranch_execz .LBB157_36
; %bb.27:
	v_or_b32_e32 v13, 16, v31
	v_subrev_co_u32_e32 v13, vcc, s16, v13
	v_subb_co_u32_e64 v14, s[0:1], 0, 0, vcc
	v_add_co_u32_e32 v13, vcc, v13, v11
	v_addc_co_u32_e32 v14, vcc, v14, v12, vcc
	v_cmp_gt_i64_e32 vcc, v[13:14], v[4:5]
	v_not_b32_e32 v11, v11
	v_cndmask_b32_e32 v14, v5, v14, vcc
	v_cndmask_b32_e32 v13, v4, v13, vcc
	v_sub_co_u32_e32 v15, vcc, s16, v31
	v_not_b32_e32 v12, v12
	v_subb_co_u32_e64 v16, s[0:1], 0, 0, vcc
	v_add_co_u32_e32 v11, vcc, v15, v11
	v_addc_co_u32_e32 v12, vcc, v16, v12, vcc
	v_add_co_u32_e32 v11, vcc, v11, v13
	v_addc_co_u32_e32 v12, vcc, v12, v14, vcc
	v_and_b32_e32 v13, 48, v11
	v_mov_b32_e32 v14, 0
	v_cmp_ne_u64_e32 vcc, 48, v[13:14]
	v_mov_b32_e32 v23, 0
	v_mov_b32_e32 v21, 0
	;; [unrolled: 1-line block ×8, first 2 shown]
	s_and_saveexec_b64 s[6:7], vcc
	s_cbranch_execz .LBB157_31
; %bb.28:
	v_lshrrev_b32_e32 v13, 4, v11
	v_add_u32_e32 v13, 1, v13
	v_and_b32_e32 v15, 3, v13
	v_lshlrev_b64 v[13:14], 2, v[0:1]
	v_mov_b32_e32 v16, s13
	v_add_co_u32_e32 v13, vcc, s12, v13
	v_addc_co_u32_e32 v14, vcc, v16, v14, vcc
	v_sub_co_u32_e32 v15, vcc, 0, v15
	v_mov_b32_e32 v17, 0
	v_mov_b32_e32 v19, 0
	;; [unrolled: 1-line block ×4, first 2 shown]
	s_mov_b64 s[8:9], 0
	v_subb_co_u32_e64 v16, s[0:1], 0, 0, vcc
	v_mov_b32_e32 v18, 0
	s_movk_i32 s14, 0x400
	v_mov_b32_e32 v20, 0
	v_mov_b32_e32 v22, 0
	;; [unrolled: 1-line block ×3, first 2 shown]
	s_waitcnt lgkmcnt(0)
	v_mov_b32_e32 v25, s11
.LBB157_29:                             ; =>This Inner Loop Header: Depth=1
	global_load_dword v30, v[13:14], off
	global_load_dwordx4 v[26:29], v[6:7], off offset:16
	global_load_dwordx4 v[32:35], v[6:7], off
	v_add_co_u32_e64 v0, s[0:1], 16, v0
	v_addc_co_u32_e64 v1, s[0:1], 0, v1, s[0:1]
	v_add_co_u32_e64 v13, s[0:1], 64, v13
	v_addc_co_u32_e64 v14, s[0:1], 0, v14, s[0:1]
	;; [unrolled: 2-line block ×3, first 2 shown]
	v_cmp_eq_u64_e64 s[0:1], 0, v[15:16]
	s_or_b64 s[8:9], s[0:1], s[8:9]
	s_waitcnt vmcnt(2)
	v_subrev_u32_e32 v30, s16, v30
	v_lshlrev_b32_e32 v36, 2, v30
	v_ashrrev_i32_e32 v37, 31, v36
	v_lshlrev_b64 v[36:37], 3, v[36:37]
	s_waitcnt vmcnt(0)
	v_cvt_f64_f32_e32 v[54:55], v34
	v_add_co_u32_e32 v52, vcc, s10, v36
	v_addc_co_u32_e32 v53, vcc, v25, v37, vcc
	global_load_dwordx4 v[36:39], v[52:53], off
	global_load_dwordx4 v[40:43], v[52:53], off offset:16
	global_load_dwordx4 v[44:47], v[6:7], off offset:32
	;; [unrolled: 1-line block ×3, first 2 shown]
	v_cvt_f64_f32_e32 v[52:53], v32
	v_cvt_f64_f32_e32 v[32:33], v33
	;; [unrolled: 1-line block ×7, first 2 shown]
	v_add_co_u32_e32 v6, vcc, s14, v6
	v_addc_co_u32_e32 v7, vcc, 0, v7, vcc
	s_waitcnt vmcnt(3)
	v_fma_f64 v[23:24], v[52:53], v[36:37], v[23:24]
	v_fma_f64 v[21:22], v[32:33], v[36:37], v[21:22]
	v_fma_f64 v[19:20], v[54:55], v[36:37], v[19:20]
	v_fma_f64 v[17:18], v[34:35], v[36:37], v[17:18]
	s_waitcnt vmcnt(1)
	v_cvt_f64_f32_e32 v[32:33], v44
	v_cvt_f64_f32_e32 v[34:35], v45
	s_waitcnt vmcnt(0)
	v_cvt_f64_f32_e32 v[36:37], v48
	v_fma_f64 v[23:24], v[56:57], v[38:39], v[23:24]
	v_fma_f64 v[21:22], v[26:27], v[38:39], v[21:22]
	;; [unrolled: 1-line block ×4, first 2 shown]
	v_cvt_f64_f32_e32 v[26:27], v46
	v_cvt_f64_f32_e32 v[28:29], v47
	v_fma_f64 v[23:24], v[32:33], v[40:41], v[23:24]
	v_fma_f64 v[21:22], v[34:35], v[40:41], v[21:22]
	v_fma_f64 v[19:20], v[26:27], v[40:41], v[19:20]
	v_fma_f64 v[17:18], v[28:29], v[40:41], v[17:18]
	v_cvt_f64_f32_e32 v[26:27], v49
	v_cvt_f64_f32_e32 v[28:29], v50
	;; [unrolled: 1-line block ×3, first 2 shown]
	v_fma_f64 v[23:24], v[36:37], v[42:43], v[23:24]
	v_fma_f64 v[21:22], v[26:27], v[42:43], v[21:22]
	;; [unrolled: 1-line block ×4, first 2 shown]
	s_andn2_b64 exec, exec, s[8:9]
	s_cbranch_execnz .LBB157_29
; %bb.30:
	s_or_b64 exec, exec, s[8:9]
.LBB157_31:
	s_or_b64 exec, exec, s[6:7]
	v_cmp_lt_u64_e32 vcc, 47, v[11:12]
	s_and_saveexec_b64 s[0:1], vcc
	s_cbranch_execz .LBB157_35
; %bb.32:
	v_lshlrev_b64 v[11:12], 2, v[0:1]
	v_mov_b32_e32 v13, s13
	v_add_co_u32_e32 v11, vcc, s12, v11
	v_addc_co_u32_e32 v12, vcc, v13, v12, vcc
	v_add_co_u32_e32 v11, vcc, 0x80, v11
	v_addc_co_u32_e32 v12, vcc, 0, v12, vcc
	s_mov_b64 s[6:7], 0
	s_waitcnt lgkmcnt(0)
	v_mov_b32_e32 v13, s11
	s_movk_i32 s8, 0x1000
.LBB157_33:                             ; =>This Inner Loop Header: Depth=1
	global_load_dword v14, v[11:12], off offset:-128
	global_load_dwordx4 v[25:28], v[6:7], off offset:48
	global_load_dwordx4 v[32:35], v[6:7], off offset:32
	;; [unrolled: 1-line block ×3, first 2 shown]
	global_load_dwordx4 v[40:43], v[6:7], off
	s_waitcnt vmcnt(4)
	v_subrev_u32_e32 v14, s16, v14
	v_lshlrev_b32_e32 v14, 2, v14
	v_ashrrev_i32_e32 v15, 31, v14
	v_lshlrev_b64 v[14:15], 3, v[14:15]
	s_waitcnt vmcnt(0)
	v_cvt_f64_f32_e32 v[29:30], v40
	v_add_co_u32_e32 v14, vcc, s10, v14
	v_addc_co_u32_e32 v15, vcc, v13, v15, vcc
	global_load_dwordx4 v[44:47], v[14:15], off offset:16
	global_load_dwordx4 v[48:51], v[14:15], off
	s_waitcnt vmcnt(0)
	v_fma_f64 v[14:15], v[29:30], v[48:49], v[23:24]
	v_cvt_f64_f32_e32 v[23:24], v41
	v_fma_f64 v[21:22], v[23:24], v[48:49], v[21:22]
	v_cvt_f64_f32_e32 v[23:24], v42
	v_fma_f64 v[19:20], v[23:24], v[48:49], v[19:20]
	v_cvt_f64_f32_e32 v[23:24], v43
	v_fma_f64 v[16:17], v[23:24], v[48:49], v[17:18]
	v_cvt_f64_f32_e32 v[23:24], v36
	v_fma_f64 v[14:15], v[23:24], v[50:51], v[14:15]
	v_cvt_f64_f32_e32 v[23:24], v37
	v_fma_f64 v[21:22], v[23:24], v[50:51], v[21:22]
	v_cvt_f64_f32_e32 v[23:24], v38
	v_fma_f64 v[18:19], v[23:24], v[50:51], v[19:20]
	v_cvt_f64_f32_e32 v[23:24], v39
	v_fma_f64 v[16:17], v[23:24], v[50:51], v[16:17]
	v_cvt_f64_f32_e32 v[23:24], v32
	v_fma_f64 v[14:15], v[23:24], v[44:45], v[14:15]
	v_cvt_f64_f32_e32 v[23:24], v33
	v_fma_f64 v[20:21], v[23:24], v[44:45], v[21:22]
	v_cvt_f64_f32_e32 v[22:23], v34
	v_fma_f64 v[18:19], v[22:23], v[44:45], v[18:19]
	v_cvt_f64_f32_e32 v[22:23], v35
	v_fma_f64 v[16:17], v[22:23], v[44:45], v[16:17]
	v_cvt_f64_f32_e32 v[22:23], v25
	v_fma_f64 v[40:41], v[22:23], v[46:47], v[14:15]
	v_cvt_f64_f32_e32 v[14:15], v26
	v_fma_f64 v[42:43], v[14:15], v[46:47], v[20:21]
	v_cvt_f64_f32_e32 v[14:15], v27
	v_fma_f64 v[44:45], v[14:15], v[46:47], v[18:19]
	v_cvt_f64_f32_e32 v[14:15], v28
	v_fma_f64 v[46:47], v[14:15], v[46:47], v[16:17]
	global_load_dword v14, v[11:12], off offset:-64
	s_waitcnt vmcnt(0)
	v_subrev_u32_e32 v14, s16, v14
	v_lshlrev_b32_e32 v32, 2, v14
	v_ashrrev_i32_e32 v33, 31, v32
	global_load_dwordx4 v[14:17], v[6:7], off offset:1072
	global_load_dwordx4 v[18:21], v[6:7], off offset:1056
	;; [unrolled: 1-line block ×4, first 2 shown]
	v_lshlrev_b64 v[32:33], 3, v[32:33]
	v_add_co_u32_e32 v50, vcc, s10, v32
	v_addc_co_u32_e32 v51, vcc, v13, v33, vcc
	global_load_dwordx4 v[32:35], v[50:51], off offset:16
	global_load_dwordx4 v[36:39], v[50:51], off
	s_waitcnt vmcnt(2)
	v_cvt_f64_f32_e32 v[48:49], v26
	v_cvt_f64_f32_e32 v[26:27], v27
	s_waitcnt vmcnt(0)
	v_fma_f64 v[26:27], v[26:27], v[36:37], v[42:43]
	v_cvt_f64_f32_e32 v[42:43], v28
	v_cvt_f64_f32_e32 v[28:29], v29
	v_fma_f64 v[40:41], v[48:49], v[36:37], v[40:41]
	v_fma_f64 v[42:43], v[42:43], v[36:37], v[44:45]
	;; [unrolled: 1-line block ×3, first 2 shown]
	v_cvt_f64_f32_e32 v[36:37], v22
	v_cvt_f64_f32_e32 v[22:23], v23
	v_fma_f64 v[36:37], v[36:37], v[38:39], v[40:41]
	v_fma_f64 v[22:23], v[22:23], v[38:39], v[26:27]
	v_cvt_f64_f32_e32 v[26:27], v24
	v_cvt_f64_f32_e32 v[24:25], v25
	v_fma_f64 v[26:27], v[26:27], v[38:39], v[42:43]
	v_fma_f64 v[24:25], v[24:25], v[38:39], v[28:29]
	;; [unrolled: 4-line block ×5, first 2 shown]
	v_cvt_f64_f32_e32 v[14:15], v16
	v_fma_f64 v[44:45], v[14:15], v[34:35], v[22:23]
	v_cvt_f64_f32_e32 v[14:15], v17
	v_fma_f64 v[46:47], v[14:15], v[34:35], v[20:21]
	global_load_dword v14, v[11:12], off
	s_waitcnt vmcnt(0)
	v_subrev_u32_e32 v14, s16, v14
	v_lshlrev_b32_e32 v32, 2, v14
	v_ashrrev_i32_e32 v33, 31, v32
	global_load_dwordx4 v[14:17], v[6:7], off offset:2096
	global_load_dwordx4 v[18:21], v[6:7], off offset:2080
	;; [unrolled: 1-line block ×4, first 2 shown]
	v_lshlrev_b64 v[32:33], 3, v[32:33]
	v_add_co_u32_e32 v50, vcc, s10, v32
	v_addc_co_u32_e32 v51, vcc, v13, v33, vcc
	global_load_dwordx4 v[32:35], v[50:51], off offset:16
	global_load_dwordx4 v[36:39], v[50:51], off
	s_waitcnt vmcnt(2)
	v_cvt_f64_f32_e32 v[48:49], v26
	v_cvt_f64_f32_e32 v[26:27], v27
	s_waitcnt vmcnt(0)
	v_fma_f64 v[26:27], v[26:27], v[36:37], v[42:43]
	v_cvt_f64_f32_e32 v[42:43], v28
	v_cvt_f64_f32_e32 v[28:29], v29
	v_fma_f64 v[40:41], v[48:49], v[36:37], v[40:41]
	v_fma_f64 v[42:43], v[42:43], v[36:37], v[44:45]
	;; [unrolled: 1-line block ×3, first 2 shown]
	v_cvt_f64_f32_e32 v[36:37], v22
	v_cvt_f64_f32_e32 v[22:23], v23
	v_fma_f64 v[36:37], v[36:37], v[38:39], v[40:41]
	v_fma_f64 v[22:23], v[22:23], v[38:39], v[26:27]
	v_cvt_f64_f32_e32 v[26:27], v24
	v_cvt_f64_f32_e32 v[24:25], v25
	v_fma_f64 v[26:27], v[26:27], v[38:39], v[42:43]
	v_fma_f64 v[24:25], v[24:25], v[38:39], v[28:29]
	;; [unrolled: 4-line block ×5, first 2 shown]
	v_cvt_f64_f32_e32 v[14:15], v16
	v_fma_f64 v[44:45], v[14:15], v[34:35], v[22:23]
	v_cvt_f64_f32_e32 v[14:15], v17
	v_fma_f64 v[46:47], v[14:15], v[34:35], v[20:21]
	global_load_dword v14, v[11:12], off offset:64
	s_waitcnt vmcnt(0)
	v_subrev_u32_e32 v14, s16, v14
	v_lshlrev_b32_e32 v32, 2, v14
	v_ashrrev_i32_e32 v33, 31, v32
	global_load_dwordx4 v[14:17], v[6:7], off offset:3120
	global_load_dwordx4 v[18:21], v[6:7], off offset:3104
	;; [unrolled: 1-line block ×4, first 2 shown]
	v_lshlrev_b64 v[32:33], 3, v[32:33]
	v_add_co_u32_e32 v50, vcc, s10, v32
	v_addc_co_u32_e32 v51, vcc, v13, v33, vcc
	global_load_dwordx4 v[32:35], v[50:51], off offset:16
	global_load_dwordx4 v[36:39], v[50:51], off
	v_add_co_u32_e32 v6, vcc, s8, v6
	v_addc_co_u32_e32 v7, vcc, 0, v7, vcc
	v_add_co_u32_e32 v0, vcc, 64, v0
	v_addc_co_u32_e32 v1, vcc, 0, v1, vcc
	v_add_co_u32_e32 v11, vcc, 0x100, v11
	v_addc_co_u32_e32 v12, vcc, 0, v12, vcc
	v_cmp_ge_i64_e32 vcc, v[0:1], v[4:5]
	s_or_b64 s[6:7], vcc, s[6:7]
	s_waitcnt vmcnt(2)
	v_cvt_f64_f32_e32 v[48:49], v26
	v_cvt_f64_f32_e32 v[26:27], v27
	s_waitcnt vmcnt(0)
	v_fma_f64 v[40:41], v[48:49], v[36:37], v[40:41]
	v_fma_f64 v[26:27], v[26:27], v[36:37], v[42:43]
	v_cvt_f64_f32_e32 v[42:43], v28
	v_cvt_f64_f32_e32 v[28:29], v29
	v_fma_f64 v[42:43], v[42:43], v[36:37], v[44:45]
	v_fma_f64 v[28:29], v[28:29], v[36:37], v[46:47]
	v_cvt_f64_f32_e32 v[36:37], v22
	v_cvt_f64_f32_e32 v[22:23], v23
	;; [unrolled: 4-line block ×6, first 2 shown]
	v_fma_f64 v[23:24], v[20:21], v[34:35], v[28:29]
	v_fma_f64 v[21:22], v[14:15], v[34:35], v[18:19]
	v_cvt_f64_f32_e32 v[14:15], v16
	v_fma_f64 v[19:20], v[14:15], v[34:35], v[26:27]
	v_cvt_f64_f32_e32 v[14:15], v17
	v_fma_f64 v[17:18], v[14:15], v[34:35], v[32:33]
	s_andn2_b64 exec, exec, s[6:7]
	s_cbranch_execnz .LBB157_33
; %bb.34:
	s_or_b64 exec, exec, s[6:7]
.LBB157_35:
	s_or_b64 exec, exec, s[0:1]
.LBB157_36:
	s_or_b64 exec, exec, s[2:3]
.LBB157_37:
	v_mov_b32_dpp v0, v23 row_shr:1 row_mask:0xf bank_mask:0xf
	v_mov_b32_dpp v1, v24 row_shr:1 row_mask:0xf bank_mask:0xf
	v_add_f64 v[0:1], v[23:24], v[0:1]
	v_mov_b32_dpp v4, v21 row_shr:1 row_mask:0xf bank_mask:0xf
	v_mov_b32_dpp v5, v22 row_shr:1 row_mask:0xf bank_mask:0xf
	v_mov_b32_dpp v6, v19 row_shr:1 row_mask:0xf bank_mask:0xf
	v_add_f64 v[4:5], v[21:22], v[4:5]
	v_mov_b32_dpp v7, v20 row_shr:1 row_mask:0xf bank_mask:0xf
	v_add_f64 v[6:7], v[19:20], v[6:7]
	v_cmp_eq_u32_e32 vcc, 15, v31
	v_mov_b32_dpp v11, v0 row_shr:2 row_mask:0xf bank_mask:0xf
	v_mov_b32_dpp v12, v1 row_shr:2 row_mask:0xf bank_mask:0xf
	v_add_f64 v[0:1], v[0:1], v[11:12]
	v_mov_b32_dpp v11, v17 row_shr:1 row_mask:0xf bank_mask:0xf
	v_mov_b32_dpp v12, v18 row_shr:1 row_mask:0xf bank_mask:0xf
	v_add_f64 v[11:12], v[17:18], v[11:12]
	;; [unrolled: 3-line block ×4, first 2 shown]
	v_mov_b32_dpp v15, v0 row_shr:4 row_mask:0xf bank_mask:0xe
	v_mov_b32_dpp v13, v11 row_shr:2 row_mask:0xf bank_mask:0xf
	;; [unrolled: 1-line block ×3, first 2 shown]
	v_add_f64 v[11:12], v[11:12], v[13:14]
	v_mov_b32_dpp v13, v4 row_shr:4 row_mask:0xf bank_mask:0xe
	v_mov_b32_dpp v14, v5 row_shr:4 row_mask:0xf bank_mask:0xe
	v_add_f64 v[4:5], v[4:5], v[13:14]
	v_mov_b32_dpp v13, v6 row_shr:4 row_mask:0xf bank_mask:0xe
	v_mov_b32_dpp v14, v7 row_shr:4 row_mask:0xf bank_mask:0xe
	;; [unrolled: 1-line block ×3, first 2 shown]
	v_add_f64 v[6:7], v[6:7], v[13:14]
	v_mov_b32_dpp v13, v11 row_shr:4 row_mask:0xf bank_mask:0xe
	v_mov_b32_dpp v14, v12 row_shr:4 row_mask:0xf bank_mask:0xe
	v_add_f64 v[0:1], v[0:1], v[15:16]
	v_add_f64 v[11:12], v[11:12], v[13:14]
	v_mov_b32_dpp v17, v4 row_shr:8 row_mask:0xf bank_mask:0xc
	v_mov_b32_dpp v18, v5 row_shr:8 row_mask:0xf bank_mask:0xc
	;; [unrolled: 1-line block ×8, first 2 shown]
	s_and_b64 exec, exec, vcc
	s_cbranch_execz .LBB157_10
; %bb.38:
	v_add_f64 v[0:1], v[0:1], v[19:20]
	v_add_f64 v[17:18], v[4:5], v[17:18]
	;; [unrolled: 1-line block ×4, first 2 shown]
	v_cmp_eq_f64_e32 vcc, 0, v[8:9]
	s_load_dwordx2 s[0:1], s[4:5], 0x50
	v_lshlrev_b32_e32 v10, 2, v10
	v_mul_f64 v[4:5], v[2:3], v[0:1]
	v_mul_f64 v[6:7], v[2:3], v[17:18]
	;; [unrolled: 1-line block ×4, first 2 shown]
	s_and_saveexec_b64 s[2:3], vcc
	s_xor_b64 s[2:3], exec, s[2:3]
	s_cbranch_execz .LBB157_40
; %bb.39:
	v_ashrrev_i32_e32 v11, 31, v10
	v_lshlrev_b64 v[8:9], 3, v[10:11]
	s_waitcnt lgkmcnt(0)
	v_mov_b32_e32 v10, s1
	v_add_co_u32_e32 v8, vcc, s0, v8
	v_addc_co_u32_e32 v9, vcc, v10, v9, vcc
	global_store_dwordx4 v[8:9], v[4:7], off
	global_store_dwordx4 v[8:9], v[0:3], off offset:16
                                        ; implicit-def: $vgpr10
                                        ; implicit-def: $vgpr8_vgpr9
                                        ; implicit-def: $vgpr4_vgpr5
                                        ; implicit-def: $vgpr0_vgpr1
.LBB157_40:
	s_andn2_saveexec_b64 s[2:3], s[2:3]
	s_cbranch_execz .LBB157_10
; %bb.41:
	v_ashrrev_i32_e32 v11, 31, v10
	v_lshlrev_b64 v[10:11], 3, v[10:11]
	s_waitcnt lgkmcnt(0)
	v_mov_b32_e32 v12, s1
	v_add_co_u32_e32 v18, vcc, s0, v10
	v_addc_co_u32_e32 v19, vcc, v12, v11, vcc
	global_load_dwordx4 v[10:13], v[18:19], off
	global_load_dwordx4 v[14:17], v[18:19], off offset:16
	s_waitcnt vmcnt(1)
	v_fma_f64 v[4:5], v[8:9], v[10:11], v[4:5]
	v_fma_f64 v[6:7], v[8:9], v[12:13], v[6:7]
	s_waitcnt vmcnt(0)
	v_fma_f64 v[0:1], v[8:9], v[14:15], v[0:1]
	v_fma_f64 v[2:3], v[8:9], v[16:17], v[2:3]
	global_store_dwordx4 v[18:19], v[4:7], off
	global_store_dwordx4 v[18:19], v[0:3], off offset:16
	s_endpgm
	.section	.rodata,"a",@progbits
	.p2align	6, 0x0
	.amdhsa_kernel _ZN9rocsparseL18bsrxmvn_4x4_kernelILj128ELj16EdlifddEEvT3_20rocsparse_direction_NS_24const_host_device_scalarIT1_EES1_PKS1_PKT2_SA_S7_PKT4_PKT5_S5_PT6_21rocsparse_index_base_b
		.amdhsa_group_segment_fixed_size 0
		.amdhsa_private_segment_fixed_size 0
		.amdhsa_kernarg_size 96
		.amdhsa_user_sgpr_count 6
		.amdhsa_user_sgpr_private_segment_buffer 1
		.amdhsa_user_sgpr_dispatch_ptr 0
		.amdhsa_user_sgpr_queue_ptr 0
		.amdhsa_user_sgpr_kernarg_segment_ptr 1
		.amdhsa_user_sgpr_dispatch_id 0
		.amdhsa_user_sgpr_flat_scratch_init 0
		.amdhsa_user_sgpr_private_segment_size 0
		.amdhsa_uses_dynamic_stack 0
		.amdhsa_system_sgpr_private_segment_wavefront_offset 0
		.amdhsa_system_sgpr_workgroup_id_x 1
		.amdhsa_system_sgpr_workgroup_id_y 0
		.amdhsa_system_sgpr_workgroup_id_z 0
		.amdhsa_system_sgpr_workgroup_info 0
		.amdhsa_system_vgpr_workitem_id 0
		.amdhsa_next_free_vgpr 60
		.amdhsa_next_free_sgpr 22
		.amdhsa_reserve_vcc 1
		.amdhsa_reserve_flat_scratch 0
		.amdhsa_float_round_mode_32 0
		.amdhsa_float_round_mode_16_64 0
		.amdhsa_float_denorm_mode_32 3
		.amdhsa_float_denorm_mode_16_64 3
		.amdhsa_dx10_clamp 1
		.amdhsa_ieee_mode 1
		.amdhsa_fp16_overflow 0
		.amdhsa_exception_fp_ieee_invalid_op 0
		.amdhsa_exception_fp_denorm_src 0
		.amdhsa_exception_fp_ieee_div_zero 0
		.amdhsa_exception_fp_ieee_overflow 0
		.amdhsa_exception_fp_ieee_underflow 0
		.amdhsa_exception_fp_ieee_inexact 0
		.amdhsa_exception_int_div_zero 0
	.end_amdhsa_kernel
	.section	.text._ZN9rocsparseL18bsrxmvn_4x4_kernelILj128ELj16EdlifddEEvT3_20rocsparse_direction_NS_24const_host_device_scalarIT1_EES1_PKS1_PKT2_SA_S7_PKT4_PKT5_S5_PT6_21rocsparse_index_base_b,"axG",@progbits,_ZN9rocsparseL18bsrxmvn_4x4_kernelILj128ELj16EdlifddEEvT3_20rocsparse_direction_NS_24const_host_device_scalarIT1_EES1_PKS1_PKT2_SA_S7_PKT4_PKT5_S5_PT6_21rocsparse_index_base_b,comdat
.Lfunc_end157:
	.size	_ZN9rocsparseL18bsrxmvn_4x4_kernelILj128ELj16EdlifddEEvT3_20rocsparse_direction_NS_24const_host_device_scalarIT1_EES1_PKS1_PKT2_SA_S7_PKT4_PKT5_S5_PT6_21rocsparse_index_base_b, .Lfunc_end157-_ZN9rocsparseL18bsrxmvn_4x4_kernelILj128ELj16EdlifddEEvT3_20rocsparse_direction_NS_24const_host_device_scalarIT1_EES1_PKS1_PKT2_SA_S7_PKT4_PKT5_S5_PT6_21rocsparse_index_base_b
                                        ; -- End function
	.set _ZN9rocsparseL18bsrxmvn_4x4_kernelILj128ELj16EdlifddEEvT3_20rocsparse_direction_NS_24const_host_device_scalarIT1_EES1_PKS1_PKT2_SA_S7_PKT4_PKT5_S5_PT6_21rocsparse_index_base_b.num_vgpr, 60
	.set _ZN9rocsparseL18bsrxmvn_4x4_kernelILj128ELj16EdlifddEEvT3_20rocsparse_direction_NS_24const_host_device_scalarIT1_EES1_PKS1_PKT2_SA_S7_PKT4_PKT5_S5_PT6_21rocsparse_index_base_b.num_agpr, 0
	.set _ZN9rocsparseL18bsrxmvn_4x4_kernelILj128ELj16EdlifddEEvT3_20rocsparse_direction_NS_24const_host_device_scalarIT1_EES1_PKS1_PKT2_SA_S7_PKT4_PKT5_S5_PT6_21rocsparse_index_base_b.numbered_sgpr, 22
	.set _ZN9rocsparseL18bsrxmvn_4x4_kernelILj128ELj16EdlifddEEvT3_20rocsparse_direction_NS_24const_host_device_scalarIT1_EES1_PKS1_PKT2_SA_S7_PKT4_PKT5_S5_PT6_21rocsparse_index_base_b.num_named_barrier, 0
	.set _ZN9rocsparseL18bsrxmvn_4x4_kernelILj128ELj16EdlifddEEvT3_20rocsparse_direction_NS_24const_host_device_scalarIT1_EES1_PKS1_PKT2_SA_S7_PKT4_PKT5_S5_PT6_21rocsparse_index_base_b.private_seg_size, 0
	.set _ZN9rocsparseL18bsrxmvn_4x4_kernelILj128ELj16EdlifddEEvT3_20rocsparse_direction_NS_24const_host_device_scalarIT1_EES1_PKS1_PKT2_SA_S7_PKT4_PKT5_S5_PT6_21rocsparse_index_base_b.uses_vcc, 1
	.set _ZN9rocsparseL18bsrxmvn_4x4_kernelILj128ELj16EdlifddEEvT3_20rocsparse_direction_NS_24const_host_device_scalarIT1_EES1_PKS1_PKT2_SA_S7_PKT4_PKT5_S5_PT6_21rocsparse_index_base_b.uses_flat_scratch, 0
	.set _ZN9rocsparseL18bsrxmvn_4x4_kernelILj128ELj16EdlifddEEvT3_20rocsparse_direction_NS_24const_host_device_scalarIT1_EES1_PKS1_PKT2_SA_S7_PKT4_PKT5_S5_PT6_21rocsparse_index_base_b.has_dyn_sized_stack, 0
	.set _ZN9rocsparseL18bsrxmvn_4x4_kernelILj128ELj16EdlifddEEvT3_20rocsparse_direction_NS_24const_host_device_scalarIT1_EES1_PKS1_PKT2_SA_S7_PKT4_PKT5_S5_PT6_21rocsparse_index_base_b.has_recursion, 0
	.set _ZN9rocsparseL18bsrxmvn_4x4_kernelILj128ELj16EdlifddEEvT3_20rocsparse_direction_NS_24const_host_device_scalarIT1_EES1_PKS1_PKT2_SA_S7_PKT4_PKT5_S5_PT6_21rocsparse_index_base_b.has_indirect_call, 0
	.section	.AMDGPU.csdata,"",@progbits
; Kernel info:
; codeLenInByte = 4936
; TotalNumSgprs: 26
; NumVgprs: 60
; ScratchSize: 0
; MemoryBound: 0
; FloatMode: 240
; IeeeMode: 1
; LDSByteSize: 0 bytes/workgroup (compile time only)
; SGPRBlocks: 3
; VGPRBlocks: 14
; NumSGPRsForWavesPerEU: 26
; NumVGPRsForWavesPerEU: 60
; Occupancy: 4
; WaveLimiterHint : 1
; COMPUTE_PGM_RSRC2:SCRATCH_EN: 0
; COMPUTE_PGM_RSRC2:USER_SGPR: 6
; COMPUTE_PGM_RSRC2:TRAP_HANDLER: 0
; COMPUTE_PGM_RSRC2:TGID_X_EN: 1
; COMPUTE_PGM_RSRC2:TGID_Y_EN: 0
; COMPUTE_PGM_RSRC2:TGID_Z_EN: 0
; COMPUTE_PGM_RSRC2:TIDIG_COMP_CNT: 0
	.section	.text._ZN9rocsparseL18bsrxmvn_4x4_kernelILj128ELj32EdlifddEEvT3_20rocsparse_direction_NS_24const_host_device_scalarIT1_EES1_PKS1_PKT2_SA_S7_PKT4_PKT5_S5_PT6_21rocsparse_index_base_b,"axG",@progbits,_ZN9rocsparseL18bsrxmvn_4x4_kernelILj128ELj32EdlifddEEvT3_20rocsparse_direction_NS_24const_host_device_scalarIT1_EES1_PKS1_PKT2_SA_S7_PKT4_PKT5_S5_PT6_21rocsparse_index_base_b,comdat
	.globl	_ZN9rocsparseL18bsrxmvn_4x4_kernelILj128ELj32EdlifddEEvT3_20rocsparse_direction_NS_24const_host_device_scalarIT1_EES1_PKS1_PKT2_SA_S7_PKT4_PKT5_S5_PT6_21rocsparse_index_base_b ; -- Begin function _ZN9rocsparseL18bsrxmvn_4x4_kernelILj128ELj32EdlifddEEvT3_20rocsparse_direction_NS_24const_host_device_scalarIT1_EES1_PKS1_PKT2_SA_S7_PKT4_PKT5_S5_PT6_21rocsparse_index_base_b
	.p2align	8
	.type	_ZN9rocsparseL18bsrxmvn_4x4_kernelILj128ELj32EdlifddEEvT3_20rocsparse_direction_NS_24const_host_device_scalarIT1_EES1_PKS1_PKT2_SA_S7_PKT4_PKT5_S5_PT6_21rocsparse_index_base_b,@function
_ZN9rocsparseL18bsrxmvn_4x4_kernelILj128ELj32EdlifddEEvT3_20rocsparse_direction_NS_24const_host_device_scalarIT1_EES1_PKS1_PKT2_SA_S7_PKT4_PKT5_S5_PT6_21rocsparse_index_base_b: ; @_ZN9rocsparseL18bsrxmvn_4x4_kernelILj128ELj32EdlifddEEvT3_20rocsparse_direction_NS_24const_host_device_scalarIT1_EES1_PKS1_PKT2_SA_S7_PKT4_PKT5_S5_PT6_21rocsparse_index_base_b
; %bb.0:
	s_load_dwordx2 s[16:17], s[4:5], 0x58
	s_load_dwordx2 s[8:9], s[4:5], 0x8
	;; [unrolled: 1-line block ×3, first 2 shown]
	s_waitcnt lgkmcnt(0)
	s_bitcmp1_b32 s17, 0
	s_cselect_b64 s[10:11], -1, 0
	v_mov_b32_e32 v2, s8
	s_xor_b64 s[2:3], s[10:11], -1
	s_and_b64 vcc, exec, s[10:11]
	v_mov_b32_e32 v3, s9
	s_cbranch_vccnz .LBB158_2
; %bb.1:
	v_mov_b32_e32 v1, s8
	v_mov_b32_e32 v2, s9
	flat_load_dwordx2 v[2:3], v[1:2]
.LBB158_2:
	v_mov_b32_e32 v9, s1
	s_andn2_b64 vcc, exec, s[2:3]
	v_mov_b32_e32 v8, s0
	s_cbranch_vccnz .LBB158_4
; %bb.3:
	v_mov_b32_e32 v5, s1
	v_mov_b32_e32 v4, s0
	flat_load_dwordx2 v[8:9], v[4:5]
.LBB158_4:
	s_waitcnt vmcnt(0) lgkmcnt(0)
	v_cmp_neq_f64_e32 vcc, 0, v[2:3]
	v_cmp_neq_f64_e64 s[0:1], 1.0, v[8:9]
	s_mov_b64 s[2:3], 0
	s_or_b64 s[0:1], vcc, s[0:1]
	s_and_saveexec_b64 s[8:9], s[0:1]
	s_cbranch_execz .LBB158_10
; %bb.5:
	s_load_dwordx2 s[8:9], s[4:5], 0x18
	s_load_dwordx2 s[0:1], s[4:5], 0x0
	v_lshrrev_b32_e32 v1, 5, v0
	v_lshl_or_b32 v10, s6, 2, v1
	s_mov_b64 s[6:7], 0
	s_waitcnt lgkmcnt(0)
	s_cmp_lg_u64 s[8:9], 0
	s_cbranch_scc0 .LBB158_11
; %bb.6:
	s_load_dword s2, s[4:5], 0x10
                                        ; implicit-def: $vgpr1
	s_waitcnt lgkmcnt(0)
	v_cmp_gt_i32_e32 vcc, s2, v10
	s_and_saveexec_b64 s[2:3], vcc
	s_xor_b64 s[2:3], exec, s[2:3]
	s_cbranch_execz .LBB158_8
; %bb.7:
	v_ashrrev_i32_e32 v11, 31, v10
	v_lshlrev_b64 v[4:5], 2, v[10:11]
	v_mov_b32_e32 v1, s9
	v_add_co_u32_e32 v4, vcc, s8, v4
	v_addc_co_u32_e32 v5, vcc, v1, v5, vcc
	global_load_dword v1, v[4:5], off
	s_mov_b64 s[6:7], exec
	s_waitcnt vmcnt(0)
	v_subrev_u32_e32 v1, s16, v1
.LBB158_8:
	s_or_b64 exec, exec, s[2:3]
	s_mov_b64 s[2:3], s[6:7]
	s_branch .LBB158_12
.LBB158_9:
	v_cmp_gt_i32_e32 vcc, s0, v10
	s_andn2_b64 s[2:3], s[2:3], exec
	s_and_b64 s[6:7], vcc, exec
	s_or_b64 s[2:3], s[2:3], s[6:7]
	s_and_b64 exec, exec, s[2:3]
	s_cbranch_execnz .LBB158_13
.LBB158_10:
	s_endpgm
.LBB158_11:
                                        ; implicit-def: $vgpr1
	s_cbranch_execnz .LBB158_9
.LBB158_12:
	v_mov_b32_e32 v10, v1
	s_and_b64 exec, exec, s[2:3]
	s_cbranch_execz .LBB158_10
.LBB158_13:
	s_load_dwordx8 s[8:15], s[4:5], 0x20
	v_ashrrev_i32_e32 v11, 31, v10
	v_lshlrev_b64 v[4:5], 3, v[10:11]
	v_and_b32_e32 v31, 31, v0
	s_waitcnt lgkmcnt(0)
	v_mov_b32_e32 v1, s9
	v_add_co_u32_e32 v6, vcc, s8, v4
	v_addc_co_u32_e32 v7, vcc, v1, v5, vcc
	v_add_co_u32_e32 v1, vcc, 8, v6
	global_load_dwordx2 v[11:12], v[6:7], off
	v_addc_co_u32_e32 v6, vcc, 0, v7, vcc
	v_mov_b32_e32 v7, s11
	v_add_co_u32_e32 v4, vcc, s10, v4
	s_cmp_eq_u64 s[10:11], 0
	v_addc_co_u32_e32 v5, vcc, v7, v5, vcc
	s_cselect_b64 vcc, -1, 0
	v_cndmask_b32_e32 v5, v5, v6, vcc
	v_cndmask_b32_e32 v4, v4, v1, vcc
	global_load_dwordx2 v[4:5], v[4:5], off
	s_load_dwordx2 s[8:9], s[4:5], 0x40
	v_mov_b32_e32 v13, s15
	s_cmp_eq_u32 s1, 1
	s_waitcnt vmcnt(1)
	v_subrev_co_u32_e32 v0, vcc, s16, v11
	v_subbrev_co_u32_e32 v1, vcc, 0, v12, vcc
	v_add_co_u32_e32 v0, vcc, v0, v31
	v_addc_co_u32_e32 v1, vcc, 0, v1, vcc
	v_lshlrev_b64 v[6:7], 6, v[0:1]
	s_waitcnt vmcnt(0)
	v_subrev_co_u32_e32 v4, vcc, s16, v4
	v_subbrev_co_u32_e32 v5, vcc, 0, v5, vcc
	v_cmp_lt_i64_e64 s[0:1], v[0:1], v[4:5]
	v_add_co_u32_e32 v6, vcc, s14, v6
	v_addc_co_u32_e32 v7, vcc, v13, v7, vcc
	s_cbranch_scc1 .LBB158_25
; %bb.14:
	v_mov_b32_e32 v17, 0
	v_mov_b32_e32 v19, 0
	;; [unrolled: 1-line block ×8, first 2 shown]
	s_and_saveexec_b64 s[10:11], s[0:1]
	s_cbranch_execz .LBB158_24
; %bb.15:
	v_or_b32_e32 v13, 32, v31
	v_subrev_co_u32_e32 v13, vcc, s16, v13
	v_subb_co_u32_e64 v14, s[2:3], 0, 0, vcc
	v_add_co_u32_e32 v13, vcc, v13, v11
	v_addc_co_u32_e32 v14, vcc, v14, v12, vcc
	v_cmp_gt_i64_e32 vcc, v[13:14], v[4:5]
	v_not_b32_e32 v16, v11
	v_cndmask_b32_e32 v14, v5, v14, vcc
	v_cndmask_b32_e32 v13, v4, v13, vcc
	v_sub_co_u32_e32 v17, vcc, s16, v31
	v_not_b32_e32 v15, v12
	v_subb_co_u32_e64 v18, s[2:3], 0, 0, vcc
	v_add_co_u32_e32 v16, vcc, v17, v16
	v_addc_co_u32_e32 v15, vcc, v18, v15, vcc
	v_add_co_u32_e32 v25, vcc, v16, v13
	v_addc_co_u32_e32 v26, vcc, v15, v14, vcc
	v_and_b32_e32 v13, 0x60, v25
	v_mov_b32_e32 v14, 0
	s_mov_b64 s[2:3], 0x60
	v_cmp_ne_u64_e32 vcc, s[2:3], v[13:14]
	v_mov_b32_e32 v23, 0
	v_mov_b32_e32 v21, 0
	;; [unrolled: 1-line block ×12, first 2 shown]
	s_and_saveexec_b64 s[14:15], vcc
	s_cbranch_execz .LBB158_19
; %bb.16:
	v_lshrrev_b32_e32 v13, 5, v25
	v_add_u32_e32 v13, 1, v13
	v_and_b32_e32 v15, 3, v13
	v_lshlrev_b64 v[13:14], 2, v[0:1]
	v_mov_b32_e32 v16, s13
	v_add_co_u32_e32 v27, vcc, s12, v13
	v_addc_co_u32_e32 v28, vcc, v16, v14, vcc
	v_sub_co_u32_e32 v29, vcc, 0, v15
	v_mov_b32_e32 v17, 0
	v_mov_b32_e32 v14, v7
	;; [unrolled: 1-line block ×6, first 2 shown]
	s_mov_b64 s[18:19], 0
	v_subb_co_u32_e64 v30, s[2:3], 0, 0, vcc
	v_mov_b32_e32 v18, 0
	s_movk_i32 s17, 0x800
	s_waitcnt lgkmcnt(0)
	v_mov_b32_e32 v32, s9
	v_mov_b32_e32 v13, v6
	;; [unrolled: 1-line block ×6, first 2 shown]
.LBB158_17:                             ; =>This Inner Loop Header: Depth=1
	global_load_dword v49, v[27:28], off
	global_load_dwordx4 v[33:36], v[13:14], off
	global_load_dwordx4 v[37:40], v[13:14], off offset:16
	global_load_dwordx4 v[41:44], v[13:14], off offset:32
	;; [unrolled: 1-line block ×3, first 2 shown]
	s_waitcnt vmcnt(4)
	v_subrev_u32_e32 v49, s16, v49
	v_lshlrev_b32_e32 v49, 2, v49
	v_ashrrev_i32_e32 v50, 31, v49
	v_lshlrev_b64 v[49:50], 3, v[49:50]
	s_waitcnt vmcnt(2)
	v_cvt_f64_f32_e32 v[59:60], v37
	v_add_co_u32_e32 v57, vcc, s8, v49
	v_addc_co_u32_e32 v58, vcc, v32, v50, vcc
	global_load_dwordx4 v[49:52], v[57:58], off
	global_load_dwordx4 v[53:56], v[57:58], off offset:16
	v_cvt_f64_f32_e32 v[57:58], v33
	s_waitcnt vmcnt(3)
	v_cvt_f64_f32_e32 v[61:62], v41
	s_waitcnt vmcnt(2)
	v_cvt_f64_f32_e32 v[63:64], v45
	v_cvt_f64_f32_e32 v[33:34], v34
	;; [unrolled: 1-line block ×5, first 2 shown]
	v_add_co_u32_e32 v13, vcc, s17, v13
	s_mov_b64 s[2:3], vcc
	v_add_co_u32_e32 v15, vcc, 32, v15
	v_addc_co_u32_e32 v16, vcc, 0, v16, vcc
	v_add_co_u32_e32 v29, vcc, 1, v29
	v_addc_co_u32_e32 v30, vcc, 0, v30, vcc
	v_cmp_eq_u64_e64 s[6:7], 0, v[29:30]
	v_add_co_u32_e32 v27, vcc, 0x80, v27
	v_addc_co_u32_e64 v14, s[2:3], 0, v14, s[2:3]
	s_or_b64 s[18:19], s[6:7], s[18:19]
	v_addc_co_u32_e32 v28, vcc, 0, v28, vcc
	s_waitcnt vmcnt(1)
	v_fma_f64 v[23:24], v[57:58], v[49:50], v[23:24]
	v_fma_f64 v[21:22], v[59:60], v[49:50], v[21:22]
	;; [unrolled: 1-line block ×8, first 2 shown]
	v_cvt_f64_f32_e32 v[33:34], v35
	v_cvt_f64_f32_e32 v[37:38], v39
	;; [unrolled: 1-line block ×4, first 2 shown]
	s_waitcnt vmcnt(0)
	v_fma_f64 v[23:24], v[33:34], v[53:54], v[23:24]
	v_fma_f64 v[21:22], v[37:38], v[53:54], v[21:22]
	;; [unrolled: 1-line block ×4, first 2 shown]
	v_cvt_f64_f32_e32 v[33:34], v36
	v_cvt_f64_f32_e32 v[35:36], v40
	;; [unrolled: 1-line block ×4, first 2 shown]
	v_fma_f64 v[23:24], v[33:34], v[55:56], v[23:24]
	v_fma_f64 v[21:22], v[35:36], v[55:56], v[21:22]
	;; [unrolled: 1-line block ×4, first 2 shown]
	s_andn2_b64 exec, exec, s[18:19]
	s_cbranch_execnz .LBB158_17
; %bb.18:
	s_or_b64 exec, exec, s[18:19]
.LBB158_19:
	s_or_b64 exec, exec, s[14:15]
	s_mov_b64 s[2:3], 0x5f
	v_cmp_lt_u64_e32 vcc, s[2:3], v[25:26]
	s_and_saveexec_b64 s[6:7], vcc
	s_cbranch_execz .LBB158_23
; %bb.20:
	v_lshlrev_b64 v[25:26], 2, v[15:16]
	v_mov_b32_e32 v27, s13
	v_add_co_u32_e32 v25, vcc, s12, v25
	v_addc_co_u32_e32 v26, vcc, v27, v26, vcc
	v_add_co_u32_e32 v25, vcc, 0x100, v25
	v_addc_co_u32_e32 v26, vcc, 0, v26, vcc
	s_mov_b64 s[14:15], 0
	s_waitcnt lgkmcnt(0)
	v_mov_b32_e32 v27, s9
	s_movk_i32 s17, 0x1000
.LBB158_21:                             ; =>This Inner Loop Header: Depth=1
	global_load_dword v28, v[25:26], off offset:-256
	global_load_dwordx4 v[32:35], v[13:14], off offset:48
	global_load_dwordx4 v[36:39], v[13:14], off offset:32
	;; [unrolled: 1-line block ×3, first 2 shown]
	global_load_dwordx4 v[44:47], v[13:14], off
	s_waitcnt vmcnt(4)
	v_subrev_u32_e32 v28, s16, v28
	v_lshlrev_b32_e32 v28, 2, v28
	v_ashrrev_i32_e32 v29, 31, v28
	v_lshlrev_b64 v[28:29], 3, v[28:29]
	s_waitcnt vmcnt(0)
	v_cvt_f64_f32_e32 v[56:57], v44
	v_add_co_u32_e32 v28, vcc, s8, v28
	v_addc_co_u32_e32 v29, vcc, v27, v29, vcc
	global_load_dwordx4 v[48:51], v[28:29], off offset:16
	global_load_dwordx4 v[52:55], v[28:29], off
	v_cvt_f64_f32_e32 v[28:29], v45
	s_waitcnt vmcnt(0)
	v_fma_f64 v[23:24], v[56:57], v[52:53], v[23:24]
	v_fma_f64 v[23:24], v[28:29], v[54:55], v[23:24]
	v_cvt_f64_f32_e32 v[28:29], v46
	v_fma_f64 v[23:24], v[28:29], v[48:49], v[23:24]
	v_cvt_f64_f32_e32 v[28:29], v47
	;; [unrolled: 2-line block ×14, first 2 shown]
	v_fma_f64 v[48:49], v[19:20], v[50:51], v[17:18]
	global_load_dword v17, v[25:26], off offset:-128
	s_waitcnt vmcnt(0)
	v_subrev_u32_e32 v17, s16, v17
	v_lshlrev_b32_e32 v40, 2, v17
	v_ashrrev_i32_e32 v41, 31, v40
	global_load_dwordx4 v[17:20], v[13:14], off offset:2096
	global_load_dwordx4 v[21:24], v[13:14], off offset:2080
	global_load_dwordx4 v[32:35], v[13:14], off offset:2064
	global_load_dwordx4 v[36:39], v[13:14], off offset:2048
	v_lshlrev_b64 v[40:41], 3, v[40:41]
	v_add_co_u32_e32 v52, vcc, s8, v40
	v_addc_co_u32_e32 v53, vcc, v27, v41, vcc
	global_load_dwordx4 v[40:43], v[52:53], off offset:16
	global_load_dwordx4 v[44:47], v[52:53], off
	v_add_co_u32_e32 v54, vcc, s17, v13
	v_addc_co_u32_e32 v55, vcc, 0, v14, vcc
	s_waitcnt vmcnt(2)
	v_cvt_f64_f32_e32 v[50:51], v36
	v_cvt_f64_f32_e32 v[36:37], v37
	s_waitcnt vmcnt(0)
	v_fma_f64 v[28:29], v[50:51], v[44:45], v[28:29]
	v_fma_f64 v[28:29], v[36:37], v[46:47], v[28:29]
	v_cvt_f64_f32_e32 v[36:37], v38
	v_fma_f64 v[28:29], v[36:37], v[40:41], v[28:29]
	v_cvt_f64_f32_e32 v[36:37], v39
	v_fma_f64 v[28:29], v[36:37], v[42:43], v[28:29]
	v_cvt_f64_f32_e32 v[36:37], v32
	v_cvt_f64_f32_e32 v[32:33], v33
	v_fma_f64 v[36:37], v[36:37], v[44:45], v[56:57]
	v_fma_f64 v[32:33], v[32:33], v[46:47], v[36:37]
	v_cvt_f64_f32_e32 v[36:37], v34
	v_cvt_f64_f32_e32 v[34:35], v35
	v_fma_f64 v[32:33], v[36:37], v[40:41], v[32:33]
	v_fma_f64 v[50:51], v[34:35], v[42:43], v[32:33]
	v_cvt_f64_f32_e32 v[32:33], v21
	;; [unrolled: 4-line block ×5, first 2 shown]
	v_cvt_f64_f32_e32 v[19:20], v20
	v_fma_f64 v[17:18], v[21:22], v[40:41], v[17:18]
	v_fma_f64 v[48:49], v[19:20], v[42:43], v[17:18]
	global_load_dword v17, v[25:26], off
	s_waitcnt vmcnt(0)
	v_subrev_u32_e32 v17, s16, v17
	v_lshlrev_b32_e32 v40, 2, v17
	v_ashrrev_i32_e32 v41, 31, v40
	v_lshlrev_b64 v[40:41], 3, v[40:41]
	global_load_dwordx4 v[17:20], v[54:55], off
	global_load_dwordx4 v[21:24], v[54:55], off offset:48
	global_load_dwordx4 v[32:35], v[54:55], off offset:32
	;; [unrolled: 1-line block ×3, first 2 shown]
	v_add_co_u32_e32 v58, vcc, s8, v40
	v_addc_co_u32_e32 v59, vcc, v27, v41, vcc
	global_load_dwordx4 v[40:43], v[58:59], off offset:16
	global_load_dwordx4 v[44:47], v[58:59], off
	s_waitcnt vmcnt(5)
	v_cvt_f64_f32_e32 v[56:57], v17
	v_cvt_f64_f32_e32 v[17:18], v18
	s_waitcnt vmcnt(0)
	v_fma_f64 v[28:29], v[56:57], v[44:45], v[28:29]
	v_fma_f64 v[17:18], v[17:18], v[46:47], v[28:29]
	v_cvt_f64_f32_e32 v[28:29], v19
	v_cvt_f64_f32_e32 v[19:20], v20
	v_fma_f64 v[17:18], v[28:29], v[40:41], v[17:18]
	v_fma_f64 v[28:29], v[19:20], v[42:43], v[17:18]
	v_cvt_f64_f32_e32 v[17:18], v36
	v_cvt_f64_f32_e32 v[19:20], v37
	v_fma_f64 v[17:18], v[17:18], v[44:45], v[50:51]
	v_fma_f64 v[17:18], v[19:20], v[46:47], v[17:18]
	v_cvt_f64_f32_e32 v[19:20], v38
	v_fma_f64 v[17:18], v[19:20], v[40:41], v[17:18]
	v_cvt_f64_f32_e32 v[19:20], v39
	v_fma_f64 v[50:51], v[19:20], v[42:43], v[17:18]
	v_cvt_f64_f32_e32 v[17:18], v32
	v_cvt_f64_f32_e32 v[19:20], v33
	v_fma_f64 v[17:18], v[17:18], v[44:45], v[52:53]
	v_fma_f64 v[17:18], v[19:20], v[46:47], v[17:18]
	v_cvt_f64_f32_e32 v[19:20], v34
	v_fma_f64 v[17:18], v[19:20], v[40:41], v[17:18]
	v_cvt_f64_f32_e32 v[19:20], v35
	;; [unrolled: 8-line block ×3, first 2 shown]
	v_fma_f64 v[48:49], v[19:20], v[42:43], v[17:18]
	global_load_dword v17, v[25:26], off offset:128
	s_waitcnt vmcnt(0)
	v_subrev_u32_e32 v17, s16, v17
	v_lshlrev_b32_e32 v40, 2, v17
	v_ashrrev_i32_e32 v41, 31, v40
	global_load_dwordx4 v[32:35], v[54:55], off offset:2096
	global_load_dwordx4 v[17:20], v[54:55], off offset:2080
	;; [unrolled: 1-line block ×4, first 2 shown]
	v_lshlrev_b64 v[40:41], 3, v[40:41]
	v_add_co_u32_e32 v56, vcc, s8, v40
	v_addc_co_u32_e32 v57, vcc, v27, v41, vcc
	global_load_dwordx4 v[40:43], v[56:57], off offset:16
	global_load_dwordx4 v[44:47], v[56:57], off
	v_add_co_u32_e32 v15, vcc, 0x80, v15
	v_addc_co_u32_e32 v16, vcc, 0, v16, vcc
	v_add_co_u32_e32 v25, vcc, 0x200, v25
	v_addc_co_u32_e32 v26, vcc, 0, v26, vcc
	v_cmp_ge_i64_e64 s[2:3], v[15:16], v[4:5]
	v_add_co_u32_e32 v13, vcc, 0x2000, v13
	v_addc_co_u32_e32 v14, vcc, 0, v14, vcc
	s_or_b64 s[14:15], s[2:3], s[14:15]
	s_waitcnt vmcnt(2)
	v_cvt_f64_f32_e32 v[54:55], v21
	v_cvt_f64_f32_e32 v[21:22], v22
	s_waitcnt vmcnt(0)
	v_fma_f64 v[28:29], v[54:55], v[44:45], v[28:29]
	v_fma_f64 v[21:22], v[21:22], v[46:47], v[28:29]
	v_cvt_f64_f32_e32 v[28:29], v23
	v_cvt_f64_f32_e32 v[23:24], v24
	v_fma_f64 v[21:22], v[28:29], v[40:41], v[21:22]
	v_cvt_f64_f32_e32 v[28:29], v37
	v_fma_f64 v[23:24], v[23:24], v[42:43], v[21:22]
	;; [unrolled: 2-line block ×3, first 2 shown]
	v_fma_f64 v[21:22], v[28:29], v[46:47], v[21:22]
	v_cvt_f64_f32_e32 v[28:29], v38
	v_fma_f64 v[21:22], v[28:29], v[40:41], v[21:22]
	v_cvt_f64_f32_e32 v[28:29], v39
	;; [unrolled: 2-line block ×3, first 2 shown]
	v_cvt_f64_f32_e32 v[17:18], v18
	v_fma_f64 v[28:29], v[28:29], v[44:45], v[52:53]
	v_fma_f64 v[17:18], v[17:18], v[46:47], v[28:29]
	v_cvt_f64_f32_e32 v[28:29], v19
	v_cvt_f64_f32_e32 v[19:20], v20
	v_fma_f64 v[17:18], v[28:29], v[40:41], v[17:18]
	v_cvt_f64_f32_e32 v[28:29], v33
	v_fma_f64 v[19:20], v[19:20], v[42:43], v[17:18]
	;; [unrolled: 2-line block ×3, first 2 shown]
	v_fma_f64 v[17:18], v[28:29], v[46:47], v[17:18]
	v_cvt_f64_f32_e32 v[28:29], v34
	v_fma_f64 v[17:18], v[28:29], v[40:41], v[17:18]
	v_cvt_f64_f32_e32 v[28:29], v35
	v_fma_f64 v[17:18], v[28:29], v[42:43], v[17:18]
	s_andn2_b64 exec, exec, s[14:15]
	s_cbranch_execnz .LBB158_21
; %bb.22:
	s_or_b64 exec, exec, s[14:15]
.LBB158_23:
	s_or_b64 exec, exec, s[6:7]
.LBB158_24:
	s_or_b64 exec, exec, s[10:11]
	s_cbranch_execz .LBB158_26
	s_branch .LBB158_37
.LBB158_25:
                                        ; implicit-def: $vgpr17_vgpr18
                                        ; implicit-def: $vgpr19_vgpr20
                                        ; implicit-def: $vgpr21_vgpr22
                                        ; implicit-def: $vgpr23_vgpr24
.LBB158_26:
	v_mov_b32_e32 v17, 0
	v_mov_b32_e32 v19, 0
	;; [unrolled: 1-line block ×8, first 2 shown]
	s_and_saveexec_b64 s[2:3], s[0:1]
	s_cbranch_execz .LBB158_36
; %bb.27:
	v_or_b32_e32 v13, 32, v31
	v_subrev_co_u32_e32 v13, vcc, s16, v13
	v_subb_co_u32_e64 v14, s[0:1], 0, 0, vcc
	v_add_co_u32_e32 v13, vcc, v13, v11
	v_addc_co_u32_e32 v14, vcc, v14, v12, vcc
	v_cmp_gt_i64_e32 vcc, v[13:14], v[4:5]
	v_not_b32_e32 v11, v11
	v_cndmask_b32_e32 v14, v5, v14, vcc
	v_cndmask_b32_e32 v13, v4, v13, vcc
	v_sub_co_u32_e32 v15, vcc, s16, v31
	v_not_b32_e32 v12, v12
	v_subb_co_u32_e64 v16, s[0:1], 0, 0, vcc
	v_add_co_u32_e32 v11, vcc, v15, v11
	v_addc_co_u32_e32 v12, vcc, v16, v12, vcc
	v_add_co_u32_e32 v11, vcc, v11, v13
	v_addc_co_u32_e32 v12, vcc, v12, v14, vcc
	v_and_b32_e32 v13, 0x60, v11
	v_mov_b32_e32 v14, 0
	s_mov_b64 s[0:1], 0x60
	v_cmp_ne_u64_e32 vcc, s[0:1], v[13:14]
	v_mov_b32_e32 v23, 0
	v_mov_b32_e32 v21, 0
	;; [unrolled: 1-line block ×8, first 2 shown]
	s_and_saveexec_b64 s[6:7], vcc
	s_cbranch_execz .LBB158_31
; %bb.28:
	v_lshrrev_b32_e32 v13, 5, v11
	v_add_u32_e32 v13, 1, v13
	v_and_b32_e32 v15, 3, v13
	v_lshlrev_b64 v[13:14], 2, v[0:1]
	v_mov_b32_e32 v16, s13
	v_add_co_u32_e32 v13, vcc, s12, v13
	v_addc_co_u32_e32 v14, vcc, v16, v14, vcc
	v_sub_co_u32_e32 v15, vcc, 0, v15
	v_mov_b32_e32 v17, 0
	v_mov_b32_e32 v19, 0
	;; [unrolled: 1-line block ×4, first 2 shown]
	s_mov_b64 s[10:11], 0
	v_subb_co_u32_e64 v16, s[0:1], 0, 0, vcc
	v_mov_b32_e32 v18, 0
	s_movk_i32 s14, 0x800
	v_mov_b32_e32 v20, 0
	v_mov_b32_e32 v22, 0
	;; [unrolled: 1-line block ×3, first 2 shown]
	s_waitcnt lgkmcnt(0)
	v_mov_b32_e32 v25, s9
.LBB158_29:                             ; =>This Inner Loop Header: Depth=1
	global_load_dword v30, v[13:14], off
	global_load_dwordx4 v[26:29], v[6:7], off offset:16
	global_load_dwordx4 v[32:35], v[6:7], off
	v_add_co_u32_e64 v0, s[0:1], 32, v0
	v_addc_co_u32_e64 v1, s[0:1], 0, v1, s[0:1]
	v_add_co_u32_e64 v15, s[0:1], 1, v15
	v_addc_co_u32_e64 v16, s[0:1], 0, v16, s[0:1]
	v_cmp_eq_u64_e64 s[0:1], 0, v[15:16]
	s_or_b64 s[10:11], s[0:1], s[10:11]
	s_waitcnt vmcnt(2)
	v_subrev_u32_e32 v30, s16, v30
	v_lshlrev_b32_e32 v36, 2, v30
	v_ashrrev_i32_e32 v37, 31, v36
	v_lshlrev_b64 v[36:37], 3, v[36:37]
	s_waitcnt vmcnt(0)
	v_cvt_f64_f32_e32 v[54:55], v34
	v_add_co_u32_e32 v52, vcc, s8, v36
	v_addc_co_u32_e32 v53, vcc, v25, v37, vcc
	global_load_dwordx4 v[36:39], v[52:53], off
	global_load_dwordx4 v[40:43], v[52:53], off offset:16
	global_load_dwordx4 v[44:47], v[6:7], off offset:32
	global_load_dwordx4 v[48:51], v[6:7], off offset:48
	v_cvt_f64_f32_e32 v[52:53], v32
	v_cvt_f64_f32_e32 v[32:33], v33
	;; [unrolled: 1-line block ×3, first 2 shown]
	v_add_co_u32_e32 v6, vcc, s14, v6
	v_addc_co_u32_e32 v7, vcc, 0, v7, vcc
	v_add_co_u32_e32 v13, vcc, 0x80, v13
	v_addc_co_u32_e32 v14, vcc, 0, v14, vcc
	s_waitcnt vmcnt(3)
	v_fma_f64 v[23:24], v[52:53], v[36:37], v[23:24]
	v_fma_f64 v[21:22], v[32:33], v[36:37], v[21:22]
	v_fma_f64 v[19:20], v[54:55], v[36:37], v[19:20]
	v_fma_f64 v[17:18], v[34:35], v[36:37], v[17:18]
	v_cvt_f64_f32_e32 v[32:33], v26
	v_cvt_f64_f32_e32 v[26:27], v27
	;; [unrolled: 1-line block ×4, first 2 shown]
	v_fma_f64 v[23:24], v[32:33], v[38:39], v[23:24]
	v_fma_f64 v[21:22], v[26:27], v[38:39], v[21:22]
	;; [unrolled: 1-line block ×4, first 2 shown]
	s_waitcnt vmcnt(1)
	v_cvt_f64_f32_e32 v[26:27], v44
	v_cvt_f64_f32_e32 v[28:29], v45
	;; [unrolled: 1-line block ×4, first 2 shown]
	v_fma_f64 v[23:24], v[26:27], v[40:41], v[23:24]
	v_fma_f64 v[21:22], v[28:29], v[40:41], v[21:22]
	;; [unrolled: 1-line block ×4, first 2 shown]
	s_waitcnt vmcnt(0)
	v_cvt_f64_f32_e32 v[26:27], v48
	v_cvt_f64_f32_e32 v[28:29], v49
	;; [unrolled: 1-line block ×4, first 2 shown]
	v_fma_f64 v[23:24], v[26:27], v[42:43], v[23:24]
	v_fma_f64 v[21:22], v[28:29], v[42:43], v[21:22]
	v_fma_f64 v[19:20], v[32:33], v[42:43], v[19:20]
	v_fma_f64 v[17:18], v[34:35], v[42:43], v[17:18]
	s_andn2_b64 exec, exec, s[10:11]
	s_cbranch_execnz .LBB158_29
; %bb.30:
	s_or_b64 exec, exec, s[10:11]
.LBB158_31:
	s_or_b64 exec, exec, s[6:7]
	s_mov_b64 s[0:1], 0x5f
	v_cmp_lt_u64_e32 vcc, s[0:1], v[11:12]
	s_and_saveexec_b64 s[6:7], vcc
	s_cbranch_execz .LBB158_35
; %bb.32:
	v_lshlrev_b64 v[11:12], 2, v[0:1]
	v_mov_b32_e32 v13, s13
	v_add_co_u32_e32 v11, vcc, s12, v11
	v_addc_co_u32_e32 v12, vcc, v13, v12, vcc
	v_add_co_u32_e32 v11, vcc, 0x100, v11
	v_addc_co_u32_e32 v12, vcc, 0, v12, vcc
	s_mov_b64 s[10:11], 0
	s_waitcnt lgkmcnt(0)
	v_mov_b32_e32 v13, s9
	s_movk_i32 s9, 0x1000
.LBB158_33:                             ; =>This Inner Loop Header: Depth=1
	global_load_dword v14, v[11:12], off offset:-256
	global_load_dwordx4 v[25:28], v[6:7], off offset:48
	global_load_dwordx4 v[32:35], v[6:7], off offset:32
	;; [unrolled: 1-line block ×3, first 2 shown]
	global_load_dwordx4 v[40:43], v[6:7], off
	s_waitcnt vmcnt(4)
	v_subrev_u32_e32 v14, s16, v14
	v_lshlrev_b32_e32 v14, 2, v14
	v_ashrrev_i32_e32 v15, 31, v14
	v_lshlrev_b64 v[14:15], 3, v[14:15]
	s_waitcnt vmcnt(0)
	v_cvt_f64_f32_e32 v[29:30], v40
	v_add_co_u32_e32 v14, vcc, s8, v14
	v_addc_co_u32_e32 v15, vcc, v13, v15, vcc
	global_load_dwordx4 v[44:47], v[14:15], off offset:16
	global_load_dwordx4 v[48:51], v[14:15], off
	s_waitcnt vmcnt(0)
	v_fma_f64 v[14:15], v[29:30], v[48:49], v[23:24]
	v_cvt_f64_f32_e32 v[23:24], v41
	v_fma_f64 v[21:22], v[23:24], v[48:49], v[21:22]
	v_cvt_f64_f32_e32 v[23:24], v42
	v_fma_f64 v[19:20], v[23:24], v[48:49], v[19:20]
	v_cvt_f64_f32_e32 v[23:24], v43
	v_fma_f64 v[16:17], v[23:24], v[48:49], v[17:18]
	v_cvt_f64_f32_e32 v[23:24], v36
	v_fma_f64 v[14:15], v[23:24], v[50:51], v[14:15]
	v_cvt_f64_f32_e32 v[23:24], v37
	v_fma_f64 v[21:22], v[23:24], v[50:51], v[21:22]
	v_cvt_f64_f32_e32 v[23:24], v38
	v_fma_f64 v[18:19], v[23:24], v[50:51], v[19:20]
	v_cvt_f64_f32_e32 v[23:24], v39
	v_fma_f64 v[16:17], v[23:24], v[50:51], v[16:17]
	v_cvt_f64_f32_e32 v[23:24], v32
	v_fma_f64 v[14:15], v[23:24], v[44:45], v[14:15]
	v_cvt_f64_f32_e32 v[23:24], v33
	v_fma_f64 v[20:21], v[23:24], v[44:45], v[21:22]
	v_cvt_f64_f32_e32 v[22:23], v34
	v_fma_f64 v[18:19], v[22:23], v[44:45], v[18:19]
	v_cvt_f64_f32_e32 v[22:23], v35
	v_fma_f64 v[16:17], v[22:23], v[44:45], v[16:17]
	v_cvt_f64_f32_e32 v[22:23], v25
	v_fma_f64 v[40:41], v[22:23], v[46:47], v[14:15]
	v_cvt_f64_f32_e32 v[14:15], v26
	v_fma_f64 v[42:43], v[14:15], v[46:47], v[20:21]
	v_cvt_f64_f32_e32 v[14:15], v27
	v_fma_f64 v[44:45], v[14:15], v[46:47], v[18:19]
	v_cvt_f64_f32_e32 v[14:15], v28
	v_fma_f64 v[46:47], v[14:15], v[46:47], v[16:17]
	global_load_dword v14, v[11:12], off offset:-128
	s_waitcnt vmcnt(0)
	v_subrev_u32_e32 v14, s16, v14
	v_lshlrev_b32_e32 v32, 2, v14
	v_ashrrev_i32_e32 v33, 31, v32
	global_load_dwordx4 v[14:17], v[6:7], off offset:2096
	global_load_dwordx4 v[18:21], v[6:7], off offset:2080
	;; [unrolled: 1-line block ×4, first 2 shown]
	v_lshlrev_b64 v[32:33], 3, v[32:33]
	v_add_co_u32_e32 v50, vcc, s8, v32
	v_addc_co_u32_e32 v51, vcc, v13, v33, vcc
	global_load_dwordx4 v[32:35], v[50:51], off offset:16
	global_load_dwordx4 v[36:39], v[50:51], off
	s_waitcnt vmcnt(2)
	v_cvt_f64_f32_e32 v[48:49], v26
	v_cvt_f64_f32_e32 v[26:27], v27
	s_waitcnt vmcnt(0)
	v_fma_f64 v[26:27], v[26:27], v[36:37], v[42:43]
	v_cvt_f64_f32_e32 v[42:43], v28
	v_cvt_f64_f32_e32 v[28:29], v29
	v_fma_f64 v[40:41], v[48:49], v[36:37], v[40:41]
	v_add_co_u32_e32 v48, vcc, s9, v6
	v_fma_f64 v[42:43], v[42:43], v[36:37], v[44:45]
	v_fma_f64 v[28:29], v[28:29], v[36:37], v[46:47]
	v_cvt_f64_f32_e32 v[36:37], v22
	v_cvt_f64_f32_e32 v[22:23], v23
	v_addc_co_u32_e32 v49, vcc, 0, v7, vcc
	v_fma_f64 v[36:37], v[36:37], v[38:39], v[40:41]
	v_fma_f64 v[22:23], v[22:23], v[38:39], v[26:27]
	v_cvt_f64_f32_e32 v[26:27], v24
	v_cvt_f64_f32_e32 v[24:25], v25
	v_fma_f64 v[26:27], v[26:27], v[38:39], v[42:43]
	v_fma_f64 v[24:25], v[24:25], v[38:39], v[28:29]
	v_cvt_f64_f32_e32 v[28:29], v18
	v_cvt_f64_f32_e32 v[18:19], v19
	;; [unrolled: 4-line block ×4, first 2 shown]
	v_fma_f64 v[40:41], v[24:25], v[34:35], v[28:29]
	v_fma_f64 v[42:43], v[14:15], v[34:35], v[18:19]
	v_cvt_f64_f32_e32 v[14:15], v16
	v_fma_f64 v[44:45], v[14:15], v[34:35], v[22:23]
	v_cvt_f64_f32_e32 v[14:15], v17
	v_fma_f64 v[46:47], v[14:15], v[34:35], v[20:21]
	global_load_dword v14, v[11:12], off
	s_waitcnt vmcnt(0)
	v_subrev_u32_e32 v14, s16, v14
	v_lshlrev_b32_e32 v32, 2, v14
	v_ashrrev_i32_e32 v33, 31, v32
	v_lshlrev_b64 v[32:33], 3, v[32:33]
	global_load_dwordx4 v[14:17], v[48:49], off
	global_load_dwordx4 v[18:21], v[48:49], off offset:48
	global_load_dwordx4 v[22:25], v[48:49], off offset:32
	;; [unrolled: 1-line block ×3, first 2 shown]
	v_add_co_u32_e32 v52, vcc, s8, v32
	v_addc_co_u32_e32 v53, vcc, v13, v33, vcc
	global_load_dwordx4 v[32:35], v[52:53], off offset:16
	global_load_dwordx4 v[36:39], v[52:53], off
	s_waitcnt vmcnt(5)
	v_cvt_f64_f32_e32 v[50:51], v14
	v_cvt_f64_f32_e32 v[14:15], v15
	s_waitcnt vmcnt(0)
	v_fma_f64 v[14:15], v[14:15], v[36:37], v[42:43]
	v_cvt_f64_f32_e32 v[42:43], v16
	v_cvt_f64_f32_e32 v[16:17], v17
	v_fma_f64 v[40:41], v[50:51], v[36:37], v[40:41]
	v_fma_f64 v[42:43], v[42:43], v[36:37], v[44:45]
	;; [unrolled: 1-line block ×3, first 2 shown]
	v_cvt_f64_f32_e32 v[36:37], v26
	v_cvt_f64_f32_e32 v[26:27], v27
	v_fma_f64 v[36:37], v[36:37], v[38:39], v[40:41]
	v_fma_f64 v[14:15], v[26:27], v[38:39], v[14:15]
	v_cvt_f64_f32_e32 v[26:27], v28
	v_cvt_f64_f32_e32 v[28:29], v29
	v_fma_f64 v[26:27], v[26:27], v[38:39], v[42:43]
	v_fma_f64 v[16:17], v[28:29], v[38:39], v[16:17]
	;; [unrolled: 4-line block ×5, first 2 shown]
	v_cvt_f64_f32_e32 v[14:15], v20
	v_fma_f64 v[44:45], v[14:15], v[34:35], v[22:23]
	v_cvt_f64_f32_e32 v[14:15], v21
	v_fma_f64 v[46:47], v[14:15], v[34:35], v[16:17]
	global_load_dword v14, v[11:12], off offset:128
	s_waitcnt vmcnt(0)
	v_subrev_u32_e32 v14, s16, v14
	v_lshlrev_b32_e32 v32, 2, v14
	v_ashrrev_i32_e32 v33, 31, v32
	global_load_dwordx4 v[14:17], v[48:49], off offset:2096
	global_load_dwordx4 v[18:21], v[48:49], off offset:2080
	;; [unrolled: 1-line block ×4, first 2 shown]
	v_lshlrev_b64 v[32:33], 3, v[32:33]
	v_add_co_u32_e32 v50, vcc, s8, v32
	v_addc_co_u32_e32 v51, vcc, v13, v33, vcc
	global_load_dwordx4 v[32:35], v[50:51], off offset:16
	global_load_dwordx4 v[36:39], v[50:51], off
	v_add_co_u32_e32 v0, vcc, 0x80, v0
	v_addc_co_u32_e32 v1, vcc, 0, v1, vcc
	v_add_co_u32_e32 v11, vcc, 0x200, v11
	v_addc_co_u32_e32 v12, vcc, 0, v12, vcc
	v_cmp_ge_i64_e64 s[0:1], v[0:1], v[4:5]
	v_add_co_u32_e32 v6, vcc, 0x2000, v6
	v_addc_co_u32_e32 v7, vcc, 0, v7, vcc
	s_or_b64 s[10:11], s[0:1], s[10:11]
	s_waitcnt vmcnt(2)
	v_cvt_f64_f32_e32 v[48:49], v26
	v_cvt_f64_f32_e32 v[26:27], v27
	s_waitcnt vmcnt(0)
	v_fma_f64 v[40:41], v[48:49], v[36:37], v[40:41]
	v_fma_f64 v[26:27], v[26:27], v[36:37], v[42:43]
	v_cvt_f64_f32_e32 v[42:43], v28
	v_cvt_f64_f32_e32 v[28:29], v29
	v_fma_f64 v[42:43], v[42:43], v[36:37], v[44:45]
	v_fma_f64 v[28:29], v[28:29], v[36:37], v[46:47]
	v_cvt_f64_f32_e32 v[36:37], v22
	v_cvt_f64_f32_e32 v[22:23], v23
	;; [unrolled: 4-line block ×6, first 2 shown]
	v_fma_f64 v[23:24], v[20:21], v[34:35], v[28:29]
	v_fma_f64 v[21:22], v[14:15], v[34:35], v[18:19]
	v_cvt_f64_f32_e32 v[14:15], v16
	v_fma_f64 v[19:20], v[14:15], v[34:35], v[26:27]
	v_cvt_f64_f32_e32 v[14:15], v17
	v_fma_f64 v[17:18], v[14:15], v[34:35], v[32:33]
	s_andn2_b64 exec, exec, s[10:11]
	s_cbranch_execnz .LBB158_33
; %bb.34:
	s_or_b64 exec, exec, s[10:11]
.LBB158_35:
	s_or_b64 exec, exec, s[6:7]
.LBB158_36:
	s_or_b64 exec, exec, s[2:3]
.LBB158_37:
	v_mov_b32_dpp v0, v23 row_shr:1 row_mask:0xf bank_mask:0xf
	v_mov_b32_dpp v1, v24 row_shr:1 row_mask:0xf bank_mask:0xf
	v_add_f64 v[0:1], v[23:24], v[0:1]
	v_mov_b32_dpp v4, v21 row_shr:1 row_mask:0xf bank_mask:0xf
	v_mov_b32_dpp v5, v22 row_shr:1 row_mask:0xf bank_mask:0xf
	;; [unrolled: 1-line block ×3, first 2 shown]
	v_add_f64 v[4:5], v[21:22], v[4:5]
	v_mov_b32_dpp v7, v20 row_shr:1 row_mask:0xf bank_mask:0xf
	v_add_f64 v[6:7], v[19:20], v[6:7]
	v_cmp_eq_u32_e32 vcc, 31, v31
	v_mov_b32_dpp v11, v0 row_shr:2 row_mask:0xf bank_mask:0xf
	v_mov_b32_dpp v12, v1 row_shr:2 row_mask:0xf bank_mask:0xf
	v_add_f64 v[0:1], v[0:1], v[11:12]
	v_mov_b32_dpp v11, v17 row_shr:1 row_mask:0xf bank_mask:0xf
	v_mov_b32_dpp v12, v18 row_shr:1 row_mask:0xf bank_mask:0xf
	v_add_f64 v[11:12], v[17:18], v[11:12]
	;; [unrolled: 3-line block ×4, first 2 shown]
	v_mov_b32_dpp v15, v6 row_shr:2 row_mask:0xf bank_mask:0xf
	v_mov_b32_dpp v16, v7 row_shr:2 row_mask:0xf bank_mask:0xf
	;; [unrolled: 1-line block ×3, first 2 shown]
	v_add_f64 v[6:7], v[6:7], v[15:16]
	v_mov_b32_dpp v14, v12 row_shr:2 row_mask:0xf bank_mask:0xf
	v_add_f64 v[11:12], v[11:12], v[13:14]
	v_mov_b32_dpp v15, v4 row_shr:4 row_mask:0xf bank_mask:0xe
	v_mov_b32_dpp v16, v5 row_shr:4 row_mask:0xf bank_mask:0xe
	v_add_f64 v[4:5], v[4:5], v[15:16]
	v_mov_b32_dpp v13, v0 row_shr:8 row_mask:0xf bank_mask:0xc
	v_mov_b32_dpp v14, v1 row_shr:8 row_mask:0xf bank_mask:0xc
	;; [unrolled: 1-line block ×4, first 2 shown]
	v_add_f64 v[6:7], v[6:7], v[15:16]
	v_mov_b32_dpp v15, v11 row_shr:4 row_mask:0xf bank_mask:0xe
	v_mov_b32_dpp v16, v12 row_shr:4 row_mask:0xf bank_mask:0xe
	v_add_f64 v[11:12], v[11:12], v[15:16]
	v_add_f64 v[0:1], v[0:1], v[13:14]
	v_mov_b32_dpp v13, v4 row_shr:8 row_mask:0xf bank_mask:0xc
	v_mov_b32_dpp v14, v5 row_shr:8 row_mask:0xf bank_mask:0xc
	v_add_f64 v[4:5], v[4:5], v[13:14]
	v_mov_b32_dpp v13, v6 row_shr:8 row_mask:0xf bank_mask:0xc
	v_mov_b32_dpp v14, v7 row_shr:8 row_mask:0xf bank_mask:0xc
	;; [unrolled: 3-line block ×3, first 2 shown]
	v_add_f64 v[11:12], v[11:12], v[13:14]
	v_mov_b32_dpp v19, v0 row_bcast:15 row_mask:0xa bank_mask:0xf
	v_mov_b32_dpp v20, v1 row_bcast:15 row_mask:0xa bank_mask:0xf
	;; [unrolled: 1-line block ×8, first 2 shown]
	s_and_b64 exec, exec, vcc
	s_cbranch_execz .LBB158_10
; %bb.38:
	v_add_f64 v[0:1], v[0:1], v[19:20]
	v_add_f64 v[17:18], v[4:5], v[17:18]
	;; [unrolled: 1-line block ×4, first 2 shown]
	v_cmp_eq_f64_e32 vcc, 0, v[8:9]
	s_load_dwordx2 s[0:1], s[4:5], 0x50
	v_lshlrev_b32_e32 v10, 2, v10
	v_mul_f64 v[4:5], v[2:3], v[0:1]
	v_mul_f64 v[6:7], v[2:3], v[17:18]
	;; [unrolled: 1-line block ×4, first 2 shown]
	s_and_saveexec_b64 s[2:3], vcc
	s_xor_b64 s[2:3], exec, s[2:3]
	s_cbranch_execz .LBB158_40
; %bb.39:
	v_ashrrev_i32_e32 v11, 31, v10
	v_lshlrev_b64 v[8:9], 3, v[10:11]
	s_waitcnt lgkmcnt(0)
	v_mov_b32_e32 v10, s1
	v_add_co_u32_e32 v8, vcc, s0, v8
	v_addc_co_u32_e32 v9, vcc, v10, v9, vcc
	global_store_dwordx4 v[8:9], v[4:7], off
	global_store_dwordx4 v[8:9], v[0:3], off offset:16
                                        ; implicit-def: $vgpr10
                                        ; implicit-def: $vgpr8_vgpr9
                                        ; implicit-def: $vgpr4_vgpr5
                                        ; implicit-def: $vgpr0_vgpr1
.LBB158_40:
	s_andn2_saveexec_b64 s[2:3], s[2:3]
	s_cbranch_execz .LBB158_10
; %bb.41:
	v_ashrrev_i32_e32 v11, 31, v10
	v_lshlrev_b64 v[10:11], 3, v[10:11]
	s_waitcnt lgkmcnt(0)
	v_mov_b32_e32 v12, s1
	v_add_co_u32_e32 v18, vcc, s0, v10
	v_addc_co_u32_e32 v19, vcc, v12, v11, vcc
	global_load_dwordx4 v[10:13], v[18:19], off
	global_load_dwordx4 v[14:17], v[18:19], off offset:16
	s_waitcnt vmcnt(1)
	v_fma_f64 v[4:5], v[8:9], v[10:11], v[4:5]
	v_fma_f64 v[6:7], v[8:9], v[12:13], v[6:7]
	s_waitcnt vmcnt(0)
	v_fma_f64 v[0:1], v[8:9], v[14:15], v[0:1]
	v_fma_f64 v[2:3], v[8:9], v[16:17], v[2:3]
	global_store_dwordx4 v[18:19], v[4:7], off
	global_store_dwordx4 v[18:19], v[0:3], off offset:16
	s_endpgm
	.section	.rodata,"a",@progbits
	.p2align	6, 0x0
	.amdhsa_kernel _ZN9rocsparseL18bsrxmvn_4x4_kernelILj128ELj32EdlifddEEvT3_20rocsparse_direction_NS_24const_host_device_scalarIT1_EES1_PKS1_PKT2_SA_S7_PKT4_PKT5_S5_PT6_21rocsparse_index_base_b
		.amdhsa_group_segment_fixed_size 0
		.amdhsa_private_segment_fixed_size 0
		.amdhsa_kernarg_size 96
		.amdhsa_user_sgpr_count 6
		.amdhsa_user_sgpr_private_segment_buffer 1
		.amdhsa_user_sgpr_dispatch_ptr 0
		.amdhsa_user_sgpr_queue_ptr 0
		.amdhsa_user_sgpr_kernarg_segment_ptr 1
		.amdhsa_user_sgpr_dispatch_id 0
		.amdhsa_user_sgpr_flat_scratch_init 0
		.amdhsa_user_sgpr_private_segment_size 0
		.amdhsa_uses_dynamic_stack 0
		.amdhsa_system_sgpr_private_segment_wavefront_offset 0
		.amdhsa_system_sgpr_workgroup_id_x 1
		.amdhsa_system_sgpr_workgroup_id_y 0
		.amdhsa_system_sgpr_workgroup_id_z 0
		.amdhsa_system_sgpr_workgroup_info 0
		.amdhsa_system_vgpr_workitem_id 0
		.amdhsa_next_free_vgpr 65
		.amdhsa_next_free_sgpr 20
		.amdhsa_reserve_vcc 1
		.amdhsa_reserve_flat_scratch 0
		.amdhsa_float_round_mode_32 0
		.amdhsa_float_round_mode_16_64 0
		.amdhsa_float_denorm_mode_32 3
		.amdhsa_float_denorm_mode_16_64 3
		.amdhsa_dx10_clamp 1
		.amdhsa_ieee_mode 1
		.amdhsa_fp16_overflow 0
		.amdhsa_exception_fp_ieee_invalid_op 0
		.amdhsa_exception_fp_denorm_src 0
		.amdhsa_exception_fp_ieee_div_zero 0
		.amdhsa_exception_fp_ieee_overflow 0
		.amdhsa_exception_fp_ieee_underflow 0
		.amdhsa_exception_fp_ieee_inexact 0
		.amdhsa_exception_int_div_zero 0
	.end_amdhsa_kernel
	.section	.text._ZN9rocsparseL18bsrxmvn_4x4_kernelILj128ELj32EdlifddEEvT3_20rocsparse_direction_NS_24const_host_device_scalarIT1_EES1_PKS1_PKT2_SA_S7_PKT4_PKT5_S5_PT6_21rocsparse_index_base_b,"axG",@progbits,_ZN9rocsparseL18bsrxmvn_4x4_kernelILj128ELj32EdlifddEEvT3_20rocsparse_direction_NS_24const_host_device_scalarIT1_EES1_PKS1_PKT2_SA_S7_PKT4_PKT5_S5_PT6_21rocsparse_index_base_b,comdat
.Lfunc_end158:
	.size	_ZN9rocsparseL18bsrxmvn_4x4_kernelILj128ELj32EdlifddEEvT3_20rocsparse_direction_NS_24const_host_device_scalarIT1_EES1_PKS1_PKT2_SA_S7_PKT4_PKT5_S5_PT6_21rocsparse_index_base_b, .Lfunc_end158-_ZN9rocsparseL18bsrxmvn_4x4_kernelILj128ELj32EdlifddEEvT3_20rocsparse_direction_NS_24const_host_device_scalarIT1_EES1_PKS1_PKT2_SA_S7_PKT4_PKT5_S5_PT6_21rocsparse_index_base_b
                                        ; -- End function
	.set _ZN9rocsparseL18bsrxmvn_4x4_kernelILj128ELj32EdlifddEEvT3_20rocsparse_direction_NS_24const_host_device_scalarIT1_EES1_PKS1_PKT2_SA_S7_PKT4_PKT5_S5_PT6_21rocsparse_index_base_b.num_vgpr, 65
	.set _ZN9rocsparseL18bsrxmvn_4x4_kernelILj128ELj32EdlifddEEvT3_20rocsparse_direction_NS_24const_host_device_scalarIT1_EES1_PKS1_PKT2_SA_S7_PKT4_PKT5_S5_PT6_21rocsparse_index_base_b.num_agpr, 0
	.set _ZN9rocsparseL18bsrxmvn_4x4_kernelILj128ELj32EdlifddEEvT3_20rocsparse_direction_NS_24const_host_device_scalarIT1_EES1_PKS1_PKT2_SA_S7_PKT4_PKT5_S5_PT6_21rocsparse_index_base_b.numbered_sgpr, 20
	.set _ZN9rocsparseL18bsrxmvn_4x4_kernelILj128ELj32EdlifddEEvT3_20rocsparse_direction_NS_24const_host_device_scalarIT1_EES1_PKS1_PKT2_SA_S7_PKT4_PKT5_S5_PT6_21rocsparse_index_base_b.num_named_barrier, 0
	.set _ZN9rocsparseL18bsrxmvn_4x4_kernelILj128ELj32EdlifddEEvT3_20rocsparse_direction_NS_24const_host_device_scalarIT1_EES1_PKS1_PKT2_SA_S7_PKT4_PKT5_S5_PT6_21rocsparse_index_base_b.private_seg_size, 0
	.set _ZN9rocsparseL18bsrxmvn_4x4_kernelILj128ELj32EdlifddEEvT3_20rocsparse_direction_NS_24const_host_device_scalarIT1_EES1_PKS1_PKT2_SA_S7_PKT4_PKT5_S5_PT6_21rocsparse_index_base_b.uses_vcc, 1
	.set _ZN9rocsparseL18bsrxmvn_4x4_kernelILj128ELj32EdlifddEEvT3_20rocsparse_direction_NS_24const_host_device_scalarIT1_EES1_PKS1_PKT2_SA_S7_PKT4_PKT5_S5_PT6_21rocsparse_index_base_b.uses_flat_scratch, 0
	.set _ZN9rocsparseL18bsrxmvn_4x4_kernelILj128ELj32EdlifddEEvT3_20rocsparse_direction_NS_24const_host_device_scalarIT1_EES1_PKS1_PKT2_SA_S7_PKT4_PKT5_S5_PT6_21rocsparse_index_base_b.has_dyn_sized_stack, 0
	.set _ZN9rocsparseL18bsrxmvn_4x4_kernelILj128ELj32EdlifddEEvT3_20rocsparse_direction_NS_24const_host_device_scalarIT1_EES1_PKS1_PKT2_SA_S7_PKT4_PKT5_S5_PT6_21rocsparse_index_base_b.has_recursion, 0
	.set _ZN9rocsparseL18bsrxmvn_4x4_kernelILj128ELj32EdlifddEEvT3_20rocsparse_direction_NS_24const_host_device_scalarIT1_EES1_PKS1_PKT2_SA_S7_PKT4_PKT5_S5_PT6_21rocsparse_index_base_b.has_indirect_call, 0
	.section	.AMDGPU.csdata,"",@progbits
; Kernel info:
; codeLenInByte = 5100
; TotalNumSgprs: 24
; NumVgprs: 65
; ScratchSize: 0
; MemoryBound: 0
; FloatMode: 240
; IeeeMode: 1
; LDSByteSize: 0 bytes/workgroup (compile time only)
; SGPRBlocks: 2
; VGPRBlocks: 16
; NumSGPRsForWavesPerEU: 24
; NumVGPRsForWavesPerEU: 65
; Occupancy: 3
; WaveLimiterHint : 1
; COMPUTE_PGM_RSRC2:SCRATCH_EN: 0
; COMPUTE_PGM_RSRC2:USER_SGPR: 6
; COMPUTE_PGM_RSRC2:TRAP_HANDLER: 0
; COMPUTE_PGM_RSRC2:TGID_X_EN: 1
; COMPUTE_PGM_RSRC2:TGID_Y_EN: 0
; COMPUTE_PGM_RSRC2:TGID_Z_EN: 0
; COMPUTE_PGM_RSRC2:TIDIG_COMP_CNT: 0
	.section	.text._ZN9rocsparseL18bsrxmvn_4x4_kernelILj128ELj64EdlifddEEvT3_20rocsparse_direction_NS_24const_host_device_scalarIT1_EES1_PKS1_PKT2_SA_S7_PKT4_PKT5_S5_PT6_21rocsparse_index_base_b,"axG",@progbits,_ZN9rocsparseL18bsrxmvn_4x4_kernelILj128ELj64EdlifddEEvT3_20rocsparse_direction_NS_24const_host_device_scalarIT1_EES1_PKS1_PKT2_SA_S7_PKT4_PKT5_S5_PT6_21rocsparse_index_base_b,comdat
	.globl	_ZN9rocsparseL18bsrxmvn_4x4_kernelILj128ELj64EdlifddEEvT3_20rocsparse_direction_NS_24const_host_device_scalarIT1_EES1_PKS1_PKT2_SA_S7_PKT4_PKT5_S5_PT6_21rocsparse_index_base_b ; -- Begin function _ZN9rocsparseL18bsrxmvn_4x4_kernelILj128ELj64EdlifddEEvT3_20rocsparse_direction_NS_24const_host_device_scalarIT1_EES1_PKS1_PKT2_SA_S7_PKT4_PKT5_S5_PT6_21rocsparse_index_base_b
	.p2align	8
	.type	_ZN9rocsparseL18bsrxmvn_4x4_kernelILj128ELj64EdlifddEEvT3_20rocsparse_direction_NS_24const_host_device_scalarIT1_EES1_PKS1_PKT2_SA_S7_PKT4_PKT5_S5_PT6_21rocsparse_index_base_b,@function
_ZN9rocsparseL18bsrxmvn_4x4_kernelILj128ELj64EdlifddEEvT3_20rocsparse_direction_NS_24const_host_device_scalarIT1_EES1_PKS1_PKT2_SA_S7_PKT4_PKT5_S5_PT6_21rocsparse_index_base_b: ; @_ZN9rocsparseL18bsrxmvn_4x4_kernelILj128ELj64EdlifddEEvT3_20rocsparse_direction_NS_24const_host_device_scalarIT1_EES1_PKS1_PKT2_SA_S7_PKT4_PKT5_S5_PT6_21rocsparse_index_base_b
; %bb.0:
	s_load_dwordx2 s[16:17], s[4:5], 0x58
	s_load_dwordx2 s[8:9], s[4:5], 0x8
	s_load_dwordx2 s[0:1], s[4:5], 0x48
	s_waitcnt lgkmcnt(0)
	s_bitcmp1_b32 s17, 0
	s_cselect_b64 s[10:11], -1, 0
	v_mov_b32_e32 v2, s8
	s_xor_b64 s[2:3], s[10:11], -1
	s_and_b64 vcc, exec, s[10:11]
	v_mov_b32_e32 v3, s9
	s_cbranch_vccnz .LBB159_2
; %bb.1:
	v_mov_b32_e32 v1, s8
	v_mov_b32_e32 v2, s9
	flat_load_dwordx2 v[2:3], v[1:2]
.LBB159_2:
	v_mov_b32_e32 v9, s1
	s_andn2_b64 vcc, exec, s[2:3]
	v_mov_b32_e32 v8, s0
	s_cbranch_vccnz .LBB159_4
; %bb.3:
	v_mov_b32_e32 v5, s1
	v_mov_b32_e32 v4, s0
	flat_load_dwordx2 v[8:9], v[4:5]
.LBB159_4:
	s_waitcnt vmcnt(0) lgkmcnt(0)
	v_cmp_neq_f64_e32 vcc, 0, v[2:3]
	v_cmp_neq_f64_e64 s[0:1], 1.0, v[8:9]
	s_mov_b64 s[2:3], 0
	s_or_b64 s[0:1], vcc, s[0:1]
	s_and_saveexec_b64 s[8:9], s[0:1]
	s_cbranch_execz .LBB159_10
; %bb.5:
	s_load_dwordx2 s[8:9], s[4:5], 0x18
	s_load_dwordx2 s[0:1], s[4:5], 0x0
	v_lshrrev_b32_e32 v1, 6, v0
	v_lshl_or_b32 v10, s6, 1, v1
	s_mov_b64 s[6:7], 0
	s_waitcnt lgkmcnt(0)
	s_cmp_lg_u64 s[8:9], 0
	s_cbranch_scc0 .LBB159_11
; %bb.6:
	s_load_dword s2, s[4:5], 0x10
                                        ; implicit-def: $vgpr1
	s_waitcnt lgkmcnt(0)
	v_cmp_gt_i32_e32 vcc, s2, v10
	s_and_saveexec_b64 s[2:3], vcc
	s_xor_b64 s[2:3], exec, s[2:3]
	s_cbranch_execz .LBB159_8
; %bb.7:
	v_ashrrev_i32_e32 v11, 31, v10
	v_lshlrev_b64 v[4:5], 2, v[10:11]
	v_mov_b32_e32 v1, s9
	v_add_co_u32_e32 v4, vcc, s8, v4
	v_addc_co_u32_e32 v5, vcc, v1, v5, vcc
	global_load_dword v1, v[4:5], off
	s_mov_b64 s[6:7], exec
	s_waitcnt vmcnt(0)
	v_subrev_u32_e32 v1, s16, v1
.LBB159_8:
	s_or_b64 exec, exec, s[2:3]
	s_mov_b64 s[2:3], s[6:7]
	s_branch .LBB159_12
.LBB159_9:
	v_cmp_gt_i32_e32 vcc, s0, v10
	s_andn2_b64 s[2:3], s[2:3], exec
	s_and_b64 s[6:7], vcc, exec
	s_or_b64 s[2:3], s[2:3], s[6:7]
	s_and_b64 exec, exec, s[2:3]
	s_cbranch_execnz .LBB159_13
.LBB159_10:
	s_endpgm
.LBB159_11:
                                        ; implicit-def: $vgpr1
	s_cbranch_execnz .LBB159_9
.LBB159_12:
	v_mov_b32_e32 v10, v1
	s_and_b64 exec, exec, s[2:3]
	s_cbranch_execz .LBB159_10
.LBB159_13:
	s_load_dwordx8 s[8:15], s[4:5], 0x20
	v_ashrrev_i32_e32 v11, 31, v10
	v_lshlrev_b64 v[4:5], 3, v[10:11]
	v_and_b32_e32 v31, 63, v0
	s_waitcnt lgkmcnt(0)
	v_mov_b32_e32 v1, s9
	v_add_co_u32_e32 v6, vcc, s8, v4
	v_addc_co_u32_e32 v7, vcc, v1, v5, vcc
	v_add_co_u32_e32 v1, vcc, 8, v6
	global_load_dwordx2 v[11:12], v[6:7], off
	v_addc_co_u32_e32 v6, vcc, 0, v7, vcc
	v_mov_b32_e32 v7, s11
	v_add_co_u32_e32 v4, vcc, s10, v4
	s_cmp_eq_u64 s[10:11], 0
	v_addc_co_u32_e32 v5, vcc, v7, v5, vcc
	s_cselect_b64 vcc, -1, 0
	v_cndmask_b32_e32 v5, v5, v6, vcc
	v_cndmask_b32_e32 v4, v4, v1, vcc
	global_load_dwordx2 v[4:5], v[4:5], off
	s_load_dwordx2 s[8:9], s[4:5], 0x40
	v_mov_b32_e32 v13, s15
	s_cmp_eq_u32 s1, 1
	s_waitcnt vmcnt(1)
	v_subrev_co_u32_e32 v0, vcc, s16, v11
	v_subbrev_co_u32_e32 v1, vcc, 0, v12, vcc
	v_add_co_u32_e32 v0, vcc, v0, v31
	v_addc_co_u32_e32 v1, vcc, 0, v1, vcc
	v_lshlrev_b64 v[6:7], 6, v[0:1]
	s_waitcnt vmcnt(0)
	v_subrev_co_u32_e32 v4, vcc, s16, v4
	v_subbrev_co_u32_e32 v5, vcc, 0, v5, vcc
	v_cmp_lt_i64_e64 s[0:1], v[0:1], v[4:5]
	v_add_co_u32_e32 v6, vcc, s14, v6
	v_addc_co_u32_e32 v7, vcc, v13, v7, vcc
	s_cbranch_scc1 .LBB159_25
; %bb.14:
	v_mov_b32_e32 v17, 0
	v_mov_b32_e32 v19, 0
	;; [unrolled: 1-line block ×8, first 2 shown]
	s_and_saveexec_b64 s[10:11], s[0:1]
	s_cbranch_execz .LBB159_24
; %bb.15:
	v_or_b32_e32 v13, 64, v31
	v_subrev_co_u32_e32 v13, vcc, s16, v13
	v_subb_co_u32_e64 v14, s[2:3], 0, 0, vcc
	v_add_co_u32_e32 v13, vcc, v13, v11
	v_addc_co_u32_e32 v14, vcc, v14, v12, vcc
	v_cmp_gt_i64_e32 vcc, v[13:14], v[4:5]
	v_not_b32_e32 v16, v11
	v_cndmask_b32_e32 v14, v5, v14, vcc
	v_cndmask_b32_e32 v13, v4, v13, vcc
	v_sub_co_u32_e32 v17, vcc, s16, v31
	v_not_b32_e32 v15, v12
	v_subb_co_u32_e64 v18, s[2:3], 0, 0, vcc
	v_add_co_u32_e32 v16, vcc, v17, v16
	v_addc_co_u32_e32 v15, vcc, v18, v15, vcc
	v_add_co_u32_e32 v25, vcc, v16, v13
	v_addc_co_u32_e32 v26, vcc, v15, v14, vcc
	v_and_b32_e32 v13, 0xc0, v25
	v_mov_b32_e32 v14, 0
	s_mov_b64 s[2:3], 0xc0
	v_cmp_ne_u64_e32 vcc, s[2:3], v[13:14]
	v_mov_b32_e32 v23, 0
	v_mov_b32_e32 v21, 0
	;; [unrolled: 1-line block ×12, first 2 shown]
	s_and_saveexec_b64 s[14:15], vcc
	s_cbranch_execz .LBB159_19
; %bb.16:
	v_lshrrev_b32_e32 v13, 6, v25
	v_add_u32_e32 v13, 1, v13
	v_and_b32_e32 v15, 3, v13
	v_lshlrev_b64 v[13:14], 2, v[0:1]
	v_mov_b32_e32 v16, s13
	v_add_co_u32_e32 v27, vcc, s12, v13
	v_addc_co_u32_e32 v28, vcc, v16, v14, vcc
	v_sub_co_u32_e32 v29, vcc, 0, v15
	v_mov_b32_e32 v17, 0
	v_mov_b32_e32 v14, v7
	;; [unrolled: 1-line block ×6, first 2 shown]
	s_mov_b64 s[18:19], 0
	v_subb_co_u32_e64 v30, s[2:3], 0, 0, vcc
	v_mov_b32_e32 v18, 0
	s_movk_i32 s17, 0x1000
	s_waitcnt lgkmcnt(0)
	v_mov_b32_e32 v32, s9
	v_mov_b32_e32 v13, v6
	;; [unrolled: 1-line block ×6, first 2 shown]
.LBB159_17:                             ; =>This Inner Loop Header: Depth=1
	global_load_dword v49, v[27:28], off
	global_load_dwordx4 v[33:36], v[13:14], off
	global_load_dwordx4 v[37:40], v[13:14], off offset:16
	global_load_dwordx4 v[41:44], v[13:14], off offset:32
	;; [unrolled: 1-line block ×3, first 2 shown]
	s_waitcnt vmcnt(4)
	v_subrev_u32_e32 v49, s16, v49
	v_lshlrev_b32_e32 v49, 2, v49
	v_ashrrev_i32_e32 v50, 31, v49
	v_lshlrev_b64 v[49:50], 3, v[49:50]
	s_waitcnt vmcnt(2)
	v_cvt_f64_f32_e32 v[59:60], v37
	v_add_co_u32_e32 v57, vcc, s8, v49
	v_addc_co_u32_e32 v58, vcc, v32, v50, vcc
	global_load_dwordx4 v[49:52], v[57:58], off
	global_load_dwordx4 v[53:56], v[57:58], off offset:16
	v_cvt_f64_f32_e32 v[57:58], v33
	s_waitcnt vmcnt(3)
	v_cvt_f64_f32_e32 v[61:62], v41
	s_waitcnt vmcnt(2)
	v_cvt_f64_f32_e32 v[63:64], v45
	v_cvt_f64_f32_e32 v[33:34], v34
	;; [unrolled: 1-line block ×5, first 2 shown]
	v_add_co_u32_e32 v13, vcc, s17, v13
	s_mov_b64 s[2:3], vcc
	v_add_co_u32_e32 v15, vcc, 64, v15
	v_addc_co_u32_e32 v16, vcc, 0, v16, vcc
	v_add_co_u32_e32 v29, vcc, 1, v29
	v_addc_co_u32_e32 v30, vcc, 0, v30, vcc
	v_cmp_eq_u64_e64 s[6:7], 0, v[29:30]
	v_add_co_u32_e32 v27, vcc, 0x100, v27
	v_addc_co_u32_e64 v14, s[2:3], 0, v14, s[2:3]
	s_or_b64 s[18:19], s[6:7], s[18:19]
	v_addc_co_u32_e32 v28, vcc, 0, v28, vcc
	s_waitcnt vmcnt(1)
	v_fma_f64 v[23:24], v[57:58], v[49:50], v[23:24]
	v_fma_f64 v[21:22], v[59:60], v[49:50], v[21:22]
	;; [unrolled: 1-line block ×8, first 2 shown]
	v_cvt_f64_f32_e32 v[33:34], v35
	v_cvt_f64_f32_e32 v[37:38], v39
	;; [unrolled: 1-line block ×4, first 2 shown]
	s_waitcnt vmcnt(0)
	v_fma_f64 v[23:24], v[33:34], v[53:54], v[23:24]
	v_fma_f64 v[21:22], v[37:38], v[53:54], v[21:22]
	v_fma_f64 v[19:20], v[41:42], v[53:54], v[19:20]
	v_fma_f64 v[17:18], v[45:46], v[53:54], v[17:18]
	v_cvt_f64_f32_e32 v[33:34], v36
	v_cvt_f64_f32_e32 v[35:36], v40
	;; [unrolled: 1-line block ×4, first 2 shown]
	v_fma_f64 v[23:24], v[33:34], v[55:56], v[23:24]
	v_fma_f64 v[21:22], v[35:36], v[55:56], v[21:22]
	;; [unrolled: 1-line block ×4, first 2 shown]
	s_andn2_b64 exec, exec, s[18:19]
	s_cbranch_execnz .LBB159_17
; %bb.18:
	s_or_b64 exec, exec, s[18:19]
.LBB159_19:
	s_or_b64 exec, exec, s[14:15]
	s_mov_b64 s[2:3], 0xbf
	v_cmp_lt_u64_e32 vcc, s[2:3], v[25:26]
	s_and_saveexec_b64 s[6:7], vcc
	s_cbranch_execz .LBB159_23
; %bb.20:
	v_lshlrev_b64 v[25:26], 2, v[15:16]
	v_mov_b32_e32 v27, s13
	v_add_co_u32_e32 v25, vcc, s12, v25
	v_addc_co_u32_e32 v26, vcc, v27, v26, vcc
	v_add_co_u32_e32 v25, vcc, 0x200, v25
	v_addc_co_u32_e32 v26, vcc, 0, v26, vcc
	s_mov_b64 s[14:15], 0
	s_waitcnt lgkmcnt(0)
	v_mov_b32_e32 v27, s9
	s_movk_i32 s17, 0x1000
	s_movk_i32 s18, 0x2000
	;; [unrolled: 1-line block ×3, first 2 shown]
.LBB159_21:                             ; =>This Inner Loop Header: Depth=1
	global_load_dword v28, v[25:26], off offset:-512
	global_load_dwordx4 v[32:35], v[13:14], off offset:48
	global_load_dwordx4 v[36:39], v[13:14], off offset:32
	;; [unrolled: 1-line block ×3, first 2 shown]
	global_load_dwordx4 v[44:47], v[13:14], off
	s_waitcnt vmcnt(4)
	v_subrev_u32_e32 v28, s16, v28
	v_lshlrev_b32_e32 v28, 2, v28
	v_ashrrev_i32_e32 v29, 31, v28
	v_lshlrev_b64 v[28:29], 3, v[28:29]
	s_waitcnt vmcnt(0)
	v_cvt_f64_f32_e32 v[56:57], v44
	v_add_co_u32_e32 v28, vcc, s8, v28
	v_addc_co_u32_e32 v29, vcc, v27, v29, vcc
	global_load_dwordx4 v[48:51], v[28:29], off offset:16
	global_load_dwordx4 v[52:55], v[28:29], off
	v_cvt_f64_f32_e32 v[28:29], v45
	s_waitcnt vmcnt(0)
	v_fma_f64 v[23:24], v[56:57], v[52:53], v[23:24]
	v_fma_f64 v[23:24], v[28:29], v[54:55], v[23:24]
	v_cvt_f64_f32_e32 v[28:29], v46
	v_fma_f64 v[23:24], v[28:29], v[48:49], v[23:24]
	v_cvt_f64_f32_e32 v[28:29], v47
	;; [unrolled: 2-line block ×3, first 2 shown]
	v_add_co_u32_e32 v40, vcc, s17, v13
	v_fma_f64 v[21:22], v[23:24], v[52:53], v[21:22]
	v_cvt_f64_f32_e32 v[23:24], v41
	v_addc_co_u32_e32 v41, vcc, 0, v14, vcc
	v_fma_f64 v[21:22], v[23:24], v[54:55], v[21:22]
	v_cvt_f64_f32_e32 v[23:24], v42
	v_fma_f64 v[21:22], v[23:24], v[48:49], v[21:22]
	v_cvt_f64_f32_e32 v[23:24], v43
	;; [unrolled: 2-line block ×10, first 2 shown]
	v_fma_f64 v[48:49], v[19:20], v[50:51], v[17:18]
	global_load_dword v17, v[25:26], off offset:-256
	v_add_co_u32_e32 v50, vcc, s18, v13
	v_addc_co_u32_e32 v51, vcc, 0, v14, vcc
	s_waitcnt vmcnt(0)
	v_subrev_u32_e32 v17, s16, v17
	v_lshlrev_b32_e32 v42, 2, v17
	v_ashrrev_i32_e32 v43, 31, v42
	global_load_dwordx4 v[17:20], v[50:51], off offset:-4096
	global_load_dwordx4 v[21:24], v[40:41], off offset:48
	global_load_dwordx4 v[32:35], v[40:41], off offset:32
	;; [unrolled: 1-line block ×3, first 2 shown]
	v_lshlrev_b64 v[40:41], 3, v[42:43]
	v_add_co_u32_e32 v54, vcc, s8, v40
	v_addc_co_u32_e32 v55, vcc, v27, v41, vcc
	global_load_dwordx4 v[40:43], v[54:55], off offset:16
	global_load_dwordx4 v[44:47], v[54:55], off
	s_waitcnt vmcnt(5)
	v_cvt_f64_f32_e32 v[52:53], v17
	v_cvt_f64_f32_e32 v[17:18], v18
	s_waitcnt vmcnt(0)
	v_fma_f64 v[28:29], v[52:53], v[44:45], v[28:29]
	v_fma_f64 v[17:18], v[17:18], v[46:47], v[28:29]
	v_cvt_f64_f32_e32 v[28:29], v19
	v_cvt_f64_f32_e32 v[19:20], v20
	v_fma_f64 v[17:18], v[28:29], v[40:41], v[17:18]
	v_fma_f64 v[28:29], v[19:20], v[42:43], v[17:18]
	v_cvt_f64_f32_e32 v[17:18], v36
	v_cvt_f64_f32_e32 v[19:20], v37
	v_fma_f64 v[17:18], v[17:18], v[44:45], v[56:57]
	v_fma_f64 v[17:18], v[19:20], v[46:47], v[17:18]
	v_cvt_f64_f32_e32 v[19:20], v38
	v_fma_f64 v[17:18], v[19:20], v[40:41], v[17:18]
	v_cvt_f64_f32_e32 v[19:20], v39
	v_fma_f64 v[52:53], v[19:20], v[42:43], v[17:18]
	v_cvt_f64_f32_e32 v[17:18], v32
	v_cvt_f64_f32_e32 v[19:20], v33
	v_fma_f64 v[17:18], v[17:18], v[44:45], v[58:59]
	v_fma_f64 v[17:18], v[19:20], v[46:47], v[17:18]
	v_cvt_f64_f32_e32 v[19:20], v34
	v_fma_f64 v[17:18], v[19:20], v[40:41], v[17:18]
	v_cvt_f64_f32_e32 v[19:20], v35
	;; [unrolled: 8-line block ×3, first 2 shown]
	v_fma_f64 v[48:49], v[19:20], v[42:43], v[17:18]
	global_load_dword v17, v[25:26], off
	s_waitcnt vmcnt(0)
	v_subrev_u32_e32 v17, s16, v17
	v_lshlrev_b32_e32 v40, 2, v17
	v_ashrrev_i32_e32 v41, 31, v40
	v_lshlrev_b64 v[40:41], 3, v[40:41]
	global_load_dwordx4 v[17:20], v[50:51], off
	global_load_dwordx4 v[21:24], v[50:51], off offset:48
	global_load_dwordx4 v[32:35], v[50:51], off offset:32
	global_load_dwordx4 v[36:39], v[50:51], off offset:16
	v_add_co_u32_e32 v56, vcc, s8, v40
	v_addc_co_u32_e32 v57, vcc, v27, v41, vcc
	global_load_dwordx4 v[40:43], v[56:57], off offset:16
	global_load_dwordx4 v[44:47], v[56:57], off
	s_waitcnt vmcnt(5)
	v_cvt_f64_f32_e32 v[50:51], v17
	v_cvt_f64_f32_e32 v[17:18], v18
	s_waitcnt vmcnt(0)
	v_fma_f64 v[28:29], v[50:51], v[44:45], v[28:29]
	v_fma_f64 v[17:18], v[17:18], v[46:47], v[28:29]
	v_cvt_f64_f32_e32 v[28:29], v19
	v_cvt_f64_f32_e32 v[19:20], v20
	v_fma_f64 v[17:18], v[28:29], v[40:41], v[17:18]
	v_fma_f64 v[28:29], v[19:20], v[42:43], v[17:18]
	v_cvt_f64_f32_e32 v[17:18], v36
	v_cvt_f64_f32_e32 v[19:20], v37
	v_fma_f64 v[17:18], v[17:18], v[44:45], v[52:53]
	v_fma_f64 v[17:18], v[19:20], v[46:47], v[17:18]
	v_cvt_f64_f32_e32 v[19:20], v38
	v_fma_f64 v[17:18], v[19:20], v[40:41], v[17:18]
	v_cvt_f64_f32_e32 v[19:20], v39
	;; [unrolled: 2-line block ×3, first 2 shown]
	v_cvt_f64_f32_e32 v[19:20], v33
	v_fma_f64 v[17:18], v[17:18], v[44:45], v[54:55]
	v_fma_f64 v[17:18], v[19:20], v[46:47], v[17:18]
	v_cvt_f64_f32_e32 v[19:20], v34
	v_fma_f64 v[17:18], v[19:20], v[40:41], v[17:18]
	v_cvt_f64_f32_e32 v[19:20], v35
	;; [unrolled: 2-line block ×3, first 2 shown]
	v_cvt_f64_f32_e32 v[19:20], v22
	v_add_co_u32_e32 v22, vcc, s19, v13
	v_fma_f64 v[17:18], v[17:18], v[44:45], v[48:49]
	v_fma_f64 v[17:18], v[19:20], v[46:47], v[17:18]
	v_cvt_f64_f32_e32 v[19:20], v23
	v_addc_co_u32_e32 v23, vcc, 0, v14, vcc
	v_fma_f64 v[17:18], v[19:20], v[40:41], v[17:18]
	v_cvt_f64_f32_e32 v[19:20], v24
	v_fma_f64 v[56:57], v[19:20], v[42:43], v[17:18]
	global_load_dword v17, v[25:26], off offset:256
	s_waitcnt vmcnt(0)
	v_subrev_u32_e32 v17, s16, v17
	v_lshlrev_b32_e32 v21, 2, v17
	global_load_dwordx4 v[17:20], v[22:23], off
	global_load_dwordx4 v[32:35], v[22:23], off offset:48
	global_load_dwordx4 v[36:39], v[22:23], off offset:32
	global_load_dwordx4 v[40:43], v[22:23], off offset:16
	v_ashrrev_i32_e32 v22, 31, v21
	v_lshlrev_b64 v[21:22], 3, v[21:22]
	v_add_co_u32_e32 v21, vcc, s8, v21
	v_addc_co_u32_e32 v22, vcc, v27, v22, vcc
	global_load_dwordx4 v[44:47], v[21:22], off offset:16
	global_load_dwordx4 v[48:51], v[21:22], off
	v_add_co_u32_e32 v15, vcc, 0x100, v15
	v_addc_co_u32_e32 v16, vcc, 0, v16, vcc
	v_add_co_u32_e32 v25, vcc, 0x400, v25
	v_addc_co_u32_e32 v26, vcc, 0, v26, vcc
	v_cmp_ge_i64_e64 s[2:3], v[15:16], v[4:5]
	v_add_co_u32_e32 v13, vcc, 0x4000, v13
	v_addc_co_u32_e32 v14, vcc, 0, v14, vcc
	s_or_b64 s[14:15], s[2:3], s[14:15]
	s_waitcnt vmcnt(5)
	v_cvt_f64_f32_e32 v[23:24], v17
	v_cvt_f64_f32_e32 v[17:18], v18
	s_waitcnt vmcnt(0)
	v_fma_f64 v[21:22], v[23:24], v[48:49], v[28:29]
	v_cvt_f64_f32_e32 v[28:29], v33
	v_fma_f64 v[17:18], v[17:18], v[50:51], v[21:22]
	v_cvt_f64_f32_e32 v[21:22], v19
	v_cvt_f64_f32_e32 v[19:20], v20
	v_fma_f64 v[17:18], v[21:22], v[44:45], v[17:18]
	v_fma_f64 v[23:24], v[19:20], v[46:47], v[17:18]
	v_cvt_f64_f32_e32 v[17:18], v40
	v_cvt_f64_f32_e32 v[19:20], v41
	v_fma_f64 v[17:18], v[17:18], v[48:49], v[52:53]
	v_fma_f64 v[17:18], v[19:20], v[50:51], v[17:18]
	v_cvt_f64_f32_e32 v[19:20], v42
	v_fma_f64 v[17:18], v[19:20], v[44:45], v[17:18]
	v_cvt_f64_f32_e32 v[19:20], v43
	;; [unrolled: 2-line block ×3, first 2 shown]
	v_cvt_f64_f32_e32 v[19:20], v37
	v_fma_f64 v[17:18], v[17:18], v[48:49], v[54:55]
	v_fma_f64 v[17:18], v[19:20], v[50:51], v[17:18]
	v_cvt_f64_f32_e32 v[19:20], v38
	v_fma_f64 v[17:18], v[19:20], v[44:45], v[17:18]
	v_cvt_f64_f32_e32 v[19:20], v39
	;; [unrolled: 2-line block ×3, first 2 shown]
	v_fma_f64 v[17:18], v[17:18], v[48:49], v[56:57]
	v_fma_f64 v[17:18], v[28:29], v[50:51], v[17:18]
	v_cvt_f64_f32_e32 v[28:29], v34
	v_fma_f64 v[17:18], v[28:29], v[44:45], v[17:18]
	v_cvt_f64_f32_e32 v[28:29], v35
	v_fma_f64 v[17:18], v[28:29], v[46:47], v[17:18]
	s_andn2_b64 exec, exec, s[14:15]
	s_cbranch_execnz .LBB159_21
; %bb.22:
	s_or_b64 exec, exec, s[14:15]
.LBB159_23:
	s_or_b64 exec, exec, s[6:7]
.LBB159_24:
	s_or_b64 exec, exec, s[10:11]
	s_cbranch_execz .LBB159_26
	s_branch .LBB159_37
.LBB159_25:
                                        ; implicit-def: $vgpr17_vgpr18
                                        ; implicit-def: $vgpr19_vgpr20
                                        ; implicit-def: $vgpr21_vgpr22
                                        ; implicit-def: $vgpr23_vgpr24
.LBB159_26:
	v_mov_b32_e32 v17, 0
	v_mov_b32_e32 v19, 0
	;; [unrolled: 1-line block ×8, first 2 shown]
	s_and_saveexec_b64 s[2:3], s[0:1]
	s_cbranch_execz .LBB159_36
; %bb.27:
	v_or_b32_e32 v13, 64, v31
	v_subrev_co_u32_e32 v13, vcc, s16, v13
	v_subb_co_u32_e64 v14, s[0:1], 0, 0, vcc
	v_add_co_u32_e32 v13, vcc, v13, v11
	v_addc_co_u32_e32 v14, vcc, v14, v12, vcc
	v_cmp_gt_i64_e32 vcc, v[13:14], v[4:5]
	v_not_b32_e32 v11, v11
	v_cndmask_b32_e32 v14, v5, v14, vcc
	v_cndmask_b32_e32 v13, v4, v13, vcc
	v_sub_co_u32_e32 v15, vcc, s16, v31
	v_not_b32_e32 v12, v12
	v_subb_co_u32_e64 v16, s[0:1], 0, 0, vcc
	v_add_co_u32_e32 v11, vcc, v15, v11
	v_addc_co_u32_e32 v12, vcc, v16, v12, vcc
	v_add_co_u32_e32 v11, vcc, v11, v13
	v_addc_co_u32_e32 v12, vcc, v12, v14, vcc
	v_and_b32_e32 v13, 0xc0, v11
	v_mov_b32_e32 v14, 0
	s_mov_b64 s[0:1], 0xc0
	v_cmp_ne_u64_e32 vcc, s[0:1], v[13:14]
	v_mov_b32_e32 v23, 0
	v_mov_b32_e32 v21, 0
	;; [unrolled: 1-line block ×8, first 2 shown]
	s_and_saveexec_b64 s[6:7], vcc
	s_cbranch_execz .LBB159_31
; %bb.28:
	v_lshrrev_b32_e32 v13, 6, v11
	v_add_u32_e32 v13, 1, v13
	v_and_b32_e32 v15, 3, v13
	v_lshlrev_b64 v[13:14], 2, v[0:1]
	v_mov_b32_e32 v16, s13
	v_add_co_u32_e32 v13, vcc, s12, v13
	v_addc_co_u32_e32 v14, vcc, v16, v14, vcc
	v_sub_co_u32_e32 v15, vcc, 0, v15
	v_mov_b32_e32 v17, 0
	v_mov_b32_e32 v19, 0
	;; [unrolled: 1-line block ×4, first 2 shown]
	s_mov_b64 s[10:11], 0
	v_subb_co_u32_e64 v16, s[0:1], 0, 0, vcc
	v_mov_b32_e32 v18, 0
	s_movk_i32 s14, 0x1000
	v_mov_b32_e32 v20, 0
	v_mov_b32_e32 v22, 0
	;; [unrolled: 1-line block ×3, first 2 shown]
	s_waitcnt lgkmcnt(0)
	v_mov_b32_e32 v25, s9
.LBB159_29:                             ; =>This Inner Loop Header: Depth=1
	global_load_dword v30, v[13:14], off
	global_load_dwordx4 v[26:29], v[6:7], off offset:16
	global_load_dwordx4 v[32:35], v[6:7], off
	v_add_co_u32_e64 v0, s[0:1], 64, v0
	v_addc_co_u32_e64 v1, s[0:1], 0, v1, s[0:1]
	v_add_co_u32_e64 v15, s[0:1], 1, v15
	v_addc_co_u32_e64 v16, s[0:1], 0, v16, s[0:1]
	v_cmp_eq_u64_e64 s[0:1], 0, v[15:16]
	s_or_b64 s[10:11], s[0:1], s[10:11]
	s_waitcnt vmcnt(2)
	v_subrev_u32_e32 v30, s16, v30
	v_lshlrev_b32_e32 v36, 2, v30
	v_ashrrev_i32_e32 v37, 31, v36
	v_lshlrev_b64 v[36:37], 3, v[36:37]
	s_waitcnt vmcnt(0)
	v_cvt_f64_f32_e32 v[54:55], v34
	v_add_co_u32_e32 v52, vcc, s8, v36
	v_addc_co_u32_e32 v53, vcc, v25, v37, vcc
	global_load_dwordx4 v[36:39], v[52:53], off
	global_load_dwordx4 v[40:43], v[52:53], off offset:16
	global_load_dwordx4 v[44:47], v[6:7], off offset:32
	;; [unrolled: 1-line block ×3, first 2 shown]
	v_cvt_f64_f32_e32 v[52:53], v32
	v_cvt_f64_f32_e32 v[32:33], v33
	;; [unrolled: 1-line block ×3, first 2 shown]
	v_add_co_u32_e32 v6, vcc, s14, v6
	v_addc_co_u32_e32 v7, vcc, 0, v7, vcc
	v_add_co_u32_e32 v13, vcc, 0x100, v13
	v_addc_co_u32_e32 v14, vcc, 0, v14, vcc
	s_waitcnt vmcnt(3)
	v_fma_f64 v[23:24], v[52:53], v[36:37], v[23:24]
	v_fma_f64 v[21:22], v[32:33], v[36:37], v[21:22]
	;; [unrolled: 1-line block ×4, first 2 shown]
	v_cvt_f64_f32_e32 v[32:33], v26
	v_cvt_f64_f32_e32 v[26:27], v27
	;; [unrolled: 1-line block ×4, first 2 shown]
	v_fma_f64 v[23:24], v[32:33], v[38:39], v[23:24]
	v_fma_f64 v[21:22], v[26:27], v[38:39], v[21:22]
	v_fma_f64 v[19:20], v[34:35], v[38:39], v[19:20]
	v_fma_f64 v[17:18], v[28:29], v[38:39], v[17:18]
	s_waitcnt vmcnt(1)
	v_cvt_f64_f32_e32 v[26:27], v44
	v_cvt_f64_f32_e32 v[28:29], v45
	;; [unrolled: 1-line block ×4, first 2 shown]
	v_fma_f64 v[23:24], v[26:27], v[40:41], v[23:24]
	v_fma_f64 v[21:22], v[28:29], v[40:41], v[21:22]
	;; [unrolled: 1-line block ×4, first 2 shown]
	s_waitcnt vmcnt(0)
	v_cvt_f64_f32_e32 v[26:27], v48
	v_cvt_f64_f32_e32 v[28:29], v49
	v_cvt_f64_f32_e32 v[32:33], v50
	v_cvt_f64_f32_e32 v[34:35], v51
	v_fma_f64 v[23:24], v[26:27], v[42:43], v[23:24]
	v_fma_f64 v[21:22], v[28:29], v[42:43], v[21:22]
	;; [unrolled: 1-line block ×4, first 2 shown]
	s_andn2_b64 exec, exec, s[10:11]
	s_cbranch_execnz .LBB159_29
; %bb.30:
	s_or_b64 exec, exec, s[10:11]
.LBB159_31:
	s_or_b64 exec, exec, s[6:7]
	s_mov_b64 s[0:1], 0xbf
	v_cmp_lt_u64_e32 vcc, s[0:1], v[11:12]
	s_and_saveexec_b64 s[6:7], vcc
	s_cbranch_execz .LBB159_35
; %bb.32:
	v_lshlrev_b64 v[11:12], 2, v[0:1]
	v_mov_b32_e32 v13, s13
	v_add_co_u32_e32 v11, vcc, s12, v11
	v_addc_co_u32_e32 v12, vcc, v13, v12, vcc
	v_add_co_u32_e32 v11, vcc, 0x200, v11
	v_addc_co_u32_e32 v12, vcc, 0, v12, vcc
	s_mov_b64 s[10:11], 0
	s_waitcnt lgkmcnt(0)
	v_mov_b32_e32 v13, s9
	s_movk_i32 s9, 0x1000
	s_movk_i32 s12, 0x2000
	;; [unrolled: 1-line block ×3, first 2 shown]
.LBB159_33:                             ; =>This Inner Loop Header: Depth=1
	global_load_dword v14, v[11:12], off offset:-512
	global_load_dwordx4 v[25:28], v[6:7], off offset:48
	global_load_dwordx4 v[32:35], v[6:7], off offset:32
	;; [unrolled: 1-line block ×3, first 2 shown]
	global_load_dwordx4 v[40:43], v[6:7], off
	s_waitcnt vmcnt(4)
	v_subrev_u32_e32 v14, s16, v14
	v_lshlrev_b32_e32 v14, 2, v14
	v_ashrrev_i32_e32 v15, 31, v14
	v_lshlrev_b64 v[14:15], 3, v[14:15]
	s_waitcnt vmcnt(0)
	v_cvt_f64_f32_e32 v[29:30], v40
	v_add_co_u32_e32 v14, vcc, s8, v14
	v_addc_co_u32_e32 v15, vcc, v13, v15, vcc
	global_load_dwordx4 v[44:47], v[14:15], off offset:16
	global_load_dwordx4 v[48:51], v[14:15], off
	s_waitcnt vmcnt(0)
	v_fma_f64 v[14:15], v[29:30], v[48:49], v[23:24]
	v_cvt_f64_f32_e32 v[23:24], v41
	v_fma_f64 v[21:22], v[23:24], v[48:49], v[21:22]
	v_cvt_f64_f32_e32 v[23:24], v42
	;; [unrolled: 2-line block ×8, first 2 shown]
	v_add_co_u32_e32 v32, vcc, s9, v6
	v_fma_f64 v[14:15], v[23:24], v[44:45], v[14:15]
	v_cvt_f64_f32_e32 v[23:24], v33
	v_addc_co_u32_e32 v33, vcc, 0, v7, vcc
	v_add_co_u32_e32 v48, vcc, s12, v6
	v_fma_f64 v[20:21], v[23:24], v[44:45], v[21:22]
	v_cvt_f64_f32_e32 v[22:23], v34
	v_addc_co_u32_e32 v49, vcc, 0, v7, vcc
	v_fma_f64 v[18:19], v[22:23], v[44:45], v[18:19]
	v_cvt_f64_f32_e32 v[22:23], v35
	v_fma_f64 v[16:17], v[22:23], v[44:45], v[16:17]
	v_cvt_f64_f32_e32 v[22:23], v25
	;; [unrolled: 2-line block ×5, first 2 shown]
	v_fma_f64 v[46:47], v[14:15], v[46:47], v[16:17]
	global_load_dword v14, v[11:12], off offset:-256
	s_waitcnt vmcnt(0)
	v_subrev_u32_e32 v14, s16, v14
	v_lshlrev_b32_e32 v34, 2, v14
	v_ashrrev_i32_e32 v35, 31, v34
	global_load_dwordx4 v[14:17], v[48:49], off offset:-4096
	global_load_dwordx4 v[18:21], v[32:33], off offset:48
	global_load_dwordx4 v[22:25], v[32:33], off offset:32
	;; [unrolled: 1-line block ×3, first 2 shown]
	v_lshlrev_b64 v[32:33], 3, v[34:35]
	v_add_co_u32_e32 v52, vcc, s8, v32
	v_addc_co_u32_e32 v53, vcc, v13, v33, vcc
	global_load_dwordx4 v[32:35], v[52:53], off offset:16
	global_load_dwordx4 v[36:39], v[52:53], off
	s_waitcnt vmcnt(5)
	v_cvt_f64_f32_e32 v[50:51], v14
	v_cvt_f64_f32_e32 v[14:15], v15
	s_waitcnt vmcnt(0)
	v_fma_f64 v[14:15], v[14:15], v[36:37], v[42:43]
	v_cvt_f64_f32_e32 v[42:43], v16
	v_cvt_f64_f32_e32 v[16:17], v17
	v_fma_f64 v[40:41], v[50:51], v[36:37], v[40:41]
	v_fma_f64 v[42:43], v[42:43], v[36:37], v[44:45]
	;; [unrolled: 1-line block ×3, first 2 shown]
	v_cvt_f64_f32_e32 v[36:37], v26
	v_cvt_f64_f32_e32 v[26:27], v27
	v_fma_f64 v[36:37], v[36:37], v[38:39], v[40:41]
	v_fma_f64 v[14:15], v[26:27], v[38:39], v[14:15]
	v_cvt_f64_f32_e32 v[26:27], v28
	v_cvt_f64_f32_e32 v[28:29], v29
	v_fma_f64 v[26:27], v[26:27], v[38:39], v[42:43]
	v_fma_f64 v[16:17], v[28:29], v[38:39], v[16:17]
	;; [unrolled: 4-line block ×5, first 2 shown]
	v_cvt_f64_f32_e32 v[14:15], v20
	v_fma_f64 v[44:45], v[14:15], v[34:35], v[22:23]
	v_cvt_f64_f32_e32 v[14:15], v21
	v_fma_f64 v[46:47], v[14:15], v[34:35], v[16:17]
	global_load_dword v14, v[11:12], off
	s_waitcnt vmcnt(0)
	v_subrev_u32_e32 v14, s16, v14
	v_lshlrev_b32_e32 v32, 2, v14
	v_ashrrev_i32_e32 v33, 31, v32
	v_lshlrev_b64 v[32:33], 3, v[32:33]
	global_load_dwordx4 v[14:17], v[48:49], off
	global_load_dwordx4 v[18:21], v[48:49], off offset:48
	global_load_dwordx4 v[22:25], v[48:49], off offset:32
	;; [unrolled: 1-line block ×3, first 2 shown]
	v_add_co_u32_e32 v50, vcc, s8, v32
	v_addc_co_u32_e32 v51, vcc, v13, v33, vcc
	global_load_dwordx4 v[32:35], v[50:51], off offset:16
	global_load_dwordx4 v[36:39], v[50:51], off
	s_waitcnt vmcnt(5)
	v_cvt_f64_f32_e32 v[48:49], v14
	v_cvt_f64_f32_e32 v[14:15], v15
	s_waitcnt vmcnt(0)
	v_fma_f64 v[14:15], v[14:15], v[36:37], v[42:43]
	v_cvt_f64_f32_e32 v[42:43], v16
	v_cvt_f64_f32_e32 v[16:17], v17
	v_fma_f64 v[40:41], v[48:49], v[36:37], v[40:41]
	v_fma_f64 v[42:43], v[42:43], v[36:37], v[44:45]
	;; [unrolled: 1-line block ×3, first 2 shown]
	v_cvt_f64_f32_e32 v[36:37], v26
	v_cvt_f64_f32_e32 v[26:27], v27
	v_fma_f64 v[36:37], v[36:37], v[38:39], v[40:41]
	v_fma_f64 v[14:15], v[26:27], v[38:39], v[14:15]
	v_cvt_f64_f32_e32 v[26:27], v28
	v_cvt_f64_f32_e32 v[28:29], v29
	v_fma_f64 v[26:27], v[26:27], v[38:39], v[42:43]
	v_fma_f64 v[16:17], v[28:29], v[38:39], v[16:17]
	;; [unrolled: 4-line block ×3, first 2 shown]
	v_cvt_f64_f32_e32 v[22:23], v24
	v_cvt_f64_f32_e32 v[24:25], v25
	v_add_co_u32_e32 v37, vcc, s13, v6
	v_fma_f64 v[22:23], v[22:23], v[32:33], v[26:27]
	v_fma_f64 v[16:17], v[24:25], v[32:33], v[16:17]
	v_cvt_f64_f32_e32 v[24:25], v18
	v_cvt_f64_f32_e32 v[18:19], v19
	v_addc_co_u32_e32 v38, vcc, 0, v7, vcc
	v_fma_f64 v[28:29], v[24:25], v[34:35], v[28:29]
	v_fma_f64 v[44:45], v[18:19], v[34:35], v[14:15]
	v_cvt_f64_f32_e32 v[14:15], v20
	v_fma_f64 v[22:23], v[14:15], v[34:35], v[22:23]
	v_cvt_f64_f32_e32 v[14:15], v21
	v_fma_f64 v[46:47], v[14:15], v[34:35], v[16:17]
	global_load_dword v14, v[11:12], off offset:256
	s_waitcnt vmcnt(0)
	v_subrev_u32_e32 v14, s16, v14
	v_lshlrev_b32_e32 v36, 2, v14
	global_load_dwordx4 v[14:17], v[37:38], off
	global_load_dwordx4 v[24:27], v[37:38], off offset:48
	global_load_dwordx4 v[18:21], v[37:38], off offset:32
	;; [unrolled: 1-line block ×3, first 2 shown]
	v_ashrrev_i32_e32 v37, 31, v36
	v_lshlrev_b64 v[36:37], 3, v[36:37]
	v_add_co_u32_e32 v50, vcc, s8, v36
	v_addc_co_u32_e32 v51, vcc, v13, v37, vcc
	global_load_dwordx4 v[36:39], v[50:51], off offset:16
	global_load_dwordx4 v[40:43], v[50:51], off
	v_add_co_u32_e32 v0, vcc, 0x100, v0
	v_addc_co_u32_e32 v1, vcc, 0, v1, vcc
	v_add_co_u32_e32 v11, vcc, 0x400, v11
	v_addc_co_u32_e32 v12, vcc, 0, v12, vcc
	v_cmp_ge_i64_e64 s[0:1], v[0:1], v[4:5]
	v_add_co_u32_e32 v6, vcc, 0x4000, v6
	v_addc_co_u32_e32 v7, vcc, 0, v7, vcc
	s_or_b64 s[10:11], s[0:1], s[10:11]
	s_waitcnt vmcnt(5)
	v_cvt_f64_f32_e32 v[48:49], v14
	v_cvt_f64_f32_e32 v[14:15], v15
	s_waitcnt vmcnt(0)
	v_fma_f64 v[14:15], v[14:15], v[40:41], v[44:45]
	v_cvt_f64_f32_e32 v[44:45], v16
	v_cvt_f64_f32_e32 v[16:17], v17
	v_fma_f64 v[28:29], v[48:49], v[40:41], v[28:29]
	v_fma_f64 v[22:23], v[44:45], v[40:41], v[22:23]
	;; [unrolled: 1-line block ×3, first 2 shown]
	v_cvt_f64_f32_e32 v[40:41], v32
	v_cvt_f64_f32_e32 v[32:33], v33
	v_fma_f64 v[28:29], v[40:41], v[42:43], v[28:29]
	v_fma_f64 v[14:15], v[32:33], v[42:43], v[14:15]
	v_cvt_f64_f32_e32 v[32:33], v34
	v_fma_f64 v[22:23], v[32:33], v[42:43], v[22:23]
	v_cvt_f64_f32_e32 v[32:33], v35
	;; [unrolled: 2-line block ×3, first 2 shown]
	v_cvt_f64_f32_e32 v[18:19], v19
	v_fma_f64 v[28:29], v[32:33], v[36:37], v[28:29]
	v_fma_f64 v[14:15], v[18:19], v[36:37], v[14:15]
	v_cvt_f64_f32_e32 v[18:19], v20
	v_cvt_f64_f32_e32 v[20:21], v21
	v_fma_f64 v[18:19], v[18:19], v[36:37], v[22:23]
	v_fma_f64 v[16:17], v[20:21], v[36:37], v[16:17]
	v_cvt_f64_f32_e32 v[20:21], v24
	v_fma_f64 v[23:24], v[20:21], v[38:39], v[28:29]
	v_cvt_f64_f32_e32 v[20:21], v25
	;; [unrolled: 2-line block ×4, first 2 shown]
	v_fma_f64 v[17:18], v[14:15], v[38:39], v[16:17]
	s_andn2_b64 exec, exec, s[10:11]
	s_cbranch_execnz .LBB159_33
; %bb.34:
	s_or_b64 exec, exec, s[10:11]
.LBB159_35:
	s_or_b64 exec, exec, s[6:7]
.LBB159_36:
	s_or_b64 exec, exec, s[2:3]
.LBB159_37:
	v_mov_b32_dpp v0, v23 row_shr:1 row_mask:0xf bank_mask:0xf
	v_mov_b32_dpp v1, v24 row_shr:1 row_mask:0xf bank_mask:0xf
	v_add_f64 v[0:1], v[23:24], v[0:1]
	v_mov_b32_dpp v4, v21 row_shr:1 row_mask:0xf bank_mask:0xf
	v_mov_b32_dpp v5, v22 row_shr:1 row_mask:0xf bank_mask:0xf
	v_add_f64 v[4:5], v[21:22], v[4:5]
	;; [unrolled: 3-line block ×3, first 2 shown]
	v_cmp_eq_u32_e32 vcc, 63, v31
	v_mov_b32_dpp v6, v0 row_shr:2 row_mask:0xf bank_mask:0xf
	v_mov_b32_dpp v7, v1 row_shr:2 row_mask:0xf bank_mask:0xf
	v_add_f64 v[0:1], v[0:1], v[6:7]
	v_mov_b32_dpp v6, v19 row_shr:1 row_mask:0xf bank_mask:0xf
	v_mov_b32_dpp v7, v20 row_shr:1 row_mask:0xf bank_mask:0xf
	v_add_f64 v[6:7], v[19:20], v[6:7]
	v_mov_b32_dpp v13, v4 row_shr:2 row_mask:0xf bank_mask:0xf
	v_mov_b32_dpp v14, v0 row_shr:4 row_mask:0xf bank_mask:0xe
	v_mov_b32_dpp v15, v1 row_shr:4 row_mask:0xf bank_mask:0xe
	v_add_f64 v[0:1], v[0:1], v[14:15]
	v_mov_b32_dpp v14, v5 row_shr:2 row_mask:0xf bank_mask:0xf
	;; [unrolled: 4-line block ×3, first 2 shown]
	v_add_f64 v[6:7], v[6:7], v[15:16]
	v_mov_b32_dpp v14, v12 row_shr:2 row_mask:0xf bank_mask:0xf
	v_add_f64 v[11:12], v[11:12], v[13:14]
	v_mov_b32_dpp v15, v0 row_shr:8 row_mask:0xf bank_mask:0xc
	v_mov_b32_dpp v16, v1 row_shr:8 row_mask:0xf bank_mask:0xc
	v_add_f64 v[0:1], v[0:1], v[15:16]
	v_mov_b32_dpp v13, v4 row_shr:4 row_mask:0xf bank_mask:0xe
	v_mov_b32_dpp v14, v5 row_shr:4 row_mask:0xf bank_mask:0xe
	;; [unrolled: 1-line block ×3, first 2 shown]
	v_add_f64 v[4:5], v[4:5], v[13:14]
	v_mov_b32_dpp v16, v7 row_shr:4 row_mask:0xf bank_mask:0xe
	v_add_f64 v[6:7], v[6:7], v[15:16]
	v_mov_b32_dpp v14, v11 row_shr:4 row_mask:0xf bank_mask:0xe
	v_mov_b32_dpp v15, v12 row_shr:4 row_mask:0xf bank_mask:0xe
	v_add_f64 v[11:12], v[11:12], v[14:15]
	v_mov_b32_dpp v13, v0 row_bcast:15 row_mask:0xa bank_mask:0xf
	v_mov_b32_dpp v14, v1 row_bcast:15 row_mask:0xa bank_mask:0xf
	v_mov_b32_dpp v15, v4 row_shr:8 row_mask:0xf bank_mask:0xc
	v_mov_b32_dpp v16, v5 row_shr:8 row_mask:0xf bank_mask:0xc
	v_add_f64 v[4:5], v[4:5], v[15:16]
	v_mov_b32_dpp v15, v6 row_shr:8 row_mask:0xf bank_mask:0xc
	v_mov_b32_dpp v16, v7 row_shr:8 row_mask:0xf bank_mask:0xc
	v_add_f64 v[6:7], v[6:7], v[15:16]
	;; [unrolled: 3-line block ×3, first 2 shown]
	v_add_f64 v[0:1], v[0:1], v[13:14]
	v_mov_b32_dpp v13, v4 row_bcast:15 row_mask:0xa bank_mask:0xf
	v_mov_b32_dpp v14, v5 row_bcast:15 row_mask:0xa bank_mask:0xf
	v_add_f64 v[4:5], v[4:5], v[13:14]
	v_mov_b32_dpp v13, v6 row_bcast:15 row_mask:0xa bank_mask:0xf
	v_mov_b32_dpp v14, v7 row_bcast:15 row_mask:0xa bank_mask:0xf
	v_add_f64 v[6:7], v[6:7], v[13:14]
	v_mov_b32_dpp v13, v11 row_bcast:15 row_mask:0xa bank_mask:0xf
	v_mov_b32_dpp v14, v12 row_bcast:15 row_mask:0xa bank_mask:0xf
	v_add_f64 v[11:12], v[11:12], v[13:14]
	v_mov_b32_dpp v19, v0 row_bcast:31 row_mask:0xc bank_mask:0xf
	v_mov_b32_dpp v20, v1 row_bcast:31 row_mask:0xc bank_mask:0xf
	v_mov_b32_dpp v17, v4 row_bcast:31 row_mask:0xc bank_mask:0xf
	v_mov_b32_dpp v18, v5 row_bcast:31 row_mask:0xc bank_mask:0xf
	;; [unrolled: 1-line block ×6, first 2 shown]
	s_and_b64 exec, exec, vcc
	s_cbranch_execz .LBB159_10
; %bb.38:
	v_add_f64 v[0:1], v[0:1], v[19:20]
	v_add_f64 v[17:18], v[4:5], v[17:18]
	;; [unrolled: 1-line block ×4, first 2 shown]
	v_cmp_eq_f64_e32 vcc, 0, v[8:9]
	s_load_dwordx2 s[0:1], s[4:5], 0x50
	v_lshlrev_b32_e32 v10, 2, v10
	v_mul_f64 v[4:5], v[2:3], v[0:1]
	v_mul_f64 v[6:7], v[2:3], v[17:18]
	;; [unrolled: 1-line block ×4, first 2 shown]
	s_and_saveexec_b64 s[2:3], vcc
	s_xor_b64 s[2:3], exec, s[2:3]
	s_cbranch_execz .LBB159_40
; %bb.39:
	v_ashrrev_i32_e32 v11, 31, v10
	v_lshlrev_b64 v[8:9], 3, v[10:11]
	s_waitcnt lgkmcnt(0)
	v_mov_b32_e32 v10, s1
	v_add_co_u32_e32 v8, vcc, s0, v8
	v_addc_co_u32_e32 v9, vcc, v10, v9, vcc
	global_store_dwordx4 v[8:9], v[4:7], off
	global_store_dwordx4 v[8:9], v[0:3], off offset:16
                                        ; implicit-def: $vgpr10
                                        ; implicit-def: $vgpr8_vgpr9
                                        ; implicit-def: $vgpr4_vgpr5
                                        ; implicit-def: $vgpr0_vgpr1
.LBB159_40:
	s_andn2_saveexec_b64 s[2:3], s[2:3]
	s_cbranch_execz .LBB159_10
; %bb.41:
	v_ashrrev_i32_e32 v11, 31, v10
	v_lshlrev_b64 v[10:11], 3, v[10:11]
	s_waitcnt lgkmcnt(0)
	v_mov_b32_e32 v12, s1
	v_add_co_u32_e32 v18, vcc, s0, v10
	v_addc_co_u32_e32 v19, vcc, v12, v11, vcc
	global_load_dwordx4 v[10:13], v[18:19], off
	global_load_dwordx4 v[14:17], v[18:19], off offset:16
	s_waitcnt vmcnt(1)
	v_fma_f64 v[4:5], v[8:9], v[10:11], v[4:5]
	v_fma_f64 v[6:7], v[8:9], v[12:13], v[6:7]
	s_waitcnt vmcnt(0)
	v_fma_f64 v[0:1], v[8:9], v[14:15], v[0:1]
	v_fma_f64 v[2:3], v[8:9], v[16:17], v[2:3]
	global_store_dwordx4 v[18:19], v[4:7], off
	global_store_dwordx4 v[18:19], v[0:3], off offset:16
	s_endpgm
	.section	.rodata,"a",@progbits
	.p2align	6, 0x0
	.amdhsa_kernel _ZN9rocsparseL18bsrxmvn_4x4_kernelILj128ELj64EdlifddEEvT3_20rocsparse_direction_NS_24const_host_device_scalarIT1_EES1_PKS1_PKT2_SA_S7_PKT4_PKT5_S5_PT6_21rocsparse_index_base_b
		.amdhsa_group_segment_fixed_size 0
		.amdhsa_private_segment_fixed_size 0
		.amdhsa_kernarg_size 96
		.amdhsa_user_sgpr_count 6
		.amdhsa_user_sgpr_private_segment_buffer 1
		.amdhsa_user_sgpr_dispatch_ptr 0
		.amdhsa_user_sgpr_queue_ptr 0
		.amdhsa_user_sgpr_kernarg_segment_ptr 1
		.amdhsa_user_sgpr_dispatch_id 0
		.amdhsa_user_sgpr_flat_scratch_init 0
		.amdhsa_user_sgpr_private_segment_size 0
		.amdhsa_uses_dynamic_stack 0
		.amdhsa_system_sgpr_private_segment_wavefront_offset 0
		.amdhsa_system_sgpr_workgroup_id_x 1
		.amdhsa_system_sgpr_workgroup_id_y 0
		.amdhsa_system_sgpr_workgroup_id_z 0
		.amdhsa_system_sgpr_workgroup_info 0
		.amdhsa_system_vgpr_workitem_id 0
		.amdhsa_next_free_vgpr 65
		.amdhsa_next_free_sgpr 20
		.amdhsa_reserve_vcc 1
		.amdhsa_reserve_flat_scratch 0
		.amdhsa_float_round_mode_32 0
		.amdhsa_float_round_mode_16_64 0
		.amdhsa_float_denorm_mode_32 3
		.amdhsa_float_denorm_mode_16_64 3
		.amdhsa_dx10_clamp 1
		.amdhsa_ieee_mode 1
		.amdhsa_fp16_overflow 0
		.amdhsa_exception_fp_ieee_invalid_op 0
		.amdhsa_exception_fp_denorm_src 0
		.amdhsa_exception_fp_ieee_div_zero 0
		.amdhsa_exception_fp_ieee_overflow 0
		.amdhsa_exception_fp_ieee_underflow 0
		.amdhsa_exception_fp_ieee_inexact 0
		.amdhsa_exception_int_div_zero 0
	.end_amdhsa_kernel
	.section	.text._ZN9rocsparseL18bsrxmvn_4x4_kernelILj128ELj64EdlifddEEvT3_20rocsparse_direction_NS_24const_host_device_scalarIT1_EES1_PKS1_PKT2_SA_S7_PKT4_PKT5_S5_PT6_21rocsparse_index_base_b,"axG",@progbits,_ZN9rocsparseL18bsrxmvn_4x4_kernelILj128ELj64EdlifddEEvT3_20rocsparse_direction_NS_24const_host_device_scalarIT1_EES1_PKS1_PKT2_SA_S7_PKT4_PKT5_S5_PT6_21rocsparse_index_base_b,comdat
.Lfunc_end159:
	.size	_ZN9rocsparseL18bsrxmvn_4x4_kernelILj128ELj64EdlifddEEvT3_20rocsparse_direction_NS_24const_host_device_scalarIT1_EES1_PKS1_PKT2_SA_S7_PKT4_PKT5_S5_PT6_21rocsparse_index_base_b, .Lfunc_end159-_ZN9rocsparseL18bsrxmvn_4x4_kernelILj128ELj64EdlifddEEvT3_20rocsparse_direction_NS_24const_host_device_scalarIT1_EES1_PKS1_PKT2_SA_S7_PKT4_PKT5_S5_PT6_21rocsparse_index_base_b
                                        ; -- End function
	.set _ZN9rocsparseL18bsrxmvn_4x4_kernelILj128ELj64EdlifddEEvT3_20rocsparse_direction_NS_24const_host_device_scalarIT1_EES1_PKS1_PKT2_SA_S7_PKT4_PKT5_S5_PT6_21rocsparse_index_base_b.num_vgpr, 65
	.set _ZN9rocsparseL18bsrxmvn_4x4_kernelILj128ELj64EdlifddEEvT3_20rocsparse_direction_NS_24const_host_device_scalarIT1_EES1_PKS1_PKT2_SA_S7_PKT4_PKT5_S5_PT6_21rocsparse_index_base_b.num_agpr, 0
	.set _ZN9rocsparseL18bsrxmvn_4x4_kernelILj128ELj64EdlifddEEvT3_20rocsparse_direction_NS_24const_host_device_scalarIT1_EES1_PKS1_PKT2_SA_S7_PKT4_PKT5_S5_PT6_21rocsparse_index_base_b.numbered_sgpr, 20
	.set _ZN9rocsparseL18bsrxmvn_4x4_kernelILj128ELj64EdlifddEEvT3_20rocsparse_direction_NS_24const_host_device_scalarIT1_EES1_PKS1_PKT2_SA_S7_PKT4_PKT5_S5_PT6_21rocsparse_index_base_b.num_named_barrier, 0
	.set _ZN9rocsparseL18bsrxmvn_4x4_kernelILj128ELj64EdlifddEEvT3_20rocsparse_direction_NS_24const_host_device_scalarIT1_EES1_PKS1_PKT2_SA_S7_PKT4_PKT5_S5_PT6_21rocsparse_index_base_b.private_seg_size, 0
	.set _ZN9rocsparseL18bsrxmvn_4x4_kernelILj128ELj64EdlifddEEvT3_20rocsparse_direction_NS_24const_host_device_scalarIT1_EES1_PKS1_PKT2_SA_S7_PKT4_PKT5_S5_PT6_21rocsparse_index_base_b.uses_vcc, 1
	.set _ZN9rocsparseL18bsrxmvn_4x4_kernelILj128ELj64EdlifddEEvT3_20rocsparse_direction_NS_24const_host_device_scalarIT1_EES1_PKS1_PKT2_SA_S7_PKT4_PKT5_S5_PT6_21rocsparse_index_base_b.uses_flat_scratch, 0
	.set _ZN9rocsparseL18bsrxmvn_4x4_kernelILj128ELj64EdlifddEEvT3_20rocsparse_direction_NS_24const_host_device_scalarIT1_EES1_PKS1_PKT2_SA_S7_PKT4_PKT5_S5_PT6_21rocsparse_index_base_b.has_dyn_sized_stack, 0
	.set _ZN9rocsparseL18bsrxmvn_4x4_kernelILj128ELj64EdlifddEEvT3_20rocsparse_direction_NS_24const_host_device_scalarIT1_EES1_PKS1_PKT2_SA_S7_PKT4_PKT5_S5_PT6_21rocsparse_index_base_b.has_recursion, 0
	.set _ZN9rocsparseL18bsrxmvn_4x4_kernelILj128ELj64EdlifddEEvT3_20rocsparse_direction_NS_24const_host_device_scalarIT1_EES1_PKS1_PKT2_SA_S7_PKT4_PKT5_S5_PT6_21rocsparse_index_base_b.has_indirect_call, 0
	.section	.AMDGPU.csdata,"",@progbits
; Kernel info:
; codeLenInByte = 5244
; TotalNumSgprs: 24
; NumVgprs: 65
; ScratchSize: 0
; MemoryBound: 0
; FloatMode: 240
; IeeeMode: 1
; LDSByteSize: 0 bytes/workgroup (compile time only)
; SGPRBlocks: 2
; VGPRBlocks: 16
; NumSGPRsForWavesPerEU: 24
; NumVGPRsForWavesPerEU: 65
; Occupancy: 3
; WaveLimiterHint : 1
; COMPUTE_PGM_RSRC2:SCRATCH_EN: 0
; COMPUTE_PGM_RSRC2:USER_SGPR: 6
; COMPUTE_PGM_RSRC2:TRAP_HANDLER: 0
; COMPUTE_PGM_RSRC2:TGID_X_EN: 1
; COMPUTE_PGM_RSRC2:TGID_Y_EN: 0
; COMPUTE_PGM_RSRC2:TGID_Z_EN: 0
; COMPUTE_PGM_RSRC2:TIDIG_COMP_CNT: 0
	.section	.text._ZN9rocsparseL18bsrxmvn_4x4_kernelILj128ELj4EdllfddEEvT3_20rocsparse_direction_NS_24const_host_device_scalarIT1_EES1_PKS1_PKT2_SA_S7_PKT4_PKT5_S5_PT6_21rocsparse_index_base_b,"axG",@progbits,_ZN9rocsparseL18bsrxmvn_4x4_kernelILj128ELj4EdllfddEEvT3_20rocsparse_direction_NS_24const_host_device_scalarIT1_EES1_PKS1_PKT2_SA_S7_PKT4_PKT5_S5_PT6_21rocsparse_index_base_b,comdat
	.globl	_ZN9rocsparseL18bsrxmvn_4x4_kernelILj128ELj4EdllfddEEvT3_20rocsparse_direction_NS_24const_host_device_scalarIT1_EES1_PKS1_PKT2_SA_S7_PKT4_PKT5_S5_PT6_21rocsparse_index_base_b ; -- Begin function _ZN9rocsparseL18bsrxmvn_4x4_kernelILj128ELj4EdllfddEEvT3_20rocsparse_direction_NS_24const_host_device_scalarIT1_EES1_PKS1_PKT2_SA_S7_PKT4_PKT5_S5_PT6_21rocsparse_index_base_b
	.p2align	8
	.type	_ZN9rocsparseL18bsrxmvn_4x4_kernelILj128ELj4EdllfddEEvT3_20rocsparse_direction_NS_24const_host_device_scalarIT1_EES1_PKS1_PKT2_SA_S7_PKT4_PKT5_S5_PT6_21rocsparse_index_base_b,@function
_ZN9rocsparseL18bsrxmvn_4x4_kernelILj128ELj4EdllfddEEvT3_20rocsparse_direction_NS_24const_host_device_scalarIT1_EES1_PKS1_PKT2_SA_S7_PKT4_PKT5_S5_PT6_21rocsparse_index_base_b: ; @_ZN9rocsparseL18bsrxmvn_4x4_kernelILj128ELj4EdllfddEEvT3_20rocsparse_direction_NS_24const_host_device_scalarIT1_EES1_PKS1_PKT2_SA_S7_PKT4_PKT5_S5_PT6_21rocsparse_index_base_b
; %bb.0:
	s_load_dwordx2 s[8:9], s[4:5], 0x60
	s_load_dwordx4 s[0:3], s[4:5], 0x10
	s_load_dwordx2 s[10:11], s[4:5], 0x50
	s_waitcnt lgkmcnt(0)
	s_bitcmp1_b32 s9, 0
	s_cselect_b64 s[14:15], -1, 0
	v_mov_b32_e32 v3, s1
	s_xor_b64 s[12:13], s[14:15], -1
	s_and_b64 vcc, exec, s[14:15]
	v_mov_b32_e32 v2, s0
	s_cbranch_vccnz .LBB160_2
; %bb.1:
	v_mov_b32_e32 v2, s1
	v_mov_b32_e32 v1, s0
	flat_load_dwordx2 v[2:3], v[1:2]
.LBB160_2:
	v_mov_b32_e32 v8, s10
	s_andn2_b64 vcc, exec, s[12:13]
	v_mov_b32_e32 v9, s11
	s_cbranch_vccnz .LBB160_4
; %bb.3:
	v_mov_b32_e32 v4, s10
	v_mov_b32_e32 v5, s11
	flat_load_dwordx2 v[8:9], v[4:5]
.LBB160_4:
	s_waitcnt vmcnt(0) lgkmcnt(0)
	v_cmp_neq_f64_e32 vcc, 0, v[2:3]
	v_cmp_neq_f64_e64 s[0:1], 1.0, v[8:9]
	s_mov_b64 s[10:11], 0
	s_or_b64 s[0:1], vcc, s[0:1]
	s_and_saveexec_b64 s[12:13], s[0:1]
	s_cbranch_execz .LBB160_10
; %bb.5:
	s_load_dwordx2 s[12:13], s[4:5], 0x20
	v_lshrrev_b32_e32 v1, 2, v0
	v_lshl_or_b32 v6, s6, 5, v1
	v_mov_b32_e32 v7, 0
	s_mov_b64 s[0:1], 0
	s_waitcnt lgkmcnt(0)
	s_cmp_lg_u64 s[12:13], 0
	s_cbranch_scc0 .LBB160_11
; %bb.6:
	v_cmp_gt_i64_e32 vcc, s[2:3], v[6:7]
                                        ; implicit-def: $vgpr10_vgpr11
                                        ; implicit-def: $vgpr4_vgpr5
	s_and_saveexec_b64 s[2:3], vcc
	s_xor_b64 s[2:3], exec, s[2:3]
	s_cbranch_execz .LBB160_8
; %bb.7:
	v_lshlrev_b64 v[4:5], 3, v[6:7]
	v_mov_b32_e32 v1, s13
	v_add_co_u32_e32 v4, vcc, s12, v4
	v_addc_co_u32_e32 v5, vcc, v1, v5, vcc
	global_load_dwordx2 v[4:5], v[4:5], off
	s_mov_b32 s9, 0
	s_mov_b64 s[0:1], exec
	s_waitcnt vmcnt(0)
	v_subrev_co_u32_e32 v10, vcc, s8, v4
	v_subbrev_co_u32_e32 v11, vcc, 0, v5, vcc
	v_mov_b32_e32 v4, s8
	v_mov_b32_e32 v5, s9
.LBB160_8:
	s_or_b64 exec, exec, s[2:3]
	s_mov_b64 s[10:11], s[0:1]
.LBB160_9:
	s_and_b64 exec, exec, s[10:11]
	s_cbranch_execnz .LBB160_15
.LBB160_10:
	s_endpgm
.LBB160_11:
                                        ; implicit-def: $vgpr10_vgpr11
                                        ; implicit-def: $vgpr4_vgpr5
	s_cbranch_execz .LBB160_9
; %bb.12:
	s_load_dwordx2 s[0:1], s[4:5], 0x0
	s_waitcnt lgkmcnt(0)
	v_cmp_gt_i64_e32 vcc, s[0:1], v[6:7]
	s_and_saveexec_b64 s[0:1], vcc
; %bb.13:
	s_mov_b32 s9, 0
	s_or_b64 s[10:11], s[10:11], exec
; %bb.14:
	s_or_b64 exec, exec, s[0:1]
	v_mov_b32_e32 v4, s8
	v_mov_b32_e32 v11, v7
	;; [unrolled: 1-line block ×4, first 2 shown]
	s_and_b64 exec, exec, s[10:11]
	s_cbranch_execz .LBB160_10
.LBB160_15:
	s_load_dwordx8 s[8:15], s[4:5], 0x28
	v_lshlrev_b64 v[6:7], 3, v[10:11]
	v_and_b32_e32 v34, 3, v0
	s_waitcnt lgkmcnt(0)
	v_mov_b32_e32 v1, s9
	v_add_co_u32_e32 v12, vcc, s8, v6
	v_addc_co_u32_e32 v13, vcc, v1, v7, vcc
	v_add_co_u32_e32 v1, vcc, 8, v12
	global_load_dwordx2 v[14:15], v[12:13], off
	v_addc_co_u32_e32 v12, vcc, 0, v13, vcc
	v_mov_b32_e32 v13, s11
	v_add_co_u32_e32 v6, vcc, s10, v6
	s_cmp_eq_u64 s[10:11], 0
	v_addc_co_u32_e32 v7, vcc, v13, v7, vcc
	s_cselect_b64 vcc, -1, 0
	v_cndmask_b32_e32 v7, v7, v12, vcc
	v_cndmask_b32_e32 v6, v6, v1, vcc
	global_load_dwordx2 v[6:7], v[6:7], off
	s_load_dword s0, s[4:5], 0x8
	s_load_dwordx2 s[10:11], s[4:5], 0x48
	v_mov_b32_e32 v16, s15
	s_waitcnt lgkmcnt(0)
	s_cmp_eq_u32 s0, 1
	s_waitcnt vmcnt(1)
	v_sub_co_u32_e32 v0, vcc, v14, v4
	v_subb_co_u32_e32 v1, vcc, v15, v5, vcc
	v_add_co_u32_e32 v0, vcc, v0, v34
	v_addc_co_u32_e32 v1, vcc, 0, v1, vcc
	v_lshlrev_b64 v[12:13], 6, v[0:1]
	s_waitcnt vmcnt(0)
	v_sub_co_u32_e32 v6, vcc, v6, v4
	v_subb_co_u32_e32 v7, vcc, v7, v5, vcc
	v_cmp_lt_i64_e64 s[0:1], v[0:1], v[6:7]
	v_add_co_u32_e32 v12, vcc, s14, v12
	v_addc_co_u32_e32 v13, vcc, v16, v13, vcc
	s_cbranch_scc1 .LBB160_27
; %bb.16:
	v_mov_b32_e32 v20, 0
	v_mov_b32_e32 v22, 0
	;; [unrolled: 1-line block ×8, first 2 shown]
	s_and_saveexec_b64 s[14:15], s[0:1]
	s_cbranch_execz .LBB160_26
; %bb.17:
	v_or_b32_e32 v16, 4, v34
	v_sub_co_u32_e32 v16, vcc, v16, v4
	v_subb_co_u32_e32 v17, vcc, 0, v5, vcc
	v_add_co_u32_e32 v16, vcc, v16, v14
	v_addc_co_u32_e32 v17, vcc, v17, v15, vcc
	v_cmp_gt_i64_e32 vcc, v[16:17], v[6:7]
	v_not_b32_e32 v19, v14
	v_cndmask_b32_e32 v17, v7, v17, vcc
	v_cndmask_b32_e32 v16, v6, v16, vcc
	v_sub_co_u32_e32 v20, vcc, v4, v34
	v_subbrev_co_u32_e32 v21, vcc, 0, v5, vcc
	v_not_b32_e32 v18, v15
	v_add_co_u32_e32 v19, vcc, v20, v19
	v_addc_co_u32_e32 v18, vcc, v21, v18, vcc
	v_add_co_u32_e32 v28, vcc, v19, v16
	v_addc_co_u32_e32 v29, vcc, v18, v17, vcc
	v_and_b32_e32 v16, 12, v28
	v_mov_b32_e32 v17, 0
	v_cmp_ne_u64_e32 vcc, 12, v[16:17]
	v_mov_b32_e32 v26, 0
	v_mov_b32_e32 v24, 0
	;; [unrolled: 1-line block ×12, first 2 shown]
	s_and_saveexec_b64 s[16:17], vcc
	s_cbranch_execz .LBB160_21
; %bb.18:
	v_lshrrev_b32_e32 v16, 2, v28
	v_add_u32_e32 v16, 1, v16
	v_and_b32_e32 v18, 3, v16
	v_lshlrev_b64 v[16:17], 3, v[0:1]
	v_mov_b32_e32 v19, s13
	v_add_co_u32_e32 v30, vcc, s12, v16
	v_addc_co_u32_e32 v31, vcc, v19, v17, vcc
	v_sub_co_u32_e32 v32, vcc, 0, v18
	v_mov_b32_e32 v20, 0
	v_mov_b32_e32 v17, v13
	;; [unrolled: 1-line block ×6, first 2 shown]
	s_mov_b64 s[18:19], 0
	v_subb_co_u32_e64 v33, s[2:3], 0, 0, vcc
	v_mov_b32_e32 v21, 0
	s_movk_i32 s20, 0x100
	v_mov_b32_e32 v16, v12
	v_mov_b32_e32 v23, 0
	;; [unrolled: 1-line block ×5, first 2 shown]
.LBB160_19:                             ; =>This Inner Loop Header: Depth=1
	global_load_dwordx2 v[43:44], v[30:31], off
	global_load_dwordx4 v[35:38], v[16:17], off
	global_load_dwordx4 v[39:42], v[16:17], off offset:16
	v_mov_b32_e32 v45, s11
	v_add_co_u32_e64 v18, s[2:3], 4, v18
	v_add_co_u32_e64 v30, s[6:7], 32, v30
	;; [unrolled: 1-line block ×3, first 2 shown]
	v_addc_co_u32_e64 v19, s[2:3], 0, v19, s[2:3]
	v_addc_co_u32_e64 v31, s[2:3], 0, v31, s[6:7]
	;; [unrolled: 1-line block ×3, first 2 shown]
	v_cmp_eq_u64_e64 s[2:3], 0, v[32:33]
	s_or_b64 s[18:19], s[2:3], s[18:19]
	s_waitcnt vmcnt(2)
	v_sub_co_u32_e32 v43, vcc, v43, v4
	v_subb_co_u32_e32 v44, vcc, v44, v5, vcc
	v_lshlrev_b64 v[43:44], 5, v[43:44]
	s_waitcnt vmcnt(1)
	v_cvt_f64_f32_e32 v[47:48], v35
	v_add_co_u32_e32 v51, vcc, s10, v43
	v_addc_co_u32_e32 v52, vcc, v45, v44, vcc
	global_load_dwordx4 v[43:46], v[51:52], off
	s_waitcnt vmcnt(1)
	v_cvt_f64_f32_e32 v[49:50], v39
	v_cvt_f64_f32_e32 v[35:36], v36
	s_waitcnt vmcnt(0)
	v_fma_f64 v[53:54], v[47:48], v[43:44], v[26:27]
	v_fma_f64 v[55:56], v[49:50], v[43:44], v[24:25]
	global_load_dwordx4 v[24:27], v[16:17], off offset:32
	s_waitcnt vmcnt(0)
	v_cvt_f64_f32_e32 v[47:48], v24
	v_cvt_f64_f32_e32 v[24:25], v25
	v_fma_f64 v[22:23], v[47:48], v[43:44], v[22:23]
	global_load_dwordx4 v[47:50], v[16:17], off offset:48
	v_add_co_u32_e32 v16, vcc, s20, v16
	v_addc_co_u32_e32 v17, vcc, 0, v17, vcc
	v_fma_f64 v[22:23], v[24:25], v[45:46], v[22:23]
	s_waitcnt vmcnt(0)
	v_cvt_f64_f32_e32 v[57:58], v47
	v_cvt_f64_f32_e32 v[24:25], v48
	v_fma_f64 v[20:21], v[57:58], v[43:44], v[20:21]
	v_fma_f64 v[43:44], v[35:36], v[45:46], v[53:54]
	v_cvt_f64_f32_e32 v[35:36], v40
	v_fma_f64 v[39:40], v[35:36], v[45:46], v[55:56]
	v_fma_f64 v[20:21], v[24:25], v[45:46], v[20:21]
	v_cvt_f64_f32_e32 v[24:25], v37
	v_cvt_f64_f32_e32 v[45:46], v38
	global_load_dwordx4 v[35:38], v[51:52], off offset:16
	s_waitcnt vmcnt(0)
	v_fma_f64 v[24:25], v[24:25], v[35:36], v[43:44]
	v_cvt_f64_f32_e32 v[43:44], v41
	v_fma_f64 v[39:40], v[43:44], v[35:36], v[39:40]
	v_cvt_f64_f32_e32 v[43:44], v26
	;; [unrolled: 2-line block ×4, first 2 shown]
	v_cvt_f64_f32_e32 v[41:42], v27
	v_cvt_f64_f32_e32 v[43:44], v50
	v_fma_f64 v[26:27], v[45:46], v[37:38], v[24:25]
	v_fma_f64 v[24:25], v[35:36], v[37:38], v[39:40]
	;; [unrolled: 1-line block ×4, first 2 shown]
	s_andn2_b64 exec, exec, s[18:19]
	s_cbranch_execnz .LBB160_19
; %bb.20:
	s_or_b64 exec, exec, s[18:19]
.LBB160_21:
	s_or_b64 exec, exec, s[16:17]
	v_cmp_lt_u64_e32 vcc, 11, v[28:29]
	s_and_saveexec_b64 s[2:3], vcc
	s_cbranch_execz .LBB160_25
; %bb.22:
	v_lshlrev_b64 v[28:29], 3, v[18:19]
	v_mov_b32_e32 v30, s13
	v_add_co_u32_e32 v28, vcc, s12, v28
	v_addc_co_u32_e32 v29, vcc, v30, v29, vcc
	v_add_co_u32_e32 v28, vcc, 64, v28
	v_addc_co_u32_e32 v29, vcc, 0, v29, vcc
	s_mov_b64 s[6:7], 0
	v_mov_b32_e32 v30, s11
	s_movk_i32 s8, 0x400
.LBB160_23:                             ; =>This Inner Loop Header: Depth=1
	global_load_dwordx2 v[31:32], v[28:29], off offset:-64
	global_load_dwordx4 v[35:38], v[16:17], off offset:48
	global_load_dwordx4 v[39:42], v[16:17], off offset:32
	;; [unrolled: 1-line block ×3, first 2 shown]
	global_load_dwordx4 v[47:50], v[16:17], off
	s_waitcnt vmcnt(4)
	v_sub_co_u32_e32 v31, vcc, v31, v4
	v_subb_co_u32_e32 v32, vcc, v32, v5, vcc
	v_lshlrev_b64 v[31:32], 5, v[31:32]
	s_waitcnt vmcnt(0)
	v_cvt_f64_f32_e32 v[59:60], v47
	v_add_co_u32_e32 v31, vcc, s10, v31
	v_addc_co_u32_e32 v32, vcc, v30, v32, vcc
	global_load_dwordx4 v[51:54], v[31:32], off offset:16
	global_load_dwordx4 v[55:58], v[31:32], off
	v_cvt_f64_f32_e32 v[31:32], v48
	s_waitcnt vmcnt(0)
	v_fma_f64 v[26:27], v[59:60], v[55:56], v[26:27]
	v_fma_f64 v[26:27], v[31:32], v[57:58], v[26:27]
	v_cvt_f64_f32_e32 v[31:32], v49
	v_fma_f64 v[26:27], v[31:32], v[51:52], v[26:27]
	v_cvt_f64_f32_e32 v[31:32], v50
	;; [unrolled: 2-line block ×14, first 2 shown]
	v_fma_f64 v[51:52], v[22:23], v[53:54], v[20:21]
	global_load_dwordx2 v[20:21], v[28:29], off offset:-32
	s_waitcnt vmcnt(0)
	v_sub_co_u32_e32 v43, vcc, v20, v4
	v_subb_co_u32_e32 v44, vcc, v21, v5, vcc
	global_load_dwordx4 v[20:23], v[16:17], off offset:304
	global_load_dwordx4 v[24:27], v[16:17], off offset:288
	;; [unrolled: 1-line block ×4, first 2 shown]
	v_lshlrev_b64 v[43:44], 5, v[43:44]
	v_add_co_u32_e32 v55, vcc, s10, v43
	v_addc_co_u32_e32 v56, vcc, v30, v44, vcc
	global_load_dwordx4 v[43:46], v[55:56], off offset:16
	global_load_dwordx4 v[47:50], v[55:56], off
	s_waitcnt vmcnt(2)
	v_cvt_f64_f32_e32 v[53:54], v39
	v_cvt_f64_f32_e32 v[39:40], v40
	s_waitcnt vmcnt(0)
	v_fma_f64 v[31:32], v[53:54], v[47:48], v[31:32]
	v_fma_f64 v[31:32], v[39:40], v[49:50], v[31:32]
	v_cvt_f64_f32_e32 v[39:40], v41
	v_fma_f64 v[31:32], v[39:40], v[43:44], v[31:32]
	v_cvt_f64_f32_e32 v[39:40], v42
	v_fma_f64 v[31:32], v[39:40], v[45:46], v[31:32]
	v_cvt_f64_f32_e32 v[39:40], v35
	v_cvt_f64_f32_e32 v[35:36], v36
	v_fma_f64 v[39:40], v[39:40], v[47:48], v[59:60]
	v_fma_f64 v[35:36], v[35:36], v[49:50], v[39:40]
	v_cvt_f64_f32_e32 v[39:40], v37
	v_cvt_f64_f32_e32 v[37:38], v38
	v_fma_f64 v[35:36], v[39:40], v[43:44], v[35:36]
	v_fma_f64 v[53:54], v[37:38], v[45:46], v[35:36]
	v_cvt_f64_f32_e32 v[35:36], v24
	;; [unrolled: 4-line block ×5, first 2 shown]
	v_cvt_f64_f32_e32 v[22:23], v23
	v_fma_f64 v[20:21], v[24:25], v[43:44], v[20:21]
	v_fma_f64 v[51:52], v[22:23], v[45:46], v[20:21]
	global_load_dwordx2 v[20:21], v[28:29], off
	s_waitcnt vmcnt(0)
	v_sub_co_u32_e32 v43, vcc, v20, v4
	v_subb_co_u32_e32 v44, vcc, v21, v5, vcc
	global_load_dwordx4 v[20:23], v[16:17], off offset:560
	global_load_dwordx4 v[24:27], v[16:17], off offset:544
	;; [unrolled: 1-line block ×4, first 2 shown]
	v_lshlrev_b64 v[43:44], 5, v[43:44]
	v_add_co_u32_e32 v59, vcc, s10, v43
	v_addc_co_u32_e32 v60, vcc, v30, v44, vcc
	global_load_dwordx4 v[43:46], v[59:60], off offset:16
	global_load_dwordx4 v[47:50], v[59:60], off
	s_waitcnt vmcnt(2)
	v_cvt_f64_f32_e32 v[57:58], v39
	v_cvt_f64_f32_e32 v[39:40], v40
	s_waitcnt vmcnt(0)
	v_fma_f64 v[31:32], v[57:58], v[47:48], v[31:32]
	v_fma_f64 v[31:32], v[39:40], v[49:50], v[31:32]
	v_cvt_f64_f32_e32 v[39:40], v41
	v_fma_f64 v[31:32], v[39:40], v[43:44], v[31:32]
	v_cvt_f64_f32_e32 v[39:40], v42
	;; [unrolled: 2-line block ×3, first 2 shown]
	v_cvt_f64_f32_e32 v[35:36], v36
	v_fma_f64 v[39:40], v[39:40], v[47:48], v[53:54]
	v_fma_f64 v[35:36], v[35:36], v[49:50], v[39:40]
	v_cvt_f64_f32_e32 v[39:40], v37
	v_cvt_f64_f32_e32 v[37:38], v38
	v_fma_f64 v[35:36], v[39:40], v[43:44], v[35:36]
	v_fma_f64 v[53:54], v[37:38], v[45:46], v[35:36]
	v_cvt_f64_f32_e32 v[35:36], v24
	;; [unrolled: 4-line block ×5, first 2 shown]
	v_cvt_f64_f32_e32 v[22:23], v23
	v_fma_f64 v[20:21], v[24:25], v[43:44], v[20:21]
	v_fma_f64 v[51:52], v[22:23], v[45:46], v[20:21]
	global_load_dwordx2 v[20:21], v[28:29], off offset:32
	s_waitcnt vmcnt(0)
	v_sub_co_u32_e32 v43, vcc, v20, v4
	v_subb_co_u32_e32 v44, vcc, v21, v5, vcc
	global_load_dwordx4 v[35:38], v[16:17], off offset:816
	global_load_dwordx4 v[20:23], v[16:17], off offset:800
	;; [unrolled: 1-line block ×4, first 2 shown]
	v_lshlrev_b64 v[43:44], 5, v[43:44]
	v_add_co_u32_e32 v59, vcc, s10, v43
	v_addc_co_u32_e32 v60, vcc, v30, v44, vcc
	global_load_dwordx4 v[43:46], v[59:60], off offset:16
	global_load_dwordx4 v[47:50], v[59:60], off
	v_add_co_u32_e32 v16, vcc, s8, v16
	v_addc_co_u32_e32 v17, vcc, 0, v17, vcc
	v_add_co_u32_e32 v18, vcc, 16, v18
	v_addc_co_u32_e32 v19, vcc, 0, v19, vcc
	;; [unrolled: 2-line block ×3, first 2 shown]
	v_cmp_ge_i64_e32 vcc, v[18:19], v[6:7]
	s_or_b64 s[6:7], vcc, s[6:7]
	s_waitcnt vmcnt(2)
	v_cvt_f64_f32_e32 v[57:58], v24
	v_cvt_f64_f32_e32 v[24:25], v25
	s_waitcnt vmcnt(0)
	v_fma_f64 v[31:32], v[57:58], v[47:48], v[31:32]
	v_fma_f64 v[24:25], v[24:25], v[49:50], v[31:32]
	v_cvt_f64_f32_e32 v[31:32], v26
	v_cvt_f64_f32_e32 v[26:27], v27
	v_fma_f64 v[24:25], v[31:32], v[43:44], v[24:25]
	v_cvt_f64_f32_e32 v[31:32], v40
	v_fma_f64 v[26:27], v[26:27], v[45:46], v[24:25]
	;; [unrolled: 2-line block ×3, first 2 shown]
	v_fma_f64 v[24:25], v[31:32], v[49:50], v[24:25]
	v_cvt_f64_f32_e32 v[31:32], v41
	v_fma_f64 v[24:25], v[31:32], v[43:44], v[24:25]
	v_cvt_f64_f32_e32 v[31:32], v42
	;; [unrolled: 2-line block ×3, first 2 shown]
	v_cvt_f64_f32_e32 v[20:21], v21
	v_fma_f64 v[31:32], v[31:32], v[47:48], v[55:56]
	v_fma_f64 v[20:21], v[20:21], v[49:50], v[31:32]
	v_cvt_f64_f32_e32 v[31:32], v22
	v_cvt_f64_f32_e32 v[22:23], v23
	v_fma_f64 v[20:21], v[31:32], v[43:44], v[20:21]
	v_cvt_f64_f32_e32 v[31:32], v36
	v_fma_f64 v[22:23], v[22:23], v[45:46], v[20:21]
	;; [unrolled: 2-line block ×3, first 2 shown]
	v_fma_f64 v[20:21], v[31:32], v[49:50], v[20:21]
	v_cvt_f64_f32_e32 v[31:32], v37
	v_fma_f64 v[20:21], v[31:32], v[43:44], v[20:21]
	v_cvt_f64_f32_e32 v[31:32], v38
	v_fma_f64 v[20:21], v[31:32], v[45:46], v[20:21]
	s_andn2_b64 exec, exec, s[6:7]
	s_cbranch_execnz .LBB160_23
; %bb.24:
	s_or_b64 exec, exec, s[6:7]
.LBB160_25:
	s_or_b64 exec, exec, s[2:3]
.LBB160_26:
	s_or_b64 exec, exec, s[14:15]
	s_cbranch_execz .LBB160_28
	s_branch .LBB160_39
.LBB160_27:
                                        ; implicit-def: $vgpr20_vgpr21
                                        ; implicit-def: $vgpr22_vgpr23
                                        ; implicit-def: $vgpr24_vgpr25
                                        ; implicit-def: $vgpr26_vgpr27
.LBB160_28:
	v_mov_b32_e32 v20, 0
	v_mov_b32_e32 v22, 0
	;; [unrolled: 1-line block ×8, first 2 shown]
	s_and_saveexec_b64 s[2:3], s[0:1]
	s_cbranch_execz .LBB160_38
; %bb.29:
	v_or_b32_e32 v16, 4, v34
	v_sub_co_u32_e32 v16, vcc, v16, v4
	v_subb_co_u32_e32 v17, vcc, 0, v5, vcc
	v_add_co_u32_e32 v16, vcc, v16, v14
	v_addc_co_u32_e32 v17, vcc, v17, v15, vcc
	v_cmp_gt_i64_e32 vcc, v[16:17], v[6:7]
	v_not_b32_e32 v14, v14
	v_cndmask_b32_e32 v17, v7, v17, vcc
	v_cndmask_b32_e32 v16, v6, v16, vcc
	v_sub_co_u32_e32 v18, vcc, v4, v34
	v_subbrev_co_u32_e32 v19, vcc, 0, v5, vcc
	v_not_b32_e32 v15, v15
	v_add_co_u32_e32 v14, vcc, v18, v14
	v_addc_co_u32_e32 v15, vcc, v19, v15, vcc
	v_add_co_u32_e32 v14, vcc, v14, v16
	v_addc_co_u32_e32 v15, vcc, v15, v17, vcc
	v_and_b32_e32 v16, 12, v14
	v_mov_b32_e32 v17, 0
	v_cmp_ne_u64_e32 vcc, 12, v[16:17]
	v_mov_b32_e32 v26, 0
	v_mov_b32_e32 v24, 0
	;; [unrolled: 1-line block ×8, first 2 shown]
	s_and_saveexec_b64 s[6:7], vcc
	s_cbranch_execz .LBB160_33
; %bb.30:
	v_lshrrev_b32_e32 v16, 2, v14
	v_add_u32_e32 v16, 1, v16
	v_and_b32_e32 v18, 3, v16
	v_lshlrev_b64 v[16:17], 3, v[0:1]
	v_mov_b32_e32 v19, s13
	v_add_co_u32_e32 v16, vcc, s12, v16
	v_addc_co_u32_e32 v17, vcc, v19, v17, vcc
	v_sub_co_u32_e32 v18, vcc, 0, v18
	v_mov_b32_e32 v20, 0
	v_mov_b32_e32 v22, 0
	;; [unrolled: 1-line block ×4, first 2 shown]
	s_mov_b64 s[8:9], 0
	v_subb_co_u32_e64 v19, s[0:1], 0, 0, vcc
	v_mov_b32_e32 v21, 0
	v_mov_b32_e32 v23, 0
	v_mov_b32_e32 v25, 0
	v_mov_b32_e32 v27, 0
	s_movk_i32 s14, 0x100
.LBB160_31:                             ; =>This Inner Loop Header: Depth=1
	global_load_dwordx2 v[32:33], v[16:17], off
	global_load_dwordx4 v[28:31], v[12:13], off offset:16
	global_load_dwordx4 v[35:38], v[12:13], off
	v_mov_b32_e32 v39, s11
	v_add_co_u32_e64 v0, s[0:1], 4, v0
	v_addc_co_u32_e64 v1, s[0:1], 0, v1, s[0:1]
	v_add_co_u32_e64 v16, s[0:1], 32, v16
	v_addc_co_u32_e64 v17, s[0:1], 0, v17, s[0:1]
	;; [unrolled: 2-line block ×3, first 2 shown]
	v_cmp_eq_u64_e64 s[0:1], 0, v[18:19]
	s_or_b64 s[8:9], s[0:1], s[8:9]
	s_waitcnt vmcnt(2)
	v_sub_co_u32_e32 v32, vcc, v32, v4
	v_subb_co_u32_e32 v33, vcc, v33, v5, vcc
	v_lshlrev_b64 v[32:33], 5, v[32:33]
	s_waitcnt vmcnt(0)
	v_cvt_f64_f32_e32 v[55:56], v37
	v_add_co_u32_e32 v32, vcc, s10, v32
	v_addc_co_u32_e32 v33, vcc, v39, v33, vcc
	global_load_dwordx4 v[39:42], v[32:33], off
	global_load_dwordx4 v[43:46], v[32:33], off offset:16
	global_load_dwordx4 v[47:50], v[12:13], off offset:32
	;; [unrolled: 1-line block ×3, first 2 shown]
	v_cvt_f64_f32_e32 v[32:33], v35
	v_cvt_f64_f32_e32 v[35:36], v36
	;; [unrolled: 1-line block ×7, first 2 shown]
	v_add_co_u32_e32 v12, vcc, s14, v12
	v_addc_co_u32_e32 v13, vcc, 0, v13, vcc
	s_waitcnt vmcnt(3)
	v_fma_f64 v[26:27], v[32:33], v[39:40], v[26:27]
	v_fma_f64 v[24:25], v[35:36], v[39:40], v[24:25]
	;; [unrolled: 1-line block ×4, first 2 shown]
	s_waitcnt vmcnt(1)
	v_cvt_f64_f32_e32 v[32:33], v47
	v_cvt_f64_f32_e32 v[35:36], v48
	s_waitcnt vmcnt(0)
	v_cvt_f64_f32_e32 v[37:38], v51
	v_fma_f64 v[26:27], v[57:58], v[41:42], v[26:27]
	v_fma_f64 v[24:25], v[28:29], v[41:42], v[24:25]
	;; [unrolled: 1-line block ×4, first 2 shown]
	v_cvt_f64_f32_e32 v[28:29], v49
	v_cvt_f64_f32_e32 v[30:31], v50
	v_fma_f64 v[26:27], v[32:33], v[43:44], v[26:27]
	v_fma_f64 v[24:25], v[35:36], v[43:44], v[24:25]
	;; [unrolled: 1-line block ×4, first 2 shown]
	v_cvt_f64_f32_e32 v[28:29], v52
	v_cvt_f64_f32_e32 v[30:31], v53
	;; [unrolled: 1-line block ×3, first 2 shown]
	v_fma_f64 v[26:27], v[37:38], v[45:46], v[26:27]
	v_fma_f64 v[24:25], v[28:29], v[45:46], v[24:25]
	;; [unrolled: 1-line block ×4, first 2 shown]
	s_andn2_b64 exec, exec, s[8:9]
	s_cbranch_execnz .LBB160_31
; %bb.32:
	s_or_b64 exec, exec, s[8:9]
.LBB160_33:
	s_or_b64 exec, exec, s[6:7]
	v_cmp_lt_u64_e32 vcc, 11, v[14:15]
	s_and_saveexec_b64 s[0:1], vcc
	s_cbranch_execz .LBB160_37
; %bb.34:
	v_lshlrev_b64 v[14:15], 3, v[0:1]
	v_mov_b32_e32 v16, s13
	v_add_co_u32_e32 v14, vcc, s12, v14
	v_addc_co_u32_e32 v15, vcc, v16, v15, vcc
	v_add_co_u32_e32 v14, vcc, 64, v14
	v_addc_co_u32_e32 v15, vcc, 0, v15, vcc
	s_mov_b64 s[6:7], 0
	v_mov_b32_e32 v16, s11
	s_movk_i32 s8, 0x400
.LBB160_35:                             ; =>This Inner Loop Header: Depth=1
	global_load_dwordx2 v[17:18], v[14:15], off offset:-64
	global_load_dwordx4 v[28:31], v[12:13], off offset:48
	global_load_dwordx4 v[35:38], v[12:13], off offset:32
	;; [unrolled: 1-line block ×3, first 2 shown]
	global_load_dwordx4 v[43:46], v[12:13], off
	s_waitcnt vmcnt(4)
	v_sub_co_u32_e32 v17, vcc, v17, v4
	v_subb_co_u32_e32 v18, vcc, v18, v5, vcc
	v_lshlrev_b64 v[17:18], 5, v[17:18]
	s_waitcnt vmcnt(0)
	v_cvt_f64_f32_e32 v[32:33], v43
	v_add_co_u32_e32 v17, vcc, s10, v17
	v_addc_co_u32_e32 v18, vcc, v16, v18, vcc
	global_load_dwordx4 v[47:50], v[17:18], off offset:16
	global_load_dwordx4 v[51:54], v[17:18], off
	s_waitcnt vmcnt(0)
	v_fma_f64 v[17:18], v[32:33], v[51:52], v[26:27]
	v_cvt_f64_f32_e32 v[26:27], v44
	v_fma_f64 v[24:25], v[26:27], v[51:52], v[24:25]
	v_cvt_f64_f32_e32 v[26:27], v45
	;; [unrolled: 2-line block ×15, first 2 shown]
	v_fma_f64 v[49:50], v[17:18], v[49:50], v[19:20]
	global_load_dwordx2 v[17:18], v[14:15], off offset:-32
	s_waitcnt vmcnt(0)
	v_sub_co_u32_e32 v35, vcc, v17, v4
	v_subb_co_u32_e32 v36, vcc, v18, v5, vcc
	global_load_dwordx4 v[17:20], v[12:13], off offset:304
	global_load_dwordx4 v[21:24], v[12:13], off offset:288
	;; [unrolled: 1-line block ×4, first 2 shown]
	v_lshlrev_b64 v[35:36], 5, v[35:36]
	v_add_co_u32_e32 v53, vcc, s10, v35
	v_addc_co_u32_e32 v54, vcc, v16, v36, vcc
	global_load_dwordx4 v[35:38], v[53:54], off offset:16
	global_load_dwordx4 v[39:42], v[53:54], off
	s_waitcnt vmcnt(2)
	v_cvt_f64_f32_e32 v[51:52], v29
	v_cvt_f64_f32_e32 v[29:30], v30
	s_waitcnt vmcnt(0)
	v_fma_f64 v[29:30], v[29:30], v[39:40], v[45:46]
	v_cvt_f64_f32_e32 v[45:46], v31
	v_cvt_f64_f32_e32 v[31:32], v32
	v_fma_f64 v[43:44], v[51:52], v[39:40], v[43:44]
	v_fma_f64 v[45:46], v[45:46], v[39:40], v[47:48]
	;; [unrolled: 1-line block ×3, first 2 shown]
	v_cvt_f64_f32_e32 v[39:40], v25
	v_cvt_f64_f32_e32 v[25:26], v26
	v_fma_f64 v[39:40], v[39:40], v[41:42], v[43:44]
	v_fma_f64 v[25:26], v[25:26], v[41:42], v[29:30]
	v_cvt_f64_f32_e32 v[29:30], v27
	v_cvt_f64_f32_e32 v[27:28], v28
	v_fma_f64 v[29:30], v[29:30], v[41:42], v[45:46]
	v_fma_f64 v[27:28], v[27:28], v[41:42], v[31:32]
	;; [unrolled: 4-line block ×5, first 2 shown]
	v_cvt_f64_f32_e32 v[17:18], v19
	v_fma_f64 v[47:48], v[17:18], v[37:38], v[25:26]
	v_cvt_f64_f32_e32 v[17:18], v20
	v_fma_f64 v[49:50], v[17:18], v[37:38], v[23:24]
	global_load_dwordx2 v[17:18], v[14:15], off
	s_waitcnt vmcnt(0)
	v_sub_co_u32_e32 v35, vcc, v17, v4
	v_subb_co_u32_e32 v36, vcc, v18, v5, vcc
	global_load_dwordx4 v[17:20], v[12:13], off offset:560
	global_load_dwordx4 v[21:24], v[12:13], off offset:544
	;; [unrolled: 1-line block ×4, first 2 shown]
	v_lshlrev_b64 v[35:36], 5, v[35:36]
	v_add_co_u32_e32 v53, vcc, s10, v35
	v_addc_co_u32_e32 v54, vcc, v16, v36, vcc
	global_load_dwordx4 v[35:38], v[53:54], off offset:16
	global_load_dwordx4 v[39:42], v[53:54], off
	s_waitcnt vmcnt(2)
	v_cvt_f64_f32_e32 v[51:52], v29
	v_cvt_f64_f32_e32 v[29:30], v30
	s_waitcnt vmcnt(0)
	v_fma_f64 v[29:30], v[29:30], v[39:40], v[45:46]
	v_cvt_f64_f32_e32 v[45:46], v31
	v_cvt_f64_f32_e32 v[31:32], v32
	v_fma_f64 v[43:44], v[51:52], v[39:40], v[43:44]
	v_fma_f64 v[45:46], v[45:46], v[39:40], v[47:48]
	;; [unrolled: 1-line block ×3, first 2 shown]
	v_cvt_f64_f32_e32 v[39:40], v25
	v_cvt_f64_f32_e32 v[25:26], v26
	v_fma_f64 v[39:40], v[39:40], v[41:42], v[43:44]
	v_fma_f64 v[25:26], v[25:26], v[41:42], v[29:30]
	v_cvt_f64_f32_e32 v[29:30], v27
	v_cvt_f64_f32_e32 v[27:28], v28
	v_fma_f64 v[29:30], v[29:30], v[41:42], v[45:46]
	v_fma_f64 v[27:28], v[27:28], v[41:42], v[31:32]
	;; [unrolled: 4-line block ×5, first 2 shown]
	v_cvt_f64_f32_e32 v[17:18], v19
	v_fma_f64 v[47:48], v[17:18], v[37:38], v[25:26]
	v_cvt_f64_f32_e32 v[17:18], v20
	v_fma_f64 v[49:50], v[17:18], v[37:38], v[23:24]
	global_load_dwordx2 v[17:18], v[14:15], off offset:32
	s_waitcnt vmcnt(0)
	v_sub_co_u32_e32 v35, vcc, v17, v4
	v_subb_co_u32_e32 v36, vcc, v18, v5, vcc
	global_load_dwordx4 v[17:20], v[12:13], off offset:816
	global_load_dwordx4 v[21:24], v[12:13], off offset:800
	;; [unrolled: 1-line block ×4, first 2 shown]
	v_lshlrev_b64 v[35:36], 5, v[35:36]
	v_add_co_u32_e32 v53, vcc, s10, v35
	v_addc_co_u32_e32 v54, vcc, v16, v36, vcc
	global_load_dwordx4 v[35:38], v[53:54], off offset:16
	global_load_dwordx4 v[39:42], v[53:54], off
	v_add_co_u32_e32 v12, vcc, s8, v12
	v_addc_co_u32_e32 v13, vcc, 0, v13, vcc
	v_add_co_u32_e32 v0, vcc, 16, v0
	v_addc_co_u32_e32 v1, vcc, 0, v1, vcc
	;; [unrolled: 2-line block ×3, first 2 shown]
	v_cmp_ge_i64_e32 vcc, v[0:1], v[6:7]
	s_or_b64 s[6:7], vcc, s[6:7]
	s_waitcnt vmcnt(2)
	v_cvt_f64_f32_e32 v[51:52], v29
	v_cvt_f64_f32_e32 v[29:30], v30
	s_waitcnt vmcnt(0)
	v_fma_f64 v[43:44], v[51:52], v[39:40], v[43:44]
	v_fma_f64 v[29:30], v[29:30], v[39:40], v[45:46]
	v_cvt_f64_f32_e32 v[45:46], v31
	v_cvt_f64_f32_e32 v[31:32], v32
	v_fma_f64 v[45:46], v[45:46], v[39:40], v[47:48]
	v_fma_f64 v[31:32], v[31:32], v[39:40], v[49:50]
	v_cvt_f64_f32_e32 v[39:40], v25
	v_cvt_f64_f32_e32 v[25:26], v26
	;; [unrolled: 4-line block ×6, first 2 shown]
	v_fma_f64 v[26:27], v[23:24], v[37:38], v[31:32]
	v_fma_f64 v[24:25], v[17:18], v[37:38], v[21:22]
	v_cvt_f64_f32_e32 v[17:18], v19
	v_fma_f64 v[22:23], v[17:18], v[37:38], v[29:30]
	v_cvt_f64_f32_e32 v[17:18], v20
	v_fma_f64 v[20:21], v[17:18], v[37:38], v[35:36]
	s_andn2_b64 exec, exec, s[6:7]
	s_cbranch_execnz .LBB160_35
; %bb.36:
	s_or_b64 exec, exec, s[6:7]
.LBB160_37:
	s_or_b64 exec, exec, s[0:1]
.LBB160_38:
	s_or_b64 exec, exec, s[2:3]
.LBB160_39:
	v_mov_b32_dpp v0, v26 row_shr:1 row_mask:0xf bank_mask:0xf
	v_mov_b32_dpp v1, v27 row_shr:1 row_mask:0xf bank_mask:0xf
	;; [unrolled: 1-line block ×8, first 2 shown]
	v_add_f64 v[0:1], v[26:27], v[0:1]
	v_add_f64 v[4:5], v[24:25], v[4:5]
	;; [unrolled: 1-line block ×4, first 2 shown]
	v_cmp_eq_u32_e32 vcc, 3, v34
	v_mov_b32_dpp v20, v0 row_shr:2 row_mask:0xf bank_mask:0xf
	v_mov_b32_dpp v21, v1 row_shr:2 row_mask:0xf bank_mask:0xf
	;; [unrolled: 1-line block ×8, first 2 shown]
	s_and_b64 exec, exec, vcc
	s_cbranch_execz .LBB160_10
; %bb.40:
	v_add_f64 v[0:1], v[0:1], v[20:21]
	v_add_f64 v[18:19], v[4:5], v[18:19]
	;; [unrolled: 1-line block ×4, first 2 shown]
	v_cmp_eq_f64_e32 vcc, 0, v[8:9]
	s_load_dwordx2 s[0:1], s[4:5], 0x58
	v_lshlrev_b64 v[10:11], 5, v[10:11]
	v_mul_f64 v[4:5], v[2:3], v[0:1]
	v_mul_f64 v[6:7], v[2:3], v[18:19]
	;; [unrolled: 1-line block ×4, first 2 shown]
	s_and_saveexec_b64 s[2:3], vcc
	s_xor_b64 s[2:3], exec, s[2:3]
	s_cbranch_execz .LBB160_42
; %bb.41:
	s_waitcnt lgkmcnt(0)
	v_mov_b32_e32 v9, s1
	v_add_co_u32_e32 v8, vcc, s0, v10
	v_addc_co_u32_e32 v9, vcc, v9, v11, vcc
	global_store_dwordx4 v[8:9], v[4:7], off
	global_store_dwordx4 v[8:9], v[0:3], off offset:16
                                        ; implicit-def: $vgpr10_vgpr11
                                        ; implicit-def: $vgpr8_vgpr9
                                        ; implicit-def: $vgpr4_vgpr5
                                        ; implicit-def: $vgpr0_vgpr1
.LBB160_42:
	s_andn2_saveexec_b64 s[2:3], s[2:3]
	s_cbranch_execz .LBB160_10
; %bb.43:
	s_waitcnt lgkmcnt(0)
	v_mov_b32_e32 v12, s1
	v_add_co_u32_e32 v18, vcc, s0, v10
	v_addc_co_u32_e32 v19, vcc, v12, v11, vcc
	global_load_dwordx4 v[10:13], v[18:19], off
	global_load_dwordx4 v[14:17], v[18:19], off offset:16
	s_waitcnt vmcnt(1)
	v_fma_f64 v[4:5], v[8:9], v[10:11], v[4:5]
	v_fma_f64 v[6:7], v[8:9], v[12:13], v[6:7]
	s_waitcnt vmcnt(0)
	v_fma_f64 v[0:1], v[8:9], v[14:15], v[0:1]
	v_fma_f64 v[2:3], v[8:9], v[16:17], v[2:3]
	global_store_dwordx4 v[18:19], v[4:7], off
	global_store_dwordx4 v[18:19], v[0:3], off offset:16
	s_endpgm
	.section	.rodata,"a",@progbits
	.p2align	6, 0x0
	.amdhsa_kernel _ZN9rocsparseL18bsrxmvn_4x4_kernelILj128ELj4EdllfddEEvT3_20rocsparse_direction_NS_24const_host_device_scalarIT1_EES1_PKS1_PKT2_SA_S7_PKT4_PKT5_S5_PT6_21rocsparse_index_base_b
		.amdhsa_group_segment_fixed_size 0
		.amdhsa_private_segment_fixed_size 0
		.amdhsa_kernarg_size 104
		.amdhsa_user_sgpr_count 6
		.amdhsa_user_sgpr_private_segment_buffer 1
		.amdhsa_user_sgpr_dispatch_ptr 0
		.amdhsa_user_sgpr_queue_ptr 0
		.amdhsa_user_sgpr_kernarg_segment_ptr 1
		.amdhsa_user_sgpr_dispatch_id 0
		.amdhsa_user_sgpr_flat_scratch_init 0
		.amdhsa_user_sgpr_private_segment_size 0
		.amdhsa_uses_dynamic_stack 0
		.amdhsa_system_sgpr_private_segment_wavefront_offset 0
		.amdhsa_system_sgpr_workgroup_id_x 1
		.amdhsa_system_sgpr_workgroup_id_y 0
		.amdhsa_system_sgpr_workgroup_id_z 0
		.amdhsa_system_sgpr_workgroup_info 0
		.amdhsa_system_vgpr_workitem_id 0
		.amdhsa_next_free_vgpr 63
		.amdhsa_next_free_sgpr 21
		.amdhsa_reserve_vcc 1
		.amdhsa_reserve_flat_scratch 0
		.amdhsa_float_round_mode_32 0
		.amdhsa_float_round_mode_16_64 0
		.amdhsa_float_denorm_mode_32 3
		.amdhsa_float_denorm_mode_16_64 3
		.amdhsa_dx10_clamp 1
		.amdhsa_ieee_mode 1
		.amdhsa_fp16_overflow 0
		.amdhsa_exception_fp_ieee_invalid_op 0
		.amdhsa_exception_fp_denorm_src 0
		.amdhsa_exception_fp_ieee_div_zero 0
		.amdhsa_exception_fp_ieee_overflow 0
		.amdhsa_exception_fp_ieee_underflow 0
		.amdhsa_exception_fp_ieee_inexact 0
		.amdhsa_exception_int_div_zero 0
	.end_amdhsa_kernel
	.section	.text._ZN9rocsparseL18bsrxmvn_4x4_kernelILj128ELj4EdllfddEEvT3_20rocsparse_direction_NS_24const_host_device_scalarIT1_EES1_PKS1_PKT2_SA_S7_PKT4_PKT5_S5_PT6_21rocsparse_index_base_b,"axG",@progbits,_ZN9rocsparseL18bsrxmvn_4x4_kernelILj128ELj4EdllfddEEvT3_20rocsparse_direction_NS_24const_host_device_scalarIT1_EES1_PKS1_PKT2_SA_S7_PKT4_PKT5_S5_PT6_21rocsparse_index_base_b,comdat
.Lfunc_end160:
	.size	_ZN9rocsparseL18bsrxmvn_4x4_kernelILj128ELj4EdllfddEEvT3_20rocsparse_direction_NS_24const_host_device_scalarIT1_EES1_PKS1_PKT2_SA_S7_PKT4_PKT5_S5_PT6_21rocsparse_index_base_b, .Lfunc_end160-_ZN9rocsparseL18bsrxmvn_4x4_kernelILj128ELj4EdllfddEEvT3_20rocsparse_direction_NS_24const_host_device_scalarIT1_EES1_PKS1_PKT2_SA_S7_PKT4_PKT5_S5_PT6_21rocsparse_index_base_b
                                        ; -- End function
	.set _ZN9rocsparseL18bsrxmvn_4x4_kernelILj128ELj4EdllfddEEvT3_20rocsparse_direction_NS_24const_host_device_scalarIT1_EES1_PKS1_PKT2_SA_S7_PKT4_PKT5_S5_PT6_21rocsparse_index_base_b.num_vgpr, 63
	.set _ZN9rocsparseL18bsrxmvn_4x4_kernelILj128ELj4EdllfddEEvT3_20rocsparse_direction_NS_24const_host_device_scalarIT1_EES1_PKS1_PKT2_SA_S7_PKT4_PKT5_S5_PT6_21rocsparse_index_base_b.num_agpr, 0
	.set _ZN9rocsparseL18bsrxmvn_4x4_kernelILj128ELj4EdllfddEEvT3_20rocsparse_direction_NS_24const_host_device_scalarIT1_EES1_PKS1_PKT2_SA_S7_PKT4_PKT5_S5_PT6_21rocsparse_index_base_b.numbered_sgpr, 21
	.set _ZN9rocsparseL18bsrxmvn_4x4_kernelILj128ELj4EdllfddEEvT3_20rocsparse_direction_NS_24const_host_device_scalarIT1_EES1_PKS1_PKT2_SA_S7_PKT4_PKT5_S5_PT6_21rocsparse_index_base_b.num_named_barrier, 0
	.set _ZN9rocsparseL18bsrxmvn_4x4_kernelILj128ELj4EdllfddEEvT3_20rocsparse_direction_NS_24const_host_device_scalarIT1_EES1_PKS1_PKT2_SA_S7_PKT4_PKT5_S5_PT6_21rocsparse_index_base_b.private_seg_size, 0
	.set _ZN9rocsparseL18bsrxmvn_4x4_kernelILj128ELj4EdllfddEEvT3_20rocsparse_direction_NS_24const_host_device_scalarIT1_EES1_PKS1_PKT2_SA_S7_PKT4_PKT5_S5_PT6_21rocsparse_index_base_b.uses_vcc, 1
	.set _ZN9rocsparseL18bsrxmvn_4x4_kernelILj128ELj4EdllfddEEvT3_20rocsparse_direction_NS_24const_host_device_scalarIT1_EES1_PKS1_PKT2_SA_S7_PKT4_PKT5_S5_PT6_21rocsparse_index_base_b.uses_flat_scratch, 0
	.set _ZN9rocsparseL18bsrxmvn_4x4_kernelILj128ELj4EdllfddEEvT3_20rocsparse_direction_NS_24const_host_device_scalarIT1_EES1_PKS1_PKT2_SA_S7_PKT4_PKT5_S5_PT6_21rocsparse_index_base_b.has_dyn_sized_stack, 0
	.set _ZN9rocsparseL18bsrxmvn_4x4_kernelILj128ELj4EdllfddEEvT3_20rocsparse_direction_NS_24const_host_device_scalarIT1_EES1_PKS1_PKT2_SA_S7_PKT4_PKT5_S5_PT6_21rocsparse_index_base_b.has_recursion, 0
	.set _ZN9rocsparseL18bsrxmvn_4x4_kernelILj128ELj4EdllfddEEvT3_20rocsparse_direction_NS_24const_host_device_scalarIT1_EES1_PKS1_PKT2_SA_S7_PKT4_PKT5_S5_PT6_21rocsparse_index_base_b.has_indirect_call, 0
	.section	.AMDGPU.csdata,"",@progbits
; Kernel info:
; codeLenInByte = 4680
; TotalNumSgprs: 25
; NumVgprs: 63
; ScratchSize: 0
; MemoryBound: 0
; FloatMode: 240
; IeeeMode: 1
; LDSByteSize: 0 bytes/workgroup (compile time only)
; SGPRBlocks: 3
; VGPRBlocks: 15
; NumSGPRsForWavesPerEU: 25
; NumVGPRsForWavesPerEU: 63
; Occupancy: 4
; WaveLimiterHint : 1
; COMPUTE_PGM_RSRC2:SCRATCH_EN: 0
; COMPUTE_PGM_RSRC2:USER_SGPR: 6
; COMPUTE_PGM_RSRC2:TRAP_HANDLER: 0
; COMPUTE_PGM_RSRC2:TGID_X_EN: 1
; COMPUTE_PGM_RSRC2:TGID_Y_EN: 0
; COMPUTE_PGM_RSRC2:TGID_Z_EN: 0
; COMPUTE_PGM_RSRC2:TIDIG_COMP_CNT: 0
	.section	.text._ZN9rocsparseL18bsrxmvn_4x4_kernelILj128ELj8EdllfddEEvT3_20rocsparse_direction_NS_24const_host_device_scalarIT1_EES1_PKS1_PKT2_SA_S7_PKT4_PKT5_S5_PT6_21rocsparse_index_base_b,"axG",@progbits,_ZN9rocsparseL18bsrxmvn_4x4_kernelILj128ELj8EdllfddEEvT3_20rocsparse_direction_NS_24const_host_device_scalarIT1_EES1_PKS1_PKT2_SA_S7_PKT4_PKT5_S5_PT6_21rocsparse_index_base_b,comdat
	.globl	_ZN9rocsparseL18bsrxmvn_4x4_kernelILj128ELj8EdllfddEEvT3_20rocsparse_direction_NS_24const_host_device_scalarIT1_EES1_PKS1_PKT2_SA_S7_PKT4_PKT5_S5_PT6_21rocsparse_index_base_b ; -- Begin function _ZN9rocsparseL18bsrxmvn_4x4_kernelILj128ELj8EdllfddEEvT3_20rocsparse_direction_NS_24const_host_device_scalarIT1_EES1_PKS1_PKT2_SA_S7_PKT4_PKT5_S5_PT6_21rocsparse_index_base_b
	.p2align	8
	.type	_ZN9rocsparseL18bsrxmvn_4x4_kernelILj128ELj8EdllfddEEvT3_20rocsparse_direction_NS_24const_host_device_scalarIT1_EES1_PKS1_PKT2_SA_S7_PKT4_PKT5_S5_PT6_21rocsparse_index_base_b,@function
_ZN9rocsparseL18bsrxmvn_4x4_kernelILj128ELj8EdllfddEEvT3_20rocsparse_direction_NS_24const_host_device_scalarIT1_EES1_PKS1_PKT2_SA_S7_PKT4_PKT5_S5_PT6_21rocsparse_index_base_b: ; @_ZN9rocsparseL18bsrxmvn_4x4_kernelILj128ELj8EdllfddEEvT3_20rocsparse_direction_NS_24const_host_device_scalarIT1_EES1_PKS1_PKT2_SA_S7_PKT4_PKT5_S5_PT6_21rocsparse_index_base_b
; %bb.0:
	s_load_dwordx2 s[8:9], s[4:5], 0x60
	s_load_dwordx4 s[0:3], s[4:5], 0x10
	s_load_dwordx2 s[10:11], s[4:5], 0x50
	s_waitcnt lgkmcnt(0)
	s_bitcmp1_b32 s9, 0
	s_cselect_b64 s[14:15], -1, 0
	v_mov_b32_e32 v3, s1
	s_xor_b64 s[12:13], s[14:15], -1
	s_and_b64 vcc, exec, s[14:15]
	v_mov_b32_e32 v2, s0
	s_cbranch_vccnz .LBB161_2
; %bb.1:
	v_mov_b32_e32 v2, s1
	v_mov_b32_e32 v1, s0
	flat_load_dwordx2 v[2:3], v[1:2]
.LBB161_2:
	v_mov_b32_e32 v8, s10
	s_andn2_b64 vcc, exec, s[12:13]
	v_mov_b32_e32 v9, s11
	s_cbranch_vccnz .LBB161_4
; %bb.3:
	v_mov_b32_e32 v4, s10
	v_mov_b32_e32 v5, s11
	flat_load_dwordx2 v[8:9], v[4:5]
.LBB161_4:
	s_waitcnt vmcnt(0) lgkmcnt(0)
	v_cmp_neq_f64_e32 vcc, 0, v[2:3]
	v_cmp_neq_f64_e64 s[0:1], 1.0, v[8:9]
	s_mov_b64 s[10:11], 0
	s_or_b64 s[0:1], vcc, s[0:1]
	s_and_saveexec_b64 s[12:13], s[0:1]
	s_cbranch_execz .LBB161_10
; %bb.5:
	s_load_dwordx2 s[12:13], s[4:5], 0x20
	v_lshrrev_b32_e32 v1, 3, v0
	v_lshl_or_b32 v6, s6, 4, v1
	v_mov_b32_e32 v7, 0
	s_mov_b64 s[0:1], 0
	s_waitcnt lgkmcnt(0)
	s_cmp_lg_u64 s[12:13], 0
	s_cbranch_scc0 .LBB161_11
; %bb.6:
	v_cmp_gt_i64_e32 vcc, s[2:3], v[6:7]
                                        ; implicit-def: $vgpr10_vgpr11
                                        ; implicit-def: $vgpr4_vgpr5
	s_and_saveexec_b64 s[2:3], vcc
	s_xor_b64 s[2:3], exec, s[2:3]
	s_cbranch_execz .LBB161_8
; %bb.7:
	v_lshlrev_b64 v[4:5], 3, v[6:7]
	v_mov_b32_e32 v1, s13
	v_add_co_u32_e32 v4, vcc, s12, v4
	v_addc_co_u32_e32 v5, vcc, v1, v5, vcc
	global_load_dwordx2 v[4:5], v[4:5], off
	s_mov_b32 s9, 0
	s_mov_b64 s[0:1], exec
	s_waitcnt vmcnt(0)
	v_subrev_co_u32_e32 v10, vcc, s8, v4
	v_subbrev_co_u32_e32 v11, vcc, 0, v5, vcc
	v_mov_b32_e32 v4, s8
	v_mov_b32_e32 v5, s9
.LBB161_8:
	s_or_b64 exec, exec, s[2:3]
	s_mov_b64 s[10:11], s[0:1]
.LBB161_9:
	s_and_b64 exec, exec, s[10:11]
	s_cbranch_execnz .LBB161_15
.LBB161_10:
	s_endpgm
.LBB161_11:
                                        ; implicit-def: $vgpr10_vgpr11
                                        ; implicit-def: $vgpr4_vgpr5
	s_cbranch_execz .LBB161_9
; %bb.12:
	s_load_dwordx2 s[0:1], s[4:5], 0x0
	s_waitcnt lgkmcnt(0)
	v_cmp_gt_i64_e32 vcc, s[0:1], v[6:7]
	s_and_saveexec_b64 s[0:1], vcc
; %bb.13:
	s_mov_b32 s9, 0
	s_or_b64 s[10:11], s[10:11], exec
; %bb.14:
	s_or_b64 exec, exec, s[0:1]
	v_mov_b32_e32 v4, s8
	v_mov_b32_e32 v11, v7
	;; [unrolled: 1-line block ×4, first 2 shown]
	s_and_b64 exec, exec, s[10:11]
	s_cbranch_execz .LBB161_10
.LBB161_15:
	s_load_dwordx8 s[8:15], s[4:5], 0x28
	v_lshlrev_b64 v[6:7], 3, v[10:11]
	v_and_b32_e32 v34, 7, v0
	s_waitcnt lgkmcnt(0)
	v_mov_b32_e32 v1, s9
	v_add_co_u32_e32 v12, vcc, s8, v6
	v_addc_co_u32_e32 v13, vcc, v1, v7, vcc
	v_add_co_u32_e32 v1, vcc, 8, v12
	global_load_dwordx2 v[14:15], v[12:13], off
	v_addc_co_u32_e32 v12, vcc, 0, v13, vcc
	v_mov_b32_e32 v13, s11
	v_add_co_u32_e32 v6, vcc, s10, v6
	s_cmp_eq_u64 s[10:11], 0
	v_addc_co_u32_e32 v7, vcc, v13, v7, vcc
	s_cselect_b64 vcc, -1, 0
	v_cndmask_b32_e32 v7, v7, v12, vcc
	v_cndmask_b32_e32 v6, v6, v1, vcc
	global_load_dwordx2 v[6:7], v[6:7], off
	s_load_dword s0, s[4:5], 0x8
	s_load_dwordx2 s[10:11], s[4:5], 0x48
	v_mov_b32_e32 v16, s15
	s_waitcnt lgkmcnt(0)
	s_cmp_eq_u32 s0, 1
	s_waitcnt vmcnt(1)
	v_sub_co_u32_e32 v0, vcc, v14, v4
	v_subb_co_u32_e32 v1, vcc, v15, v5, vcc
	v_add_co_u32_e32 v0, vcc, v0, v34
	v_addc_co_u32_e32 v1, vcc, 0, v1, vcc
	v_lshlrev_b64 v[12:13], 6, v[0:1]
	s_waitcnt vmcnt(0)
	v_sub_co_u32_e32 v6, vcc, v6, v4
	v_subb_co_u32_e32 v7, vcc, v7, v5, vcc
	v_cmp_lt_i64_e64 s[0:1], v[0:1], v[6:7]
	v_add_co_u32_e32 v12, vcc, s14, v12
	v_addc_co_u32_e32 v13, vcc, v16, v13, vcc
	s_cbranch_scc1 .LBB161_27
; %bb.16:
	v_mov_b32_e32 v20, 0
	v_mov_b32_e32 v22, 0
	;; [unrolled: 1-line block ×8, first 2 shown]
	s_and_saveexec_b64 s[14:15], s[0:1]
	s_cbranch_execz .LBB161_26
; %bb.17:
	v_or_b32_e32 v16, 8, v34
	v_sub_co_u32_e32 v16, vcc, v16, v4
	v_subb_co_u32_e32 v17, vcc, 0, v5, vcc
	v_add_co_u32_e32 v16, vcc, v16, v14
	v_addc_co_u32_e32 v17, vcc, v17, v15, vcc
	v_cmp_gt_i64_e32 vcc, v[16:17], v[6:7]
	v_not_b32_e32 v19, v14
	v_cndmask_b32_e32 v17, v7, v17, vcc
	v_cndmask_b32_e32 v16, v6, v16, vcc
	v_sub_co_u32_e32 v20, vcc, v4, v34
	v_subbrev_co_u32_e32 v21, vcc, 0, v5, vcc
	v_not_b32_e32 v18, v15
	v_add_co_u32_e32 v19, vcc, v20, v19
	v_addc_co_u32_e32 v18, vcc, v21, v18, vcc
	v_add_co_u32_e32 v28, vcc, v19, v16
	v_addc_co_u32_e32 v29, vcc, v18, v17, vcc
	v_and_b32_e32 v16, 24, v28
	v_mov_b32_e32 v17, 0
	v_cmp_ne_u64_e32 vcc, 24, v[16:17]
	v_mov_b32_e32 v26, 0
	v_mov_b32_e32 v24, 0
	;; [unrolled: 1-line block ×12, first 2 shown]
	s_and_saveexec_b64 s[16:17], vcc
	s_cbranch_execz .LBB161_21
; %bb.18:
	v_lshrrev_b32_e32 v16, 3, v28
	v_add_u32_e32 v16, 1, v16
	v_and_b32_e32 v18, 3, v16
	v_lshlrev_b64 v[16:17], 3, v[0:1]
	v_mov_b32_e32 v19, s13
	v_add_co_u32_e32 v30, vcc, s12, v16
	v_addc_co_u32_e32 v31, vcc, v19, v17, vcc
	v_sub_co_u32_e32 v32, vcc, 0, v18
	v_mov_b32_e32 v20, 0
	v_mov_b32_e32 v17, v13
	;; [unrolled: 1-line block ×6, first 2 shown]
	s_mov_b64 s[18:19], 0
	v_subb_co_u32_e64 v33, s[2:3], 0, 0, vcc
	v_mov_b32_e32 v21, 0
	s_movk_i32 s20, 0x200
	v_mov_b32_e32 v16, v12
	v_mov_b32_e32 v23, 0
	;; [unrolled: 1-line block ×5, first 2 shown]
.LBB161_19:                             ; =>This Inner Loop Header: Depth=1
	global_load_dwordx2 v[43:44], v[30:31], off
	global_load_dwordx4 v[35:38], v[16:17], off
	global_load_dwordx4 v[39:42], v[16:17], off offset:16
	v_mov_b32_e32 v45, s11
	v_add_co_u32_e64 v18, s[2:3], 8, v18
	v_add_co_u32_e64 v30, s[6:7], 64, v30
	;; [unrolled: 1-line block ×3, first 2 shown]
	v_addc_co_u32_e64 v19, s[2:3], 0, v19, s[2:3]
	v_addc_co_u32_e64 v31, s[2:3], 0, v31, s[6:7]
	;; [unrolled: 1-line block ×3, first 2 shown]
	v_cmp_eq_u64_e64 s[2:3], 0, v[32:33]
	s_or_b64 s[18:19], s[2:3], s[18:19]
	s_waitcnt vmcnt(2)
	v_sub_co_u32_e32 v43, vcc, v43, v4
	v_subb_co_u32_e32 v44, vcc, v44, v5, vcc
	v_lshlrev_b64 v[43:44], 5, v[43:44]
	s_waitcnt vmcnt(1)
	v_cvt_f64_f32_e32 v[47:48], v35
	v_add_co_u32_e32 v51, vcc, s10, v43
	v_addc_co_u32_e32 v52, vcc, v45, v44, vcc
	global_load_dwordx4 v[43:46], v[51:52], off
	s_waitcnt vmcnt(1)
	v_cvt_f64_f32_e32 v[49:50], v39
	v_cvt_f64_f32_e32 v[35:36], v36
	s_waitcnt vmcnt(0)
	v_fma_f64 v[53:54], v[47:48], v[43:44], v[26:27]
	v_fma_f64 v[55:56], v[49:50], v[43:44], v[24:25]
	global_load_dwordx4 v[24:27], v[16:17], off offset:32
	s_waitcnt vmcnt(0)
	v_cvt_f64_f32_e32 v[47:48], v24
	v_cvt_f64_f32_e32 v[24:25], v25
	v_fma_f64 v[22:23], v[47:48], v[43:44], v[22:23]
	global_load_dwordx4 v[47:50], v[16:17], off offset:48
	v_add_co_u32_e32 v16, vcc, s20, v16
	v_addc_co_u32_e32 v17, vcc, 0, v17, vcc
	v_fma_f64 v[22:23], v[24:25], v[45:46], v[22:23]
	s_waitcnt vmcnt(0)
	v_cvt_f64_f32_e32 v[57:58], v47
	v_cvt_f64_f32_e32 v[24:25], v48
	v_fma_f64 v[20:21], v[57:58], v[43:44], v[20:21]
	v_fma_f64 v[43:44], v[35:36], v[45:46], v[53:54]
	v_cvt_f64_f32_e32 v[35:36], v40
	v_fma_f64 v[39:40], v[35:36], v[45:46], v[55:56]
	v_fma_f64 v[20:21], v[24:25], v[45:46], v[20:21]
	v_cvt_f64_f32_e32 v[24:25], v37
	v_cvt_f64_f32_e32 v[45:46], v38
	global_load_dwordx4 v[35:38], v[51:52], off offset:16
	s_waitcnt vmcnt(0)
	v_fma_f64 v[24:25], v[24:25], v[35:36], v[43:44]
	v_cvt_f64_f32_e32 v[43:44], v41
	v_fma_f64 v[39:40], v[43:44], v[35:36], v[39:40]
	v_cvt_f64_f32_e32 v[43:44], v26
	;; [unrolled: 2-line block ×4, first 2 shown]
	v_cvt_f64_f32_e32 v[41:42], v27
	v_cvt_f64_f32_e32 v[43:44], v50
	v_fma_f64 v[26:27], v[45:46], v[37:38], v[24:25]
	v_fma_f64 v[24:25], v[35:36], v[37:38], v[39:40]
	;; [unrolled: 1-line block ×4, first 2 shown]
	s_andn2_b64 exec, exec, s[18:19]
	s_cbranch_execnz .LBB161_19
; %bb.20:
	s_or_b64 exec, exec, s[18:19]
.LBB161_21:
	s_or_b64 exec, exec, s[16:17]
	v_cmp_lt_u64_e32 vcc, 23, v[28:29]
	s_and_saveexec_b64 s[2:3], vcc
	s_cbranch_execz .LBB161_25
; %bb.22:
	v_lshlrev_b64 v[28:29], 3, v[18:19]
	v_mov_b32_e32 v30, s13
	v_add_co_u32_e32 v28, vcc, s12, v28
	v_addc_co_u32_e32 v29, vcc, v30, v29, vcc
	v_add_co_u32_e32 v28, vcc, 0x80, v28
	v_addc_co_u32_e32 v29, vcc, 0, v29, vcc
	s_mov_b64 s[6:7], 0
	v_mov_b32_e32 v30, s11
	s_movk_i32 s8, 0x800
.LBB161_23:                             ; =>This Inner Loop Header: Depth=1
	global_load_dwordx2 v[31:32], v[28:29], off offset:-128
	global_load_dwordx4 v[35:38], v[16:17], off offset:48
	global_load_dwordx4 v[39:42], v[16:17], off offset:32
	;; [unrolled: 1-line block ×3, first 2 shown]
	global_load_dwordx4 v[47:50], v[16:17], off
	s_waitcnt vmcnt(4)
	v_sub_co_u32_e32 v31, vcc, v31, v4
	v_subb_co_u32_e32 v32, vcc, v32, v5, vcc
	v_lshlrev_b64 v[31:32], 5, v[31:32]
	s_waitcnt vmcnt(0)
	v_cvt_f64_f32_e32 v[59:60], v47
	v_add_co_u32_e32 v31, vcc, s10, v31
	v_addc_co_u32_e32 v32, vcc, v30, v32, vcc
	global_load_dwordx4 v[51:54], v[31:32], off offset:16
	global_load_dwordx4 v[55:58], v[31:32], off
	v_cvt_f64_f32_e32 v[31:32], v48
	s_waitcnt vmcnt(0)
	v_fma_f64 v[26:27], v[59:60], v[55:56], v[26:27]
	v_fma_f64 v[26:27], v[31:32], v[57:58], v[26:27]
	v_cvt_f64_f32_e32 v[31:32], v49
	v_fma_f64 v[26:27], v[31:32], v[51:52], v[26:27]
	v_cvt_f64_f32_e32 v[31:32], v50
	;; [unrolled: 2-line block ×14, first 2 shown]
	v_fma_f64 v[51:52], v[22:23], v[53:54], v[20:21]
	global_load_dwordx2 v[20:21], v[28:29], off offset:-64
	s_waitcnt vmcnt(0)
	v_sub_co_u32_e32 v43, vcc, v20, v4
	v_subb_co_u32_e32 v44, vcc, v21, v5, vcc
	global_load_dwordx4 v[20:23], v[16:17], off offset:560
	global_load_dwordx4 v[24:27], v[16:17], off offset:544
	;; [unrolled: 1-line block ×4, first 2 shown]
	v_lshlrev_b64 v[43:44], 5, v[43:44]
	v_add_co_u32_e32 v55, vcc, s10, v43
	v_addc_co_u32_e32 v56, vcc, v30, v44, vcc
	global_load_dwordx4 v[43:46], v[55:56], off offset:16
	global_load_dwordx4 v[47:50], v[55:56], off
	s_waitcnt vmcnt(2)
	v_cvt_f64_f32_e32 v[53:54], v39
	v_cvt_f64_f32_e32 v[39:40], v40
	s_waitcnt vmcnt(0)
	v_fma_f64 v[31:32], v[53:54], v[47:48], v[31:32]
	v_fma_f64 v[31:32], v[39:40], v[49:50], v[31:32]
	v_cvt_f64_f32_e32 v[39:40], v41
	v_fma_f64 v[31:32], v[39:40], v[43:44], v[31:32]
	v_cvt_f64_f32_e32 v[39:40], v42
	;; [unrolled: 2-line block ×3, first 2 shown]
	v_cvt_f64_f32_e32 v[35:36], v36
	v_fma_f64 v[39:40], v[39:40], v[47:48], v[59:60]
	v_fma_f64 v[35:36], v[35:36], v[49:50], v[39:40]
	v_cvt_f64_f32_e32 v[39:40], v37
	v_cvt_f64_f32_e32 v[37:38], v38
	v_fma_f64 v[35:36], v[39:40], v[43:44], v[35:36]
	v_fma_f64 v[53:54], v[37:38], v[45:46], v[35:36]
	v_cvt_f64_f32_e32 v[35:36], v24
	;; [unrolled: 4-line block ×5, first 2 shown]
	v_cvt_f64_f32_e32 v[22:23], v23
	v_fma_f64 v[20:21], v[24:25], v[43:44], v[20:21]
	v_fma_f64 v[51:52], v[22:23], v[45:46], v[20:21]
	global_load_dwordx2 v[20:21], v[28:29], off
	s_waitcnt vmcnt(0)
	v_sub_co_u32_e32 v43, vcc, v20, v4
	v_subb_co_u32_e32 v44, vcc, v21, v5, vcc
	global_load_dwordx4 v[20:23], v[16:17], off offset:1072
	global_load_dwordx4 v[24:27], v[16:17], off offset:1056
	;; [unrolled: 1-line block ×4, first 2 shown]
	v_lshlrev_b64 v[43:44], 5, v[43:44]
	v_add_co_u32_e32 v59, vcc, s10, v43
	v_addc_co_u32_e32 v60, vcc, v30, v44, vcc
	global_load_dwordx4 v[43:46], v[59:60], off offset:16
	global_load_dwordx4 v[47:50], v[59:60], off
	s_waitcnt vmcnt(2)
	v_cvt_f64_f32_e32 v[57:58], v39
	v_cvt_f64_f32_e32 v[39:40], v40
	s_waitcnt vmcnt(0)
	v_fma_f64 v[31:32], v[57:58], v[47:48], v[31:32]
	v_fma_f64 v[31:32], v[39:40], v[49:50], v[31:32]
	v_cvt_f64_f32_e32 v[39:40], v41
	v_fma_f64 v[31:32], v[39:40], v[43:44], v[31:32]
	v_cvt_f64_f32_e32 v[39:40], v42
	;; [unrolled: 2-line block ×3, first 2 shown]
	v_cvt_f64_f32_e32 v[35:36], v36
	v_fma_f64 v[39:40], v[39:40], v[47:48], v[53:54]
	v_fma_f64 v[35:36], v[35:36], v[49:50], v[39:40]
	v_cvt_f64_f32_e32 v[39:40], v37
	v_cvt_f64_f32_e32 v[37:38], v38
	v_fma_f64 v[35:36], v[39:40], v[43:44], v[35:36]
	v_fma_f64 v[53:54], v[37:38], v[45:46], v[35:36]
	v_cvt_f64_f32_e32 v[35:36], v24
	;; [unrolled: 4-line block ×5, first 2 shown]
	v_cvt_f64_f32_e32 v[22:23], v23
	v_fma_f64 v[20:21], v[24:25], v[43:44], v[20:21]
	v_fma_f64 v[51:52], v[22:23], v[45:46], v[20:21]
	global_load_dwordx2 v[20:21], v[28:29], off offset:64
	s_waitcnt vmcnt(0)
	v_sub_co_u32_e32 v43, vcc, v20, v4
	v_subb_co_u32_e32 v44, vcc, v21, v5, vcc
	global_load_dwordx4 v[35:38], v[16:17], off offset:1584
	global_load_dwordx4 v[20:23], v[16:17], off offset:1568
	;; [unrolled: 1-line block ×4, first 2 shown]
	v_lshlrev_b64 v[43:44], 5, v[43:44]
	v_add_co_u32_e32 v59, vcc, s10, v43
	v_addc_co_u32_e32 v60, vcc, v30, v44, vcc
	global_load_dwordx4 v[43:46], v[59:60], off offset:16
	global_load_dwordx4 v[47:50], v[59:60], off
	v_add_co_u32_e32 v16, vcc, s8, v16
	v_addc_co_u32_e32 v17, vcc, 0, v17, vcc
	v_add_co_u32_e32 v18, vcc, 32, v18
	v_addc_co_u32_e32 v19, vcc, 0, v19, vcc
	;; [unrolled: 2-line block ×3, first 2 shown]
	v_cmp_ge_i64_e32 vcc, v[18:19], v[6:7]
	s_or_b64 s[6:7], vcc, s[6:7]
	s_waitcnt vmcnt(2)
	v_cvt_f64_f32_e32 v[57:58], v24
	v_cvt_f64_f32_e32 v[24:25], v25
	s_waitcnt vmcnt(0)
	v_fma_f64 v[31:32], v[57:58], v[47:48], v[31:32]
	v_fma_f64 v[24:25], v[24:25], v[49:50], v[31:32]
	v_cvt_f64_f32_e32 v[31:32], v26
	v_cvt_f64_f32_e32 v[26:27], v27
	v_fma_f64 v[24:25], v[31:32], v[43:44], v[24:25]
	v_cvt_f64_f32_e32 v[31:32], v40
	v_fma_f64 v[26:27], v[26:27], v[45:46], v[24:25]
	v_cvt_f64_f32_e32 v[24:25], v39
	v_fma_f64 v[24:25], v[24:25], v[47:48], v[53:54]
	v_fma_f64 v[24:25], v[31:32], v[49:50], v[24:25]
	v_cvt_f64_f32_e32 v[31:32], v41
	v_fma_f64 v[24:25], v[31:32], v[43:44], v[24:25]
	v_cvt_f64_f32_e32 v[31:32], v42
	;; [unrolled: 2-line block ×3, first 2 shown]
	v_cvt_f64_f32_e32 v[20:21], v21
	v_fma_f64 v[31:32], v[31:32], v[47:48], v[55:56]
	v_fma_f64 v[20:21], v[20:21], v[49:50], v[31:32]
	v_cvt_f64_f32_e32 v[31:32], v22
	v_cvt_f64_f32_e32 v[22:23], v23
	v_fma_f64 v[20:21], v[31:32], v[43:44], v[20:21]
	v_cvt_f64_f32_e32 v[31:32], v36
	v_fma_f64 v[22:23], v[22:23], v[45:46], v[20:21]
	;; [unrolled: 2-line block ×3, first 2 shown]
	v_fma_f64 v[20:21], v[31:32], v[49:50], v[20:21]
	v_cvt_f64_f32_e32 v[31:32], v37
	v_fma_f64 v[20:21], v[31:32], v[43:44], v[20:21]
	v_cvt_f64_f32_e32 v[31:32], v38
	v_fma_f64 v[20:21], v[31:32], v[45:46], v[20:21]
	s_andn2_b64 exec, exec, s[6:7]
	s_cbranch_execnz .LBB161_23
; %bb.24:
	s_or_b64 exec, exec, s[6:7]
.LBB161_25:
	s_or_b64 exec, exec, s[2:3]
.LBB161_26:
	s_or_b64 exec, exec, s[14:15]
	s_cbranch_execz .LBB161_28
	s_branch .LBB161_39
.LBB161_27:
                                        ; implicit-def: $vgpr20_vgpr21
                                        ; implicit-def: $vgpr22_vgpr23
                                        ; implicit-def: $vgpr24_vgpr25
                                        ; implicit-def: $vgpr26_vgpr27
.LBB161_28:
	v_mov_b32_e32 v20, 0
	v_mov_b32_e32 v22, 0
	;; [unrolled: 1-line block ×8, first 2 shown]
	s_and_saveexec_b64 s[2:3], s[0:1]
	s_cbranch_execz .LBB161_38
; %bb.29:
	v_or_b32_e32 v16, 8, v34
	v_sub_co_u32_e32 v16, vcc, v16, v4
	v_subb_co_u32_e32 v17, vcc, 0, v5, vcc
	v_add_co_u32_e32 v16, vcc, v16, v14
	v_addc_co_u32_e32 v17, vcc, v17, v15, vcc
	v_cmp_gt_i64_e32 vcc, v[16:17], v[6:7]
	v_not_b32_e32 v14, v14
	v_cndmask_b32_e32 v17, v7, v17, vcc
	v_cndmask_b32_e32 v16, v6, v16, vcc
	v_sub_co_u32_e32 v18, vcc, v4, v34
	v_subbrev_co_u32_e32 v19, vcc, 0, v5, vcc
	v_not_b32_e32 v15, v15
	v_add_co_u32_e32 v14, vcc, v18, v14
	v_addc_co_u32_e32 v15, vcc, v19, v15, vcc
	v_add_co_u32_e32 v14, vcc, v14, v16
	v_addc_co_u32_e32 v15, vcc, v15, v17, vcc
	v_and_b32_e32 v16, 24, v14
	v_mov_b32_e32 v17, 0
	v_cmp_ne_u64_e32 vcc, 24, v[16:17]
	v_mov_b32_e32 v26, 0
	v_mov_b32_e32 v24, 0
	;; [unrolled: 1-line block ×8, first 2 shown]
	s_and_saveexec_b64 s[6:7], vcc
	s_cbranch_execz .LBB161_33
; %bb.30:
	v_lshrrev_b32_e32 v16, 3, v14
	v_add_u32_e32 v16, 1, v16
	v_and_b32_e32 v18, 3, v16
	v_lshlrev_b64 v[16:17], 3, v[0:1]
	v_mov_b32_e32 v19, s13
	v_add_co_u32_e32 v16, vcc, s12, v16
	v_addc_co_u32_e32 v17, vcc, v19, v17, vcc
	v_sub_co_u32_e32 v18, vcc, 0, v18
	v_mov_b32_e32 v20, 0
	v_mov_b32_e32 v22, 0
	;; [unrolled: 1-line block ×4, first 2 shown]
	s_mov_b64 s[8:9], 0
	v_subb_co_u32_e64 v19, s[0:1], 0, 0, vcc
	v_mov_b32_e32 v21, 0
	v_mov_b32_e32 v23, 0
	;; [unrolled: 1-line block ×4, first 2 shown]
	s_movk_i32 s14, 0x200
.LBB161_31:                             ; =>This Inner Loop Header: Depth=1
	global_load_dwordx2 v[32:33], v[16:17], off
	global_load_dwordx4 v[28:31], v[12:13], off offset:16
	global_load_dwordx4 v[35:38], v[12:13], off
	v_mov_b32_e32 v39, s11
	v_add_co_u32_e64 v0, s[0:1], 8, v0
	v_addc_co_u32_e64 v1, s[0:1], 0, v1, s[0:1]
	v_add_co_u32_e64 v16, s[0:1], 64, v16
	v_addc_co_u32_e64 v17, s[0:1], 0, v17, s[0:1]
	v_add_co_u32_e64 v18, s[0:1], 1, v18
	v_addc_co_u32_e64 v19, s[0:1], 0, v19, s[0:1]
	v_cmp_eq_u64_e64 s[0:1], 0, v[18:19]
	s_or_b64 s[8:9], s[0:1], s[8:9]
	s_waitcnt vmcnt(2)
	v_sub_co_u32_e32 v32, vcc, v32, v4
	v_subb_co_u32_e32 v33, vcc, v33, v5, vcc
	v_lshlrev_b64 v[32:33], 5, v[32:33]
	s_waitcnt vmcnt(0)
	v_cvt_f64_f32_e32 v[55:56], v37
	v_add_co_u32_e32 v32, vcc, s10, v32
	v_addc_co_u32_e32 v33, vcc, v39, v33, vcc
	global_load_dwordx4 v[39:42], v[32:33], off
	global_load_dwordx4 v[43:46], v[32:33], off offset:16
	global_load_dwordx4 v[47:50], v[12:13], off offset:32
	;; [unrolled: 1-line block ×3, first 2 shown]
	v_cvt_f64_f32_e32 v[32:33], v35
	v_cvt_f64_f32_e32 v[35:36], v36
	;; [unrolled: 1-line block ×7, first 2 shown]
	v_add_co_u32_e32 v12, vcc, s14, v12
	v_addc_co_u32_e32 v13, vcc, 0, v13, vcc
	s_waitcnt vmcnt(3)
	v_fma_f64 v[26:27], v[32:33], v[39:40], v[26:27]
	v_fma_f64 v[24:25], v[35:36], v[39:40], v[24:25]
	;; [unrolled: 1-line block ×4, first 2 shown]
	s_waitcnt vmcnt(1)
	v_cvt_f64_f32_e32 v[32:33], v47
	v_cvt_f64_f32_e32 v[35:36], v48
	s_waitcnt vmcnt(0)
	v_cvt_f64_f32_e32 v[37:38], v51
	v_fma_f64 v[26:27], v[57:58], v[41:42], v[26:27]
	v_fma_f64 v[24:25], v[28:29], v[41:42], v[24:25]
	;; [unrolled: 1-line block ×4, first 2 shown]
	v_cvt_f64_f32_e32 v[28:29], v49
	v_cvt_f64_f32_e32 v[30:31], v50
	v_fma_f64 v[26:27], v[32:33], v[43:44], v[26:27]
	v_fma_f64 v[24:25], v[35:36], v[43:44], v[24:25]
	;; [unrolled: 1-line block ×4, first 2 shown]
	v_cvt_f64_f32_e32 v[28:29], v52
	v_cvt_f64_f32_e32 v[30:31], v53
	;; [unrolled: 1-line block ×3, first 2 shown]
	v_fma_f64 v[26:27], v[37:38], v[45:46], v[26:27]
	v_fma_f64 v[24:25], v[28:29], v[45:46], v[24:25]
	;; [unrolled: 1-line block ×4, first 2 shown]
	s_andn2_b64 exec, exec, s[8:9]
	s_cbranch_execnz .LBB161_31
; %bb.32:
	s_or_b64 exec, exec, s[8:9]
.LBB161_33:
	s_or_b64 exec, exec, s[6:7]
	v_cmp_lt_u64_e32 vcc, 23, v[14:15]
	s_and_saveexec_b64 s[0:1], vcc
	s_cbranch_execz .LBB161_37
; %bb.34:
	v_lshlrev_b64 v[14:15], 3, v[0:1]
	v_mov_b32_e32 v16, s13
	v_add_co_u32_e32 v14, vcc, s12, v14
	v_addc_co_u32_e32 v15, vcc, v16, v15, vcc
	v_add_co_u32_e32 v14, vcc, 0x80, v14
	v_addc_co_u32_e32 v15, vcc, 0, v15, vcc
	s_mov_b64 s[6:7], 0
	v_mov_b32_e32 v16, s11
	s_movk_i32 s8, 0x800
.LBB161_35:                             ; =>This Inner Loop Header: Depth=1
	global_load_dwordx2 v[17:18], v[14:15], off offset:-128
	global_load_dwordx4 v[28:31], v[12:13], off offset:48
	global_load_dwordx4 v[35:38], v[12:13], off offset:32
	;; [unrolled: 1-line block ×3, first 2 shown]
	global_load_dwordx4 v[43:46], v[12:13], off
	s_waitcnt vmcnt(4)
	v_sub_co_u32_e32 v17, vcc, v17, v4
	v_subb_co_u32_e32 v18, vcc, v18, v5, vcc
	v_lshlrev_b64 v[17:18], 5, v[17:18]
	s_waitcnt vmcnt(0)
	v_cvt_f64_f32_e32 v[32:33], v43
	v_add_co_u32_e32 v17, vcc, s10, v17
	v_addc_co_u32_e32 v18, vcc, v16, v18, vcc
	global_load_dwordx4 v[47:50], v[17:18], off offset:16
	global_load_dwordx4 v[51:54], v[17:18], off
	s_waitcnt vmcnt(0)
	v_fma_f64 v[17:18], v[32:33], v[51:52], v[26:27]
	v_cvt_f64_f32_e32 v[26:27], v44
	v_fma_f64 v[24:25], v[26:27], v[51:52], v[24:25]
	v_cvt_f64_f32_e32 v[26:27], v45
	;; [unrolled: 2-line block ×15, first 2 shown]
	v_fma_f64 v[49:50], v[17:18], v[49:50], v[19:20]
	global_load_dwordx2 v[17:18], v[14:15], off offset:-64
	s_waitcnt vmcnt(0)
	v_sub_co_u32_e32 v35, vcc, v17, v4
	v_subb_co_u32_e32 v36, vcc, v18, v5, vcc
	global_load_dwordx4 v[17:20], v[12:13], off offset:560
	global_load_dwordx4 v[21:24], v[12:13], off offset:544
	;; [unrolled: 1-line block ×4, first 2 shown]
	v_lshlrev_b64 v[35:36], 5, v[35:36]
	v_add_co_u32_e32 v53, vcc, s10, v35
	v_addc_co_u32_e32 v54, vcc, v16, v36, vcc
	global_load_dwordx4 v[35:38], v[53:54], off offset:16
	global_load_dwordx4 v[39:42], v[53:54], off
	s_waitcnt vmcnt(2)
	v_cvt_f64_f32_e32 v[51:52], v29
	v_cvt_f64_f32_e32 v[29:30], v30
	s_waitcnt vmcnt(0)
	v_fma_f64 v[29:30], v[29:30], v[39:40], v[45:46]
	v_cvt_f64_f32_e32 v[45:46], v31
	v_cvt_f64_f32_e32 v[31:32], v32
	v_fma_f64 v[43:44], v[51:52], v[39:40], v[43:44]
	v_fma_f64 v[45:46], v[45:46], v[39:40], v[47:48]
	;; [unrolled: 1-line block ×3, first 2 shown]
	v_cvt_f64_f32_e32 v[39:40], v25
	v_cvt_f64_f32_e32 v[25:26], v26
	v_fma_f64 v[39:40], v[39:40], v[41:42], v[43:44]
	v_fma_f64 v[25:26], v[25:26], v[41:42], v[29:30]
	v_cvt_f64_f32_e32 v[29:30], v27
	v_cvt_f64_f32_e32 v[27:28], v28
	v_fma_f64 v[29:30], v[29:30], v[41:42], v[45:46]
	v_fma_f64 v[27:28], v[27:28], v[41:42], v[31:32]
	;; [unrolled: 4-line block ×5, first 2 shown]
	v_cvt_f64_f32_e32 v[17:18], v19
	v_fma_f64 v[47:48], v[17:18], v[37:38], v[25:26]
	v_cvt_f64_f32_e32 v[17:18], v20
	v_fma_f64 v[49:50], v[17:18], v[37:38], v[23:24]
	global_load_dwordx2 v[17:18], v[14:15], off
	s_waitcnt vmcnt(0)
	v_sub_co_u32_e32 v35, vcc, v17, v4
	v_subb_co_u32_e32 v36, vcc, v18, v5, vcc
	global_load_dwordx4 v[17:20], v[12:13], off offset:1072
	global_load_dwordx4 v[21:24], v[12:13], off offset:1056
	;; [unrolled: 1-line block ×4, first 2 shown]
	v_lshlrev_b64 v[35:36], 5, v[35:36]
	v_add_co_u32_e32 v53, vcc, s10, v35
	v_addc_co_u32_e32 v54, vcc, v16, v36, vcc
	global_load_dwordx4 v[35:38], v[53:54], off offset:16
	global_load_dwordx4 v[39:42], v[53:54], off
	s_waitcnt vmcnt(2)
	v_cvt_f64_f32_e32 v[51:52], v29
	v_cvt_f64_f32_e32 v[29:30], v30
	s_waitcnt vmcnt(0)
	v_fma_f64 v[29:30], v[29:30], v[39:40], v[45:46]
	v_cvt_f64_f32_e32 v[45:46], v31
	v_cvt_f64_f32_e32 v[31:32], v32
	v_fma_f64 v[43:44], v[51:52], v[39:40], v[43:44]
	v_fma_f64 v[45:46], v[45:46], v[39:40], v[47:48]
	;; [unrolled: 1-line block ×3, first 2 shown]
	v_cvt_f64_f32_e32 v[39:40], v25
	v_cvt_f64_f32_e32 v[25:26], v26
	v_fma_f64 v[39:40], v[39:40], v[41:42], v[43:44]
	v_fma_f64 v[25:26], v[25:26], v[41:42], v[29:30]
	v_cvt_f64_f32_e32 v[29:30], v27
	v_cvt_f64_f32_e32 v[27:28], v28
	v_fma_f64 v[29:30], v[29:30], v[41:42], v[45:46]
	v_fma_f64 v[27:28], v[27:28], v[41:42], v[31:32]
	;; [unrolled: 4-line block ×5, first 2 shown]
	v_cvt_f64_f32_e32 v[17:18], v19
	v_fma_f64 v[47:48], v[17:18], v[37:38], v[25:26]
	v_cvt_f64_f32_e32 v[17:18], v20
	v_fma_f64 v[49:50], v[17:18], v[37:38], v[23:24]
	global_load_dwordx2 v[17:18], v[14:15], off offset:64
	s_waitcnt vmcnt(0)
	v_sub_co_u32_e32 v35, vcc, v17, v4
	v_subb_co_u32_e32 v36, vcc, v18, v5, vcc
	global_load_dwordx4 v[17:20], v[12:13], off offset:1584
	global_load_dwordx4 v[21:24], v[12:13], off offset:1568
	;; [unrolled: 1-line block ×4, first 2 shown]
	v_lshlrev_b64 v[35:36], 5, v[35:36]
	v_add_co_u32_e32 v53, vcc, s10, v35
	v_addc_co_u32_e32 v54, vcc, v16, v36, vcc
	global_load_dwordx4 v[35:38], v[53:54], off offset:16
	global_load_dwordx4 v[39:42], v[53:54], off
	v_add_co_u32_e32 v12, vcc, s8, v12
	v_addc_co_u32_e32 v13, vcc, 0, v13, vcc
	v_add_co_u32_e32 v0, vcc, 32, v0
	v_addc_co_u32_e32 v1, vcc, 0, v1, vcc
	;; [unrolled: 2-line block ×3, first 2 shown]
	v_cmp_ge_i64_e32 vcc, v[0:1], v[6:7]
	s_or_b64 s[6:7], vcc, s[6:7]
	s_waitcnt vmcnt(2)
	v_cvt_f64_f32_e32 v[51:52], v29
	v_cvt_f64_f32_e32 v[29:30], v30
	s_waitcnt vmcnt(0)
	v_fma_f64 v[43:44], v[51:52], v[39:40], v[43:44]
	v_fma_f64 v[29:30], v[29:30], v[39:40], v[45:46]
	v_cvt_f64_f32_e32 v[45:46], v31
	v_cvt_f64_f32_e32 v[31:32], v32
	v_fma_f64 v[45:46], v[45:46], v[39:40], v[47:48]
	v_fma_f64 v[31:32], v[31:32], v[39:40], v[49:50]
	v_cvt_f64_f32_e32 v[39:40], v25
	v_cvt_f64_f32_e32 v[25:26], v26
	;; [unrolled: 4-line block ×6, first 2 shown]
	v_fma_f64 v[26:27], v[23:24], v[37:38], v[31:32]
	v_fma_f64 v[24:25], v[17:18], v[37:38], v[21:22]
	v_cvt_f64_f32_e32 v[17:18], v19
	v_fma_f64 v[22:23], v[17:18], v[37:38], v[29:30]
	v_cvt_f64_f32_e32 v[17:18], v20
	v_fma_f64 v[20:21], v[17:18], v[37:38], v[35:36]
	s_andn2_b64 exec, exec, s[6:7]
	s_cbranch_execnz .LBB161_35
; %bb.36:
	s_or_b64 exec, exec, s[6:7]
.LBB161_37:
	s_or_b64 exec, exec, s[0:1]
.LBB161_38:
	s_or_b64 exec, exec, s[2:3]
.LBB161_39:
	v_mov_b32_dpp v0, v26 row_shr:1 row_mask:0xf bank_mask:0xf
	v_mov_b32_dpp v1, v27 row_shr:1 row_mask:0xf bank_mask:0xf
	v_add_f64 v[0:1], v[26:27], v[0:1]
	v_mov_b32_dpp v4, v24 row_shr:1 row_mask:0xf bank_mask:0xf
	v_mov_b32_dpp v5, v25 row_shr:1 row_mask:0xf bank_mask:0xf
	;; [unrolled: 1-line block ×4, first 2 shown]
	v_add_f64 v[4:5], v[24:25], v[4:5]
	v_add_f64 v[6:7], v[22:23], v[6:7]
	v_mov_b32_dpp v14, v20 row_shr:1 row_mask:0xf bank_mask:0xf
	v_mov_b32_dpp v15, v21 row_shr:1 row_mask:0xf bank_mask:0xf
	v_add_f64 v[14:15], v[20:21], v[14:15]
	v_mov_b32_dpp v12, v0 row_shr:2 row_mask:0xf bank_mask:0xf
	v_mov_b32_dpp v13, v1 row_shr:2 row_mask:0xf bank_mask:0xf
	;; [unrolled: 3-line block ×6, first 2 shown]
	v_mov_b32_dpp v18, v4 row_shr:4 row_mask:0xf bank_mask:0xe
	v_mov_b32_dpp v19, v5 row_shr:4 row_mask:0xf bank_mask:0xe
	;; [unrolled: 1-line block ×4, first 2 shown]
	v_cmp_eq_u32_e32 vcc, 7, v34
	v_mov_b32_dpp v14, v12 row_shr:4 row_mask:0xf bank_mask:0xe
	v_mov_b32_dpp v15, v13 row_shr:4 row_mask:0xf bank_mask:0xe
	s_and_b64 exec, exec, vcc
	s_cbranch_execz .LBB161_10
; %bb.40:
	v_add_f64 v[0:1], v[0:1], v[20:21]
	v_add_f64 v[18:19], v[4:5], v[18:19]
	;; [unrolled: 1-line block ×4, first 2 shown]
	v_cmp_eq_f64_e32 vcc, 0, v[8:9]
	s_load_dwordx2 s[0:1], s[4:5], 0x58
	v_lshlrev_b64 v[10:11], 5, v[10:11]
	v_mul_f64 v[4:5], v[2:3], v[0:1]
	v_mul_f64 v[6:7], v[2:3], v[18:19]
	;; [unrolled: 1-line block ×4, first 2 shown]
	s_and_saveexec_b64 s[2:3], vcc
	s_xor_b64 s[2:3], exec, s[2:3]
	s_cbranch_execz .LBB161_42
; %bb.41:
	s_waitcnt lgkmcnt(0)
	v_mov_b32_e32 v9, s1
	v_add_co_u32_e32 v8, vcc, s0, v10
	v_addc_co_u32_e32 v9, vcc, v9, v11, vcc
	global_store_dwordx4 v[8:9], v[4:7], off
	global_store_dwordx4 v[8:9], v[0:3], off offset:16
                                        ; implicit-def: $vgpr10_vgpr11
                                        ; implicit-def: $vgpr8_vgpr9
                                        ; implicit-def: $vgpr4_vgpr5
                                        ; implicit-def: $vgpr0_vgpr1
.LBB161_42:
	s_andn2_saveexec_b64 s[2:3], s[2:3]
	s_cbranch_execz .LBB161_10
; %bb.43:
	s_waitcnt lgkmcnt(0)
	v_mov_b32_e32 v12, s1
	v_add_co_u32_e32 v18, vcc, s0, v10
	v_addc_co_u32_e32 v19, vcc, v12, v11, vcc
	global_load_dwordx4 v[10:13], v[18:19], off
	global_load_dwordx4 v[14:17], v[18:19], off offset:16
	s_waitcnt vmcnt(1)
	v_fma_f64 v[4:5], v[8:9], v[10:11], v[4:5]
	v_fma_f64 v[6:7], v[8:9], v[12:13], v[6:7]
	s_waitcnt vmcnt(0)
	v_fma_f64 v[0:1], v[8:9], v[14:15], v[0:1]
	v_fma_f64 v[2:3], v[8:9], v[16:17], v[2:3]
	global_store_dwordx4 v[18:19], v[4:7], off
	global_store_dwordx4 v[18:19], v[0:3], off offset:16
	s_endpgm
	.section	.rodata,"a",@progbits
	.p2align	6, 0x0
	.amdhsa_kernel _ZN9rocsparseL18bsrxmvn_4x4_kernelILj128ELj8EdllfddEEvT3_20rocsparse_direction_NS_24const_host_device_scalarIT1_EES1_PKS1_PKT2_SA_S7_PKT4_PKT5_S5_PT6_21rocsparse_index_base_b
		.amdhsa_group_segment_fixed_size 0
		.amdhsa_private_segment_fixed_size 0
		.amdhsa_kernarg_size 104
		.amdhsa_user_sgpr_count 6
		.amdhsa_user_sgpr_private_segment_buffer 1
		.amdhsa_user_sgpr_dispatch_ptr 0
		.amdhsa_user_sgpr_queue_ptr 0
		.amdhsa_user_sgpr_kernarg_segment_ptr 1
		.amdhsa_user_sgpr_dispatch_id 0
		.amdhsa_user_sgpr_flat_scratch_init 0
		.amdhsa_user_sgpr_private_segment_size 0
		.amdhsa_uses_dynamic_stack 0
		.amdhsa_system_sgpr_private_segment_wavefront_offset 0
		.amdhsa_system_sgpr_workgroup_id_x 1
		.amdhsa_system_sgpr_workgroup_id_y 0
		.amdhsa_system_sgpr_workgroup_id_z 0
		.amdhsa_system_sgpr_workgroup_info 0
		.amdhsa_system_vgpr_workitem_id 0
		.amdhsa_next_free_vgpr 63
		.amdhsa_next_free_sgpr 21
		.amdhsa_reserve_vcc 1
		.amdhsa_reserve_flat_scratch 0
		.amdhsa_float_round_mode_32 0
		.amdhsa_float_round_mode_16_64 0
		.amdhsa_float_denorm_mode_32 3
		.amdhsa_float_denorm_mode_16_64 3
		.amdhsa_dx10_clamp 1
		.amdhsa_ieee_mode 1
		.amdhsa_fp16_overflow 0
		.amdhsa_exception_fp_ieee_invalid_op 0
		.amdhsa_exception_fp_denorm_src 0
		.amdhsa_exception_fp_ieee_div_zero 0
		.amdhsa_exception_fp_ieee_overflow 0
		.amdhsa_exception_fp_ieee_underflow 0
		.amdhsa_exception_fp_ieee_inexact 0
		.amdhsa_exception_int_div_zero 0
	.end_amdhsa_kernel
	.section	.text._ZN9rocsparseL18bsrxmvn_4x4_kernelILj128ELj8EdllfddEEvT3_20rocsparse_direction_NS_24const_host_device_scalarIT1_EES1_PKS1_PKT2_SA_S7_PKT4_PKT5_S5_PT6_21rocsparse_index_base_b,"axG",@progbits,_ZN9rocsparseL18bsrxmvn_4x4_kernelILj128ELj8EdllfddEEvT3_20rocsparse_direction_NS_24const_host_device_scalarIT1_EES1_PKS1_PKT2_SA_S7_PKT4_PKT5_S5_PT6_21rocsparse_index_base_b,comdat
.Lfunc_end161:
	.size	_ZN9rocsparseL18bsrxmvn_4x4_kernelILj128ELj8EdllfddEEvT3_20rocsparse_direction_NS_24const_host_device_scalarIT1_EES1_PKS1_PKT2_SA_S7_PKT4_PKT5_S5_PT6_21rocsparse_index_base_b, .Lfunc_end161-_ZN9rocsparseL18bsrxmvn_4x4_kernelILj128ELj8EdllfddEEvT3_20rocsparse_direction_NS_24const_host_device_scalarIT1_EES1_PKS1_PKT2_SA_S7_PKT4_PKT5_S5_PT6_21rocsparse_index_base_b
                                        ; -- End function
	.set _ZN9rocsparseL18bsrxmvn_4x4_kernelILj128ELj8EdllfddEEvT3_20rocsparse_direction_NS_24const_host_device_scalarIT1_EES1_PKS1_PKT2_SA_S7_PKT4_PKT5_S5_PT6_21rocsparse_index_base_b.num_vgpr, 63
	.set _ZN9rocsparseL18bsrxmvn_4x4_kernelILj128ELj8EdllfddEEvT3_20rocsparse_direction_NS_24const_host_device_scalarIT1_EES1_PKS1_PKT2_SA_S7_PKT4_PKT5_S5_PT6_21rocsparse_index_base_b.num_agpr, 0
	.set _ZN9rocsparseL18bsrxmvn_4x4_kernelILj128ELj8EdllfddEEvT3_20rocsparse_direction_NS_24const_host_device_scalarIT1_EES1_PKS1_PKT2_SA_S7_PKT4_PKT5_S5_PT6_21rocsparse_index_base_b.numbered_sgpr, 21
	.set _ZN9rocsparseL18bsrxmvn_4x4_kernelILj128ELj8EdllfddEEvT3_20rocsparse_direction_NS_24const_host_device_scalarIT1_EES1_PKS1_PKT2_SA_S7_PKT4_PKT5_S5_PT6_21rocsparse_index_base_b.num_named_barrier, 0
	.set _ZN9rocsparseL18bsrxmvn_4x4_kernelILj128ELj8EdllfddEEvT3_20rocsparse_direction_NS_24const_host_device_scalarIT1_EES1_PKS1_PKT2_SA_S7_PKT4_PKT5_S5_PT6_21rocsparse_index_base_b.private_seg_size, 0
	.set _ZN9rocsparseL18bsrxmvn_4x4_kernelILj128ELj8EdllfddEEvT3_20rocsparse_direction_NS_24const_host_device_scalarIT1_EES1_PKS1_PKT2_SA_S7_PKT4_PKT5_S5_PT6_21rocsparse_index_base_b.uses_vcc, 1
	.set _ZN9rocsparseL18bsrxmvn_4x4_kernelILj128ELj8EdllfddEEvT3_20rocsparse_direction_NS_24const_host_device_scalarIT1_EES1_PKS1_PKT2_SA_S7_PKT4_PKT5_S5_PT6_21rocsparse_index_base_b.uses_flat_scratch, 0
	.set _ZN9rocsparseL18bsrxmvn_4x4_kernelILj128ELj8EdllfddEEvT3_20rocsparse_direction_NS_24const_host_device_scalarIT1_EES1_PKS1_PKT2_SA_S7_PKT4_PKT5_S5_PT6_21rocsparse_index_base_b.has_dyn_sized_stack, 0
	.set _ZN9rocsparseL18bsrxmvn_4x4_kernelILj128ELj8EdllfddEEvT3_20rocsparse_direction_NS_24const_host_device_scalarIT1_EES1_PKS1_PKT2_SA_S7_PKT4_PKT5_S5_PT6_21rocsparse_index_base_b.has_recursion, 0
	.set _ZN9rocsparseL18bsrxmvn_4x4_kernelILj128ELj8EdllfddEEvT3_20rocsparse_direction_NS_24const_host_device_scalarIT1_EES1_PKS1_PKT2_SA_S7_PKT4_PKT5_S5_PT6_21rocsparse_index_base_b.has_indirect_call, 0
	.section	.AMDGPU.csdata,"",@progbits
; Kernel info:
; codeLenInByte = 4784
; TotalNumSgprs: 25
; NumVgprs: 63
; ScratchSize: 0
; MemoryBound: 0
; FloatMode: 240
; IeeeMode: 1
; LDSByteSize: 0 bytes/workgroup (compile time only)
; SGPRBlocks: 3
; VGPRBlocks: 15
; NumSGPRsForWavesPerEU: 25
; NumVGPRsForWavesPerEU: 63
; Occupancy: 4
; WaveLimiterHint : 1
; COMPUTE_PGM_RSRC2:SCRATCH_EN: 0
; COMPUTE_PGM_RSRC2:USER_SGPR: 6
; COMPUTE_PGM_RSRC2:TRAP_HANDLER: 0
; COMPUTE_PGM_RSRC2:TGID_X_EN: 1
; COMPUTE_PGM_RSRC2:TGID_Y_EN: 0
; COMPUTE_PGM_RSRC2:TGID_Z_EN: 0
; COMPUTE_PGM_RSRC2:TIDIG_COMP_CNT: 0
	.section	.text._ZN9rocsparseL18bsrxmvn_4x4_kernelILj128ELj16EdllfddEEvT3_20rocsparse_direction_NS_24const_host_device_scalarIT1_EES1_PKS1_PKT2_SA_S7_PKT4_PKT5_S5_PT6_21rocsparse_index_base_b,"axG",@progbits,_ZN9rocsparseL18bsrxmvn_4x4_kernelILj128ELj16EdllfddEEvT3_20rocsparse_direction_NS_24const_host_device_scalarIT1_EES1_PKS1_PKT2_SA_S7_PKT4_PKT5_S5_PT6_21rocsparse_index_base_b,comdat
	.globl	_ZN9rocsparseL18bsrxmvn_4x4_kernelILj128ELj16EdllfddEEvT3_20rocsparse_direction_NS_24const_host_device_scalarIT1_EES1_PKS1_PKT2_SA_S7_PKT4_PKT5_S5_PT6_21rocsparse_index_base_b ; -- Begin function _ZN9rocsparseL18bsrxmvn_4x4_kernelILj128ELj16EdllfddEEvT3_20rocsparse_direction_NS_24const_host_device_scalarIT1_EES1_PKS1_PKT2_SA_S7_PKT4_PKT5_S5_PT6_21rocsparse_index_base_b
	.p2align	8
	.type	_ZN9rocsparseL18bsrxmvn_4x4_kernelILj128ELj16EdllfddEEvT3_20rocsparse_direction_NS_24const_host_device_scalarIT1_EES1_PKS1_PKT2_SA_S7_PKT4_PKT5_S5_PT6_21rocsparse_index_base_b,@function
_ZN9rocsparseL18bsrxmvn_4x4_kernelILj128ELj16EdllfddEEvT3_20rocsparse_direction_NS_24const_host_device_scalarIT1_EES1_PKS1_PKT2_SA_S7_PKT4_PKT5_S5_PT6_21rocsparse_index_base_b: ; @_ZN9rocsparseL18bsrxmvn_4x4_kernelILj128ELj16EdllfddEEvT3_20rocsparse_direction_NS_24const_host_device_scalarIT1_EES1_PKS1_PKT2_SA_S7_PKT4_PKT5_S5_PT6_21rocsparse_index_base_b
; %bb.0:
	s_load_dwordx2 s[8:9], s[4:5], 0x60
	s_load_dwordx4 s[0:3], s[4:5], 0x10
	s_load_dwordx2 s[10:11], s[4:5], 0x50
	s_waitcnt lgkmcnt(0)
	s_bitcmp1_b32 s9, 0
	s_cselect_b64 s[14:15], -1, 0
	v_mov_b32_e32 v3, s1
	s_xor_b64 s[12:13], s[14:15], -1
	s_and_b64 vcc, exec, s[14:15]
	v_mov_b32_e32 v2, s0
	s_cbranch_vccnz .LBB162_2
; %bb.1:
	v_mov_b32_e32 v2, s1
	v_mov_b32_e32 v1, s0
	flat_load_dwordx2 v[2:3], v[1:2]
.LBB162_2:
	v_mov_b32_e32 v8, s10
	s_andn2_b64 vcc, exec, s[12:13]
	v_mov_b32_e32 v9, s11
	s_cbranch_vccnz .LBB162_4
; %bb.3:
	v_mov_b32_e32 v4, s10
	v_mov_b32_e32 v5, s11
	flat_load_dwordx2 v[8:9], v[4:5]
.LBB162_4:
	s_waitcnt vmcnt(0) lgkmcnt(0)
	v_cmp_neq_f64_e32 vcc, 0, v[2:3]
	v_cmp_neq_f64_e64 s[0:1], 1.0, v[8:9]
	s_mov_b64 s[10:11], 0
	s_or_b64 s[0:1], vcc, s[0:1]
	s_and_saveexec_b64 s[12:13], s[0:1]
	s_cbranch_execz .LBB162_10
; %bb.5:
	s_load_dwordx2 s[12:13], s[4:5], 0x20
	v_lshrrev_b32_e32 v1, 4, v0
	v_lshl_or_b32 v6, s6, 3, v1
	v_mov_b32_e32 v7, 0
	s_mov_b64 s[0:1], 0
	s_waitcnt lgkmcnt(0)
	s_cmp_lg_u64 s[12:13], 0
	s_cbranch_scc0 .LBB162_11
; %bb.6:
	v_cmp_gt_i64_e32 vcc, s[2:3], v[6:7]
                                        ; implicit-def: $vgpr10_vgpr11
                                        ; implicit-def: $vgpr4_vgpr5
	s_and_saveexec_b64 s[2:3], vcc
	s_xor_b64 s[2:3], exec, s[2:3]
	s_cbranch_execz .LBB162_8
; %bb.7:
	v_lshlrev_b64 v[4:5], 3, v[6:7]
	v_mov_b32_e32 v1, s13
	v_add_co_u32_e32 v4, vcc, s12, v4
	v_addc_co_u32_e32 v5, vcc, v1, v5, vcc
	global_load_dwordx2 v[4:5], v[4:5], off
	s_mov_b32 s9, 0
	s_mov_b64 s[0:1], exec
	s_waitcnt vmcnt(0)
	v_subrev_co_u32_e32 v10, vcc, s8, v4
	v_subbrev_co_u32_e32 v11, vcc, 0, v5, vcc
	v_mov_b32_e32 v4, s8
	v_mov_b32_e32 v5, s9
.LBB162_8:
	s_or_b64 exec, exec, s[2:3]
	s_mov_b64 s[10:11], s[0:1]
.LBB162_9:
	s_and_b64 exec, exec, s[10:11]
	s_cbranch_execnz .LBB162_15
.LBB162_10:
	s_endpgm
.LBB162_11:
                                        ; implicit-def: $vgpr10_vgpr11
                                        ; implicit-def: $vgpr4_vgpr5
	s_cbranch_execz .LBB162_9
; %bb.12:
	s_load_dwordx2 s[0:1], s[4:5], 0x0
	s_waitcnt lgkmcnt(0)
	v_cmp_gt_i64_e32 vcc, s[0:1], v[6:7]
	s_and_saveexec_b64 s[0:1], vcc
; %bb.13:
	s_mov_b32 s9, 0
	s_or_b64 s[10:11], s[10:11], exec
; %bb.14:
	s_or_b64 exec, exec, s[0:1]
	v_mov_b32_e32 v4, s8
	v_mov_b32_e32 v11, v7
	;; [unrolled: 1-line block ×4, first 2 shown]
	s_and_b64 exec, exec, s[10:11]
	s_cbranch_execz .LBB162_10
.LBB162_15:
	s_load_dwordx8 s[8:15], s[4:5], 0x28
	v_lshlrev_b64 v[6:7], 3, v[10:11]
	v_and_b32_e32 v34, 15, v0
	s_waitcnt lgkmcnt(0)
	v_mov_b32_e32 v1, s9
	v_add_co_u32_e32 v12, vcc, s8, v6
	v_addc_co_u32_e32 v13, vcc, v1, v7, vcc
	v_add_co_u32_e32 v1, vcc, 8, v12
	global_load_dwordx2 v[14:15], v[12:13], off
	v_addc_co_u32_e32 v12, vcc, 0, v13, vcc
	v_mov_b32_e32 v13, s11
	v_add_co_u32_e32 v6, vcc, s10, v6
	s_cmp_eq_u64 s[10:11], 0
	v_addc_co_u32_e32 v7, vcc, v13, v7, vcc
	s_cselect_b64 vcc, -1, 0
	v_cndmask_b32_e32 v7, v7, v12, vcc
	v_cndmask_b32_e32 v6, v6, v1, vcc
	global_load_dwordx2 v[6:7], v[6:7], off
	s_load_dword s0, s[4:5], 0x8
	s_load_dwordx2 s[8:9], s[4:5], 0x48
	v_mov_b32_e32 v16, s15
	s_waitcnt lgkmcnt(0)
	s_cmp_eq_u32 s0, 1
	s_waitcnt vmcnt(1)
	v_sub_co_u32_e32 v0, vcc, v14, v4
	v_subb_co_u32_e32 v1, vcc, v15, v5, vcc
	v_add_co_u32_e32 v0, vcc, v0, v34
	v_addc_co_u32_e32 v1, vcc, 0, v1, vcc
	v_lshlrev_b64 v[12:13], 6, v[0:1]
	s_waitcnt vmcnt(0)
	v_sub_co_u32_e32 v6, vcc, v6, v4
	v_subb_co_u32_e32 v7, vcc, v7, v5, vcc
	v_cmp_lt_i64_e64 s[0:1], v[0:1], v[6:7]
	v_add_co_u32_e32 v12, vcc, s14, v12
	v_addc_co_u32_e32 v13, vcc, v16, v13, vcc
	s_cbranch_scc1 .LBB162_27
; %bb.16:
	v_mov_b32_e32 v20, 0
	v_mov_b32_e32 v22, 0
	;; [unrolled: 1-line block ×8, first 2 shown]
	s_and_saveexec_b64 s[10:11], s[0:1]
	s_cbranch_execz .LBB162_26
; %bb.17:
	v_or_b32_e32 v16, 16, v34
	v_sub_co_u32_e32 v16, vcc, v16, v4
	v_subb_co_u32_e32 v17, vcc, 0, v5, vcc
	v_add_co_u32_e32 v16, vcc, v16, v14
	v_addc_co_u32_e32 v17, vcc, v17, v15, vcc
	v_cmp_gt_i64_e32 vcc, v[16:17], v[6:7]
	v_not_b32_e32 v19, v14
	v_cndmask_b32_e32 v17, v7, v17, vcc
	v_cndmask_b32_e32 v16, v6, v16, vcc
	v_sub_co_u32_e32 v20, vcc, v4, v34
	v_subbrev_co_u32_e32 v21, vcc, 0, v5, vcc
	v_not_b32_e32 v18, v15
	v_add_co_u32_e32 v19, vcc, v20, v19
	v_addc_co_u32_e32 v18, vcc, v21, v18, vcc
	v_add_co_u32_e32 v28, vcc, v19, v16
	v_addc_co_u32_e32 v29, vcc, v18, v17, vcc
	v_and_b32_e32 v16, 48, v28
	v_mov_b32_e32 v17, 0
	v_cmp_ne_u64_e32 vcc, 48, v[16:17]
	v_mov_b32_e32 v26, 0
	v_mov_b32_e32 v24, 0
	;; [unrolled: 1-line block ×12, first 2 shown]
	s_and_saveexec_b64 s[14:15], vcc
	s_cbranch_execz .LBB162_21
; %bb.18:
	v_lshrrev_b32_e32 v16, 4, v28
	v_add_u32_e32 v16, 1, v16
	v_and_b32_e32 v18, 3, v16
	v_lshlrev_b64 v[16:17], 3, v[0:1]
	v_mov_b32_e32 v19, s13
	v_add_co_u32_e32 v30, vcc, s12, v16
	v_addc_co_u32_e32 v31, vcc, v19, v17, vcc
	v_sub_co_u32_e32 v32, vcc, 0, v18
	v_mov_b32_e32 v20, 0
	v_mov_b32_e32 v17, v13
	;; [unrolled: 1-line block ×6, first 2 shown]
	s_mov_b64 s[16:17], 0
	v_subb_co_u32_e64 v33, s[2:3], 0, 0, vcc
	v_mov_b32_e32 v21, 0
	s_movk_i32 s18, 0x400
	v_mov_b32_e32 v16, v12
	v_mov_b32_e32 v23, 0
	;; [unrolled: 1-line block ×5, first 2 shown]
.LBB162_19:                             ; =>This Inner Loop Header: Depth=1
	global_load_dwordx2 v[43:44], v[30:31], off
	global_load_dwordx4 v[35:38], v[16:17], off
	global_load_dwordx4 v[39:42], v[16:17], off offset:16
	v_mov_b32_e32 v45, s9
	v_add_co_u32_e64 v32, s[6:7], 1, v32
	s_waitcnt vmcnt(2)
	v_sub_co_u32_e32 v43, vcc, v43, v4
	v_subb_co_u32_e32 v44, vcc, v44, v5, vcc
	v_lshlrev_b64 v[43:44], 5, v[43:44]
	s_waitcnt vmcnt(1)
	v_cvt_f64_f32_e32 v[47:48], v35
	v_add_co_u32_e32 v51, vcc, s8, v43
	v_addc_co_u32_e32 v52, vcc, v45, v44, vcc
	global_load_dwordx4 v[43:46], v[51:52], off
	s_waitcnt vmcnt(1)
	v_cvt_f64_f32_e32 v[49:50], v39
	v_cvt_f64_f32_e32 v[35:36], v36
	s_waitcnt vmcnt(0)
	v_fma_f64 v[53:54], v[47:48], v[43:44], v[26:27]
	v_fma_f64 v[55:56], v[49:50], v[43:44], v[24:25]
	global_load_dwordx4 v[24:27], v[16:17], off offset:32
	s_waitcnt vmcnt(0)
	v_cvt_f64_f32_e32 v[47:48], v24
	v_cvt_f64_f32_e32 v[24:25], v25
	v_fma_f64 v[22:23], v[47:48], v[43:44], v[22:23]
	global_load_dwordx4 v[47:50], v[16:17], off offset:48
	v_add_co_u32_e32 v16, vcc, s18, v16
	s_mov_b64 s[2:3], vcc
	v_add_co_u32_e32 v18, vcc, 16, v18
	v_addc_co_u32_e32 v19, vcc, 0, v19, vcc
	v_fma_f64 v[22:23], v[24:25], v[45:46], v[22:23]
	v_addc_co_u32_e64 v33, vcc, 0, v33, s[6:7]
	v_cmp_eq_u64_e64 s[6:7], 0, v[32:33]
	v_add_co_u32_e32 v30, vcc, 0x80, v30
	v_addc_co_u32_e64 v17, s[2:3], 0, v17, s[2:3]
	s_or_b64 s[16:17], s[6:7], s[16:17]
	v_addc_co_u32_e32 v31, vcc, 0, v31, vcc
	s_waitcnt vmcnt(0)
	v_cvt_f64_f32_e32 v[57:58], v47
	v_cvt_f64_f32_e32 v[24:25], v48
	v_fma_f64 v[20:21], v[57:58], v[43:44], v[20:21]
	v_fma_f64 v[43:44], v[35:36], v[45:46], v[53:54]
	v_cvt_f64_f32_e32 v[35:36], v40
	v_fma_f64 v[39:40], v[35:36], v[45:46], v[55:56]
	v_fma_f64 v[20:21], v[24:25], v[45:46], v[20:21]
	v_cvt_f64_f32_e32 v[24:25], v37
	v_cvt_f64_f32_e32 v[45:46], v38
	global_load_dwordx4 v[35:38], v[51:52], off offset:16
	s_waitcnt vmcnt(0)
	v_fma_f64 v[24:25], v[24:25], v[35:36], v[43:44]
	v_cvt_f64_f32_e32 v[43:44], v41
	v_fma_f64 v[39:40], v[43:44], v[35:36], v[39:40]
	v_cvt_f64_f32_e32 v[43:44], v26
	;; [unrolled: 2-line block ×4, first 2 shown]
	v_cvt_f64_f32_e32 v[41:42], v27
	v_cvt_f64_f32_e32 v[43:44], v50
	v_fma_f64 v[26:27], v[45:46], v[37:38], v[24:25]
	v_fma_f64 v[24:25], v[35:36], v[37:38], v[39:40]
	;; [unrolled: 1-line block ×4, first 2 shown]
	s_andn2_b64 exec, exec, s[16:17]
	s_cbranch_execnz .LBB162_19
; %bb.20:
	s_or_b64 exec, exec, s[16:17]
.LBB162_21:
	s_or_b64 exec, exec, s[14:15]
	v_cmp_lt_u64_e32 vcc, 47, v[28:29]
	s_and_saveexec_b64 s[2:3], vcc
	s_cbranch_execz .LBB162_25
; %bb.22:
	v_lshlrev_b64 v[28:29], 3, v[18:19]
	v_mov_b32_e32 v30, s13
	v_add_co_u32_e32 v28, vcc, s12, v28
	v_addc_co_u32_e32 v29, vcc, v30, v29, vcc
	v_add_co_u32_e32 v28, vcc, 0x100, v28
	v_addc_co_u32_e32 v29, vcc, 0, v29, vcc
	s_mov_b64 s[6:7], 0
	v_mov_b32_e32 v30, s9
	s_movk_i32 s14, 0x1000
.LBB162_23:                             ; =>This Inner Loop Header: Depth=1
	global_load_dwordx2 v[31:32], v[28:29], off offset:-256
	global_load_dwordx4 v[35:38], v[16:17], off offset:48
	global_load_dwordx4 v[39:42], v[16:17], off offset:32
	;; [unrolled: 1-line block ×3, first 2 shown]
	global_load_dwordx4 v[47:50], v[16:17], off
	s_waitcnt vmcnt(4)
	v_sub_co_u32_e32 v31, vcc, v31, v4
	v_subb_co_u32_e32 v32, vcc, v32, v5, vcc
	v_lshlrev_b64 v[31:32], 5, v[31:32]
	s_waitcnt vmcnt(0)
	v_cvt_f64_f32_e32 v[59:60], v47
	v_add_co_u32_e32 v31, vcc, s8, v31
	v_addc_co_u32_e32 v32, vcc, v30, v32, vcc
	global_load_dwordx4 v[51:54], v[31:32], off offset:16
	global_load_dwordx4 v[55:58], v[31:32], off
	v_cvt_f64_f32_e32 v[31:32], v48
	s_waitcnt vmcnt(0)
	v_fma_f64 v[26:27], v[59:60], v[55:56], v[26:27]
	v_fma_f64 v[26:27], v[31:32], v[57:58], v[26:27]
	v_cvt_f64_f32_e32 v[31:32], v49
	v_fma_f64 v[26:27], v[31:32], v[51:52], v[26:27]
	v_cvt_f64_f32_e32 v[31:32], v50
	;; [unrolled: 2-line block ×14, first 2 shown]
	v_fma_f64 v[51:52], v[22:23], v[53:54], v[20:21]
	global_load_dwordx2 v[20:21], v[28:29], off offset:-128
	s_waitcnt vmcnt(0)
	v_sub_co_u32_e32 v43, vcc, v20, v4
	v_subb_co_u32_e32 v44, vcc, v21, v5, vcc
	global_load_dwordx4 v[20:23], v[16:17], off offset:1072
	global_load_dwordx4 v[24:27], v[16:17], off offset:1056
	;; [unrolled: 1-line block ×4, first 2 shown]
	v_lshlrev_b64 v[43:44], 5, v[43:44]
	v_add_co_u32_e32 v55, vcc, s8, v43
	v_addc_co_u32_e32 v56, vcc, v30, v44, vcc
	global_load_dwordx4 v[43:46], v[55:56], off offset:16
	global_load_dwordx4 v[47:50], v[55:56], off
	s_waitcnt vmcnt(2)
	v_cvt_f64_f32_e32 v[53:54], v39
	v_cvt_f64_f32_e32 v[39:40], v40
	s_waitcnt vmcnt(0)
	v_fma_f64 v[31:32], v[53:54], v[47:48], v[31:32]
	v_fma_f64 v[31:32], v[39:40], v[49:50], v[31:32]
	v_cvt_f64_f32_e32 v[39:40], v41
	v_fma_f64 v[31:32], v[39:40], v[43:44], v[31:32]
	v_cvt_f64_f32_e32 v[39:40], v42
	;; [unrolled: 2-line block ×3, first 2 shown]
	v_cvt_f64_f32_e32 v[35:36], v36
	v_fma_f64 v[39:40], v[39:40], v[47:48], v[59:60]
	v_fma_f64 v[35:36], v[35:36], v[49:50], v[39:40]
	v_cvt_f64_f32_e32 v[39:40], v37
	v_cvt_f64_f32_e32 v[37:38], v38
	v_fma_f64 v[35:36], v[39:40], v[43:44], v[35:36]
	v_fma_f64 v[53:54], v[37:38], v[45:46], v[35:36]
	v_cvt_f64_f32_e32 v[35:36], v24
	;; [unrolled: 4-line block ×5, first 2 shown]
	v_cvt_f64_f32_e32 v[22:23], v23
	v_fma_f64 v[20:21], v[24:25], v[43:44], v[20:21]
	v_fma_f64 v[51:52], v[22:23], v[45:46], v[20:21]
	global_load_dwordx2 v[20:21], v[28:29], off
	s_waitcnt vmcnt(0)
	v_sub_co_u32_e32 v43, vcc, v20, v4
	v_subb_co_u32_e32 v44, vcc, v21, v5, vcc
	global_load_dwordx4 v[20:23], v[16:17], off offset:2096
	global_load_dwordx4 v[24:27], v[16:17], off offset:2080
	;; [unrolled: 1-line block ×4, first 2 shown]
	v_lshlrev_b64 v[43:44], 5, v[43:44]
	v_add_co_u32_e32 v59, vcc, s8, v43
	v_addc_co_u32_e32 v60, vcc, v30, v44, vcc
	global_load_dwordx4 v[43:46], v[59:60], off offset:16
	global_load_dwordx4 v[47:50], v[59:60], off
	s_waitcnt vmcnt(2)
	v_cvt_f64_f32_e32 v[57:58], v39
	v_cvt_f64_f32_e32 v[39:40], v40
	s_waitcnt vmcnt(0)
	v_fma_f64 v[31:32], v[57:58], v[47:48], v[31:32]
	v_fma_f64 v[31:32], v[39:40], v[49:50], v[31:32]
	v_cvt_f64_f32_e32 v[39:40], v41
	v_fma_f64 v[31:32], v[39:40], v[43:44], v[31:32]
	v_cvt_f64_f32_e32 v[39:40], v42
	;; [unrolled: 2-line block ×3, first 2 shown]
	v_cvt_f64_f32_e32 v[35:36], v36
	v_fma_f64 v[39:40], v[39:40], v[47:48], v[53:54]
	v_fma_f64 v[35:36], v[35:36], v[49:50], v[39:40]
	v_cvt_f64_f32_e32 v[39:40], v37
	v_cvt_f64_f32_e32 v[37:38], v38
	v_fma_f64 v[35:36], v[39:40], v[43:44], v[35:36]
	v_fma_f64 v[53:54], v[37:38], v[45:46], v[35:36]
	v_cvt_f64_f32_e32 v[35:36], v24
	;; [unrolled: 4-line block ×5, first 2 shown]
	v_cvt_f64_f32_e32 v[22:23], v23
	v_fma_f64 v[20:21], v[24:25], v[43:44], v[20:21]
	v_fma_f64 v[51:52], v[22:23], v[45:46], v[20:21]
	global_load_dwordx2 v[20:21], v[28:29], off offset:128
	s_waitcnt vmcnt(0)
	v_sub_co_u32_e32 v43, vcc, v20, v4
	v_subb_co_u32_e32 v44, vcc, v21, v5, vcc
	global_load_dwordx4 v[35:38], v[16:17], off offset:3120
	global_load_dwordx4 v[20:23], v[16:17], off offset:3104
	;; [unrolled: 1-line block ×4, first 2 shown]
	v_lshlrev_b64 v[43:44], 5, v[43:44]
	v_add_co_u32_e32 v59, vcc, s8, v43
	v_addc_co_u32_e32 v60, vcc, v30, v44, vcc
	global_load_dwordx4 v[43:46], v[59:60], off offset:16
	global_load_dwordx4 v[47:50], v[59:60], off
	v_add_co_u32_e32 v16, vcc, s14, v16
	v_addc_co_u32_e32 v17, vcc, 0, v17, vcc
	v_add_co_u32_e32 v18, vcc, 64, v18
	v_addc_co_u32_e32 v19, vcc, 0, v19, vcc
	;; [unrolled: 2-line block ×3, first 2 shown]
	v_cmp_ge_i64_e32 vcc, v[18:19], v[6:7]
	s_or_b64 s[6:7], vcc, s[6:7]
	s_waitcnt vmcnt(2)
	v_cvt_f64_f32_e32 v[57:58], v24
	v_cvt_f64_f32_e32 v[24:25], v25
	s_waitcnt vmcnt(0)
	v_fma_f64 v[31:32], v[57:58], v[47:48], v[31:32]
	v_fma_f64 v[24:25], v[24:25], v[49:50], v[31:32]
	v_cvt_f64_f32_e32 v[31:32], v26
	v_cvt_f64_f32_e32 v[26:27], v27
	v_fma_f64 v[24:25], v[31:32], v[43:44], v[24:25]
	v_cvt_f64_f32_e32 v[31:32], v40
	v_fma_f64 v[26:27], v[26:27], v[45:46], v[24:25]
	;; [unrolled: 2-line block ×3, first 2 shown]
	v_fma_f64 v[24:25], v[31:32], v[49:50], v[24:25]
	v_cvt_f64_f32_e32 v[31:32], v41
	v_fma_f64 v[24:25], v[31:32], v[43:44], v[24:25]
	v_cvt_f64_f32_e32 v[31:32], v42
	;; [unrolled: 2-line block ×3, first 2 shown]
	v_cvt_f64_f32_e32 v[20:21], v21
	v_fma_f64 v[31:32], v[31:32], v[47:48], v[55:56]
	v_fma_f64 v[20:21], v[20:21], v[49:50], v[31:32]
	v_cvt_f64_f32_e32 v[31:32], v22
	v_cvt_f64_f32_e32 v[22:23], v23
	v_fma_f64 v[20:21], v[31:32], v[43:44], v[20:21]
	v_cvt_f64_f32_e32 v[31:32], v36
	v_fma_f64 v[22:23], v[22:23], v[45:46], v[20:21]
	;; [unrolled: 2-line block ×3, first 2 shown]
	v_fma_f64 v[20:21], v[31:32], v[49:50], v[20:21]
	v_cvt_f64_f32_e32 v[31:32], v37
	v_fma_f64 v[20:21], v[31:32], v[43:44], v[20:21]
	v_cvt_f64_f32_e32 v[31:32], v38
	v_fma_f64 v[20:21], v[31:32], v[45:46], v[20:21]
	s_andn2_b64 exec, exec, s[6:7]
	s_cbranch_execnz .LBB162_23
; %bb.24:
	s_or_b64 exec, exec, s[6:7]
.LBB162_25:
	s_or_b64 exec, exec, s[2:3]
.LBB162_26:
	s_or_b64 exec, exec, s[10:11]
	s_cbranch_execz .LBB162_28
	s_branch .LBB162_39
.LBB162_27:
                                        ; implicit-def: $vgpr20_vgpr21
                                        ; implicit-def: $vgpr22_vgpr23
                                        ; implicit-def: $vgpr24_vgpr25
                                        ; implicit-def: $vgpr26_vgpr27
.LBB162_28:
	v_mov_b32_e32 v20, 0
	v_mov_b32_e32 v22, 0
	;; [unrolled: 1-line block ×8, first 2 shown]
	s_and_saveexec_b64 s[2:3], s[0:1]
	s_cbranch_execz .LBB162_38
; %bb.29:
	v_or_b32_e32 v16, 16, v34
	v_sub_co_u32_e32 v16, vcc, v16, v4
	v_subb_co_u32_e32 v17, vcc, 0, v5, vcc
	v_add_co_u32_e32 v16, vcc, v16, v14
	v_addc_co_u32_e32 v17, vcc, v17, v15, vcc
	v_cmp_gt_i64_e32 vcc, v[16:17], v[6:7]
	v_not_b32_e32 v14, v14
	v_cndmask_b32_e32 v17, v7, v17, vcc
	v_cndmask_b32_e32 v16, v6, v16, vcc
	v_sub_co_u32_e32 v18, vcc, v4, v34
	v_subbrev_co_u32_e32 v19, vcc, 0, v5, vcc
	v_not_b32_e32 v15, v15
	v_add_co_u32_e32 v14, vcc, v18, v14
	v_addc_co_u32_e32 v15, vcc, v19, v15, vcc
	v_add_co_u32_e32 v14, vcc, v14, v16
	v_addc_co_u32_e32 v15, vcc, v15, v17, vcc
	v_and_b32_e32 v16, 48, v14
	v_mov_b32_e32 v17, 0
	v_cmp_ne_u64_e32 vcc, 48, v[16:17]
	v_mov_b32_e32 v26, 0
	v_mov_b32_e32 v24, 0
	;; [unrolled: 1-line block ×8, first 2 shown]
	s_and_saveexec_b64 s[6:7], vcc
	s_cbranch_execz .LBB162_33
; %bb.30:
	v_lshrrev_b32_e32 v16, 4, v14
	v_add_u32_e32 v16, 1, v16
	v_and_b32_e32 v18, 3, v16
	v_lshlrev_b64 v[16:17], 3, v[0:1]
	v_mov_b32_e32 v19, s13
	v_add_co_u32_e32 v16, vcc, s12, v16
	v_addc_co_u32_e32 v17, vcc, v19, v17, vcc
	v_sub_co_u32_e32 v18, vcc, 0, v18
	v_mov_b32_e32 v20, 0
	v_mov_b32_e32 v22, 0
	;; [unrolled: 1-line block ×4, first 2 shown]
	s_mov_b64 s[10:11], 0
	v_subb_co_u32_e64 v19, s[0:1], 0, 0, vcc
	v_mov_b32_e32 v21, 0
	v_mov_b32_e32 v23, 0
	;; [unrolled: 1-line block ×4, first 2 shown]
	s_movk_i32 s14, 0x400
.LBB162_31:                             ; =>This Inner Loop Header: Depth=1
	global_load_dwordx2 v[32:33], v[16:17], off
	global_load_dwordx4 v[28:31], v[12:13], off offset:16
	global_load_dwordx4 v[35:38], v[12:13], off
	v_mov_b32_e32 v39, s9
	v_add_co_u32_e64 v0, s[0:1], 16, v0
	v_addc_co_u32_e64 v1, s[0:1], 0, v1, s[0:1]
	v_add_co_u32_e64 v18, s[0:1], 1, v18
	v_addc_co_u32_e64 v19, s[0:1], 0, v19, s[0:1]
	v_cmp_eq_u64_e64 s[0:1], 0, v[18:19]
	s_or_b64 s[10:11], s[0:1], s[10:11]
	s_waitcnt vmcnt(2)
	v_sub_co_u32_e32 v32, vcc, v32, v4
	v_subb_co_u32_e32 v33, vcc, v33, v5, vcc
	v_lshlrev_b64 v[32:33], 5, v[32:33]
	s_waitcnt vmcnt(0)
	v_cvt_f64_f32_e32 v[55:56], v37
	v_add_co_u32_e32 v32, vcc, s8, v32
	v_addc_co_u32_e32 v33, vcc, v39, v33, vcc
	global_load_dwordx4 v[39:42], v[32:33], off
	global_load_dwordx4 v[43:46], v[32:33], off offset:16
	global_load_dwordx4 v[47:50], v[12:13], off offset:32
	;; [unrolled: 1-line block ×3, first 2 shown]
	v_cvt_f64_f32_e32 v[32:33], v35
	v_cvt_f64_f32_e32 v[35:36], v36
	;; [unrolled: 1-line block ×3, first 2 shown]
	v_add_co_u32_e32 v12, vcc, s14, v12
	v_addc_co_u32_e32 v13, vcc, 0, v13, vcc
	v_add_co_u32_e32 v16, vcc, 0x80, v16
	v_addc_co_u32_e32 v17, vcc, 0, v17, vcc
	s_waitcnt vmcnt(3)
	v_fma_f64 v[26:27], v[32:33], v[39:40], v[26:27]
	v_fma_f64 v[24:25], v[35:36], v[39:40], v[24:25]
	;; [unrolled: 1-line block ×4, first 2 shown]
	v_cvt_f64_f32_e32 v[32:33], v28
	v_cvt_f64_f32_e32 v[28:29], v29
	v_cvt_f64_f32_e32 v[35:36], v30
	v_cvt_f64_f32_e32 v[30:31], v31
	v_fma_f64 v[26:27], v[32:33], v[41:42], v[26:27]
	v_fma_f64 v[24:25], v[28:29], v[41:42], v[24:25]
	v_fma_f64 v[22:23], v[35:36], v[41:42], v[22:23]
	v_fma_f64 v[20:21], v[30:31], v[41:42], v[20:21]
	s_waitcnt vmcnt(1)
	v_cvt_f64_f32_e32 v[28:29], v47
	v_cvt_f64_f32_e32 v[30:31], v48
	;; [unrolled: 1-line block ×4, first 2 shown]
	v_fma_f64 v[26:27], v[28:29], v[43:44], v[26:27]
	v_fma_f64 v[24:25], v[30:31], v[43:44], v[24:25]
	;; [unrolled: 1-line block ×4, first 2 shown]
	s_waitcnt vmcnt(0)
	v_cvt_f64_f32_e32 v[28:29], v51
	v_cvt_f64_f32_e32 v[30:31], v52
	;; [unrolled: 1-line block ×4, first 2 shown]
	v_fma_f64 v[26:27], v[28:29], v[45:46], v[26:27]
	v_fma_f64 v[24:25], v[30:31], v[45:46], v[24:25]
	;; [unrolled: 1-line block ×4, first 2 shown]
	s_andn2_b64 exec, exec, s[10:11]
	s_cbranch_execnz .LBB162_31
; %bb.32:
	s_or_b64 exec, exec, s[10:11]
.LBB162_33:
	s_or_b64 exec, exec, s[6:7]
	v_cmp_lt_u64_e32 vcc, 47, v[14:15]
	s_and_saveexec_b64 s[0:1], vcc
	s_cbranch_execz .LBB162_37
; %bb.34:
	v_lshlrev_b64 v[14:15], 3, v[0:1]
	v_mov_b32_e32 v16, s13
	v_add_co_u32_e32 v14, vcc, s12, v14
	v_addc_co_u32_e32 v15, vcc, v16, v15, vcc
	v_add_co_u32_e32 v14, vcc, 0x100, v14
	v_addc_co_u32_e32 v15, vcc, 0, v15, vcc
	s_mov_b64 s[6:7], 0
	v_mov_b32_e32 v16, s9
	s_movk_i32 s9, 0x1000
.LBB162_35:                             ; =>This Inner Loop Header: Depth=1
	global_load_dwordx2 v[17:18], v[14:15], off offset:-256
	global_load_dwordx4 v[28:31], v[12:13], off offset:48
	global_load_dwordx4 v[35:38], v[12:13], off offset:32
	;; [unrolled: 1-line block ×3, first 2 shown]
	global_load_dwordx4 v[43:46], v[12:13], off
	s_waitcnt vmcnt(4)
	v_sub_co_u32_e32 v17, vcc, v17, v4
	v_subb_co_u32_e32 v18, vcc, v18, v5, vcc
	v_lshlrev_b64 v[17:18], 5, v[17:18]
	s_waitcnt vmcnt(0)
	v_cvt_f64_f32_e32 v[32:33], v43
	v_add_co_u32_e32 v17, vcc, s8, v17
	v_addc_co_u32_e32 v18, vcc, v16, v18, vcc
	global_load_dwordx4 v[47:50], v[17:18], off offset:16
	global_load_dwordx4 v[51:54], v[17:18], off
	s_waitcnt vmcnt(0)
	v_fma_f64 v[17:18], v[32:33], v[51:52], v[26:27]
	v_cvt_f64_f32_e32 v[26:27], v44
	v_fma_f64 v[24:25], v[26:27], v[51:52], v[24:25]
	v_cvt_f64_f32_e32 v[26:27], v45
	;; [unrolled: 2-line block ×15, first 2 shown]
	v_fma_f64 v[49:50], v[17:18], v[49:50], v[19:20]
	global_load_dwordx2 v[17:18], v[14:15], off offset:-128
	s_waitcnt vmcnt(0)
	v_sub_co_u32_e32 v35, vcc, v17, v4
	v_subb_co_u32_e32 v36, vcc, v18, v5, vcc
	global_load_dwordx4 v[17:20], v[12:13], off offset:1072
	global_load_dwordx4 v[21:24], v[12:13], off offset:1056
	;; [unrolled: 1-line block ×4, first 2 shown]
	v_lshlrev_b64 v[35:36], 5, v[35:36]
	v_add_co_u32_e32 v53, vcc, s8, v35
	v_addc_co_u32_e32 v54, vcc, v16, v36, vcc
	global_load_dwordx4 v[35:38], v[53:54], off offset:16
	global_load_dwordx4 v[39:42], v[53:54], off
	s_waitcnt vmcnt(2)
	v_cvt_f64_f32_e32 v[51:52], v29
	v_cvt_f64_f32_e32 v[29:30], v30
	s_waitcnt vmcnt(0)
	v_fma_f64 v[29:30], v[29:30], v[39:40], v[45:46]
	v_cvt_f64_f32_e32 v[45:46], v31
	v_cvt_f64_f32_e32 v[31:32], v32
	v_fma_f64 v[43:44], v[51:52], v[39:40], v[43:44]
	v_fma_f64 v[45:46], v[45:46], v[39:40], v[47:48]
	v_fma_f64 v[31:32], v[31:32], v[39:40], v[49:50]
	v_cvt_f64_f32_e32 v[39:40], v25
	v_cvt_f64_f32_e32 v[25:26], v26
	v_fma_f64 v[39:40], v[39:40], v[41:42], v[43:44]
	v_fma_f64 v[25:26], v[25:26], v[41:42], v[29:30]
	v_cvt_f64_f32_e32 v[29:30], v27
	v_cvt_f64_f32_e32 v[27:28], v28
	v_fma_f64 v[29:30], v[29:30], v[41:42], v[45:46]
	v_fma_f64 v[27:28], v[27:28], v[41:42], v[31:32]
	;; [unrolled: 4-line block ×5, first 2 shown]
	v_cvt_f64_f32_e32 v[17:18], v19
	v_fma_f64 v[47:48], v[17:18], v[37:38], v[25:26]
	v_cvt_f64_f32_e32 v[17:18], v20
	v_fma_f64 v[49:50], v[17:18], v[37:38], v[23:24]
	global_load_dwordx2 v[17:18], v[14:15], off
	s_waitcnt vmcnt(0)
	v_sub_co_u32_e32 v35, vcc, v17, v4
	v_subb_co_u32_e32 v36, vcc, v18, v5, vcc
	global_load_dwordx4 v[17:20], v[12:13], off offset:2096
	global_load_dwordx4 v[21:24], v[12:13], off offset:2080
	;; [unrolled: 1-line block ×4, first 2 shown]
	v_lshlrev_b64 v[35:36], 5, v[35:36]
	v_add_co_u32_e32 v53, vcc, s8, v35
	v_addc_co_u32_e32 v54, vcc, v16, v36, vcc
	global_load_dwordx4 v[35:38], v[53:54], off offset:16
	global_load_dwordx4 v[39:42], v[53:54], off
	s_waitcnt vmcnt(2)
	v_cvt_f64_f32_e32 v[51:52], v29
	v_cvt_f64_f32_e32 v[29:30], v30
	s_waitcnt vmcnt(0)
	v_fma_f64 v[29:30], v[29:30], v[39:40], v[45:46]
	v_cvt_f64_f32_e32 v[45:46], v31
	v_cvt_f64_f32_e32 v[31:32], v32
	v_fma_f64 v[43:44], v[51:52], v[39:40], v[43:44]
	v_fma_f64 v[45:46], v[45:46], v[39:40], v[47:48]
	;; [unrolled: 1-line block ×3, first 2 shown]
	v_cvt_f64_f32_e32 v[39:40], v25
	v_cvt_f64_f32_e32 v[25:26], v26
	v_fma_f64 v[39:40], v[39:40], v[41:42], v[43:44]
	v_fma_f64 v[25:26], v[25:26], v[41:42], v[29:30]
	v_cvt_f64_f32_e32 v[29:30], v27
	v_cvt_f64_f32_e32 v[27:28], v28
	v_fma_f64 v[29:30], v[29:30], v[41:42], v[45:46]
	v_fma_f64 v[27:28], v[27:28], v[41:42], v[31:32]
	;; [unrolled: 4-line block ×5, first 2 shown]
	v_cvt_f64_f32_e32 v[17:18], v19
	v_fma_f64 v[47:48], v[17:18], v[37:38], v[25:26]
	v_cvt_f64_f32_e32 v[17:18], v20
	v_fma_f64 v[49:50], v[17:18], v[37:38], v[23:24]
	global_load_dwordx2 v[17:18], v[14:15], off offset:128
	s_waitcnt vmcnt(0)
	v_sub_co_u32_e32 v35, vcc, v17, v4
	v_subb_co_u32_e32 v36, vcc, v18, v5, vcc
	global_load_dwordx4 v[17:20], v[12:13], off offset:3120
	global_load_dwordx4 v[21:24], v[12:13], off offset:3104
	;; [unrolled: 1-line block ×4, first 2 shown]
	v_lshlrev_b64 v[35:36], 5, v[35:36]
	v_add_co_u32_e32 v53, vcc, s8, v35
	v_addc_co_u32_e32 v54, vcc, v16, v36, vcc
	global_load_dwordx4 v[35:38], v[53:54], off offset:16
	global_load_dwordx4 v[39:42], v[53:54], off
	v_add_co_u32_e32 v12, vcc, s9, v12
	v_addc_co_u32_e32 v13, vcc, 0, v13, vcc
	v_add_co_u32_e32 v0, vcc, 64, v0
	v_addc_co_u32_e32 v1, vcc, 0, v1, vcc
	;; [unrolled: 2-line block ×3, first 2 shown]
	v_cmp_ge_i64_e32 vcc, v[0:1], v[6:7]
	s_or_b64 s[6:7], vcc, s[6:7]
	s_waitcnt vmcnt(2)
	v_cvt_f64_f32_e32 v[51:52], v29
	v_cvt_f64_f32_e32 v[29:30], v30
	s_waitcnt vmcnt(0)
	v_fma_f64 v[43:44], v[51:52], v[39:40], v[43:44]
	v_fma_f64 v[29:30], v[29:30], v[39:40], v[45:46]
	v_cvt_f64_f32_e32 v[45:46], v31
	v_cvt_f64_f32_e32 v[31:32], v32
	v_fma_f64 v[45:46], v[45:46], v[39:40], v[47:48]
	v_fma_f64 v[31:32], v[31:32], v[39:40], v[49:50]
	v_cvt_f64_f32_e32 v[39:40], v25
	v_cvt_f64_f32_e32 v[25:26], v26
	;; [unrolled: 4-line block ×6, first 2 shown]
	v_fma_f64 v[26:27], v[23:24], v[37:38], v[31:32]
	v_fma_f64 v[24:25], v[17:18], v[37:38], v[21:22]
	v_cvt_f64_f32_e32 v[17:18], v19
	v_fma_f64 v[22:23], v[17:18], v[37:38], v[29:30]
	v_cvt_f64_f32_e32 v[17:18], v20
	v_fma_f64 v[20:21], v[17:18], v[37:38], v[35:36]
	s_andn2_b64 exec, exec, s[6:7]
	s_cbranch_execnz .LBB162_35
; %bb.36:
	s_or_b64 exec, exec, s[6:7]
.LBB162_37:
	s_or_b64 exec, exec, s[0:1]
.LBB162_38:
	s_or_b64 exec, exec, s[2:3]
.LBB162_39:
	v_mov_b32_dpp v0, v26 row_shr:1 row_mask:0xf bank_mask:0xf
	v_mov_b32_dpp v1, v27 row_shr:1 row_mask:0xf bank_mask:0xf
	v_add_f64 v[0:1], v[26:27], v[0:1]
	v_mov_b32_dpp v4, v24 row_shr:1 row_mask:0xf bank_mask:0xf
	v_mov_b32_dpp v5, v25 row_shr:1 row_mask:0xf bank_mask:0xf
	;; [unrolled: 1-line block ×3, first 2 shown]
	v_add_f64 v[4:5], v[24:25], v[4:5]
	v_mov_b32_dpp v7, v23 row_shr:1 row_mask:0xf bank_mask:0xf
	v_add_f64 v[6:7], v[22:23], v[6:7]
	v_cmp_eq_u32_e32 vcc, 15, v34
	v_mov_b32_dpp v12, v0 row_shr:2 row_mask:0xf bank_mask:0xf
	v_mov_b32_dpp v13, v1 row_shr:2 row_mask:0xf bank_mask:0xf
	v_add_f64 v[0:1], v[0:1], v[12:13]
	v_mov_b32_dpp v12, v20 row_shr:1 row_mask:0xf bank_mask:0xf
	v_mov_b32_dpp v13, v21 row_shr:1 row_mask:0xf bank_mask:0xf
	v_add_f64 v[12:13], v[20:21], v[12:13]
	;; [unrolled: 3-line block ×4, first 2 shown]
	v_mov_b32_dpp v16, v0 row_shr:4 row_mask:0xf bank_mask:0xe
	v_mov_b32_dpp v14, v12 row_shr:2 row_mask:0xf bank_mask:0xf
	;; [unrolled: 1-line block ×3, first 2 shown]
	v_add_f64 v[12:13], v[12:13], v[14:15]
	v_mov_b32_dpp v14, v4 row_shr:4 row_mask:0xf bank_mask:0xe
	v_mov_b32_dpp v15, v5 row_shr:4 row_mask:0xf bank_mask:0xe
	v_add_f64 v[4:5], v[4:5], v[14:15]
	v_mov_b32_dpp v14, v6 row_shr:4 row_mask:0xf bank_mask:0xe
	v_mov_b32_dpp v15, v7 row_shr:4 row_mask:0xf bank_mask:0xe
	;; [unrolled: 1-line block ×3, first 2 shown]
	v_add_f64 v[6:7], v[6:7], v[14:15]
	v_mov_b32_dpp v14, v12 row_shr:4 row_mask:0xf bank_mask:0xe
	v_mov_b32_dpp v15, v13 row_shr:4 row_mask:0xf bank_mask:0xe
	v_add_f64 v[0:1], v[0:1], v[16:17]
	v_add_f64 v[12:13], v[12:13], v[14:15]
	v_mov_b32_dpp v18, v4 row_shr:8 row_mask:0xf bank_mask:0xc
	v_mov_b32_dpp v19, v5 row_shr:8 row_mask:0xf bank_mask:0xc
	;; [unrolled: 1-line block ×8, first 2 shown]
	s_and_b64 exec, exec, vcc
	s_cbranch_execz .LBB162_10
; %bb.40:
	v_add_f64 v[0:1], v[0:1], v[20:21]
	v_add_f64 v[18:19], v[4:5], v[18:19]
	;; [unrolled: 1-line block ×4, first 2 shown]
	v_cmp_eq_f64_e32 vcc, 0, v[8:9]
	s_load_dwordx2 s[0:1], s[4:5], 0x58
	v_lshlrev_b64 v[10:11], 5, v[10:11]
	v_mul_f64 v[4:5], v[2:3], v[0:1]
	v_mul_f64 v[6:7], v[2:3], v[18:19]
	;; [unrolled: 1-line block ×4, first 2 shown]
	s_and_saveexec_b64 s[2:3], vcc
	s_xor_b64 s[2:3], exec, s[2:3]
	s_cbranch_execz .LBB162_42
; %bb.41:
	s_waitcnt lgkmcnt(0)
	v_mov_b32_e32 v9, s1
	v_add_co_u32_e32 v8, vcc, s0, v10
	v_addc_co_u32_e32 v9, vcc, v9, v11, vcc
	global_store_dwordx4 v[8:9], v[4:7], off
	global_store_dwordx4 v[8:9], v[0:3], off offset:16
                                        ; implicit-def: $vgpr10_vgpr11
                                        ; implicit-def: $vgpr8_vgpr9
                                        ; implicit-def: $vgpr4_vgpr5
                                        ; implicit-def: $vgpr0_vgpr1
.LBB162_42:
	s_andn2_saveexec_b64 s[2:3], s[2:3]
	s_cbranch_execz .LBB162_10
; %bb.43:
	s_waitcnt lgkmcnt(0)
	v_mov_b32_e32 v12, s1
	v_add_co_u32_e32 v18, vcc, s0, v10
	v_addc_co_u32_e32 v19, vcc, v12, v11, vcc
	global_load_dwordx4 v[10:13], v[18:19], off
	global_load_dwordx4 v[14:17], v[18:19], off offset:16
	s_waitcnt vmcnt(1)
	v_fma_f64 v[4:5], v[8:9], v[10:11], v[4:5]
	v_fma_f64 v[6:7], v[8:9], v[12:13], v[6:7]
	s_waitcnt vmcnt(0)
	v_fma_f64 v[0:1], v[8:9], v[14:15], v[0:1]
	v_fma_f64 v[2:3], v[8:9], v[16:17], v[2:3]
	global_store_dwordx4 v[18:19], v[4:7], off
	global_store_dwordx4 v[18:19], v[0:3], off offset:16
	s_endpgm
	.section	.rodata,"a",@progbits
	.p2align	6, 0x0
	.amdhsa_kernel _ZN9rocsparseL18bsrxmvn_4x4_kernelILj128ELj16EdllfddEEvT3_20rocsparse_direction_NS_24const_host_device_scalarIT1_EES1_PKS1_PKT2_SA_S7_PKT4_PKT5_S5_PT6_21rocsparse_index_base_b
		.amdhsa_group_segment_fixed_size 0
		.amdhsa_private_segment_fixed_size 0
		.amdhsa_kernarg_size 104
		.amdhsa_user_sgpr_count 6
		.amdhsa_user_sgpr_private_segment_buffer 1
		.amdhsa_user_sgpr_dispatch_ptr 0
		.amdhsa_user_sgpr_queue_ptr 0
		.amdhsa_user_sgpr_kernarg_segment_ptr 1
		.amdhsa_user_sgpr_dispatch_id 0
		.amdhsa_user_sgpr_flat_scratch_init 0
		.amdhsa_user_sgpr_private_segment_size 0
		.amdhsa_uses_dynamic_stack 0
		.amdhsa_system_sgpr_private_segment_wavefront_offset 0
		.amdhsa_system_sgpr_workgroup_id_x 1
		.amdhsa_system_sgpr_workgroup_id_y 0
		.amdhsa_system_sgpr_workgroup_id_z 0
		.amdhsa_system_sgpr_workgroup_info 0
		.amdhsa_system_vgpr_workitem_id 0
		.amdhsa_next_free_vgpr 63
		.amdhsa_next_free_sgpr 19
		.amdhsa_reserve_vcc 1
		.amdhsa_reserve_flat_scratch 0
		.amdhsa_float_round_mode_32 0
		.amdhsa_float_round_mode_16_64 0
		.amdhsa_float_denorm_mode_32 3
		.amdhsa_float_denorm_mode_16_64 3
		.amdhsa_dx10_clamp 1
		.amdhsa_ieee_mode 1
		.amdhsa_fp16_overflow 0
		.amdhsa_exception_fp_ieee_invalid_op 0
		.amdhsa_exception_fp_denorm_src 0
		.amdhsa_exception_fp_ieee_div_zero 0
		.amdhsa_exception_fp_ieee_overflow 0
		.amdhsa_exception_fp_ieee_underflow 0
		.amdhsa_exception_fp_ieee_inexact 0
		.amdhsa_exception_int_div_zero 0
	.end_amdhsa_kernel
	.section	.text._ZN9rocsparseL18bsrxmvn_4x4_kernelILj128ELj16EdllfddEEvT3_20rocsparse_direction_NS_24const_host_device_scalarIT1_EES1_PKS1_PKT2_SA_S7_PKT4_PKT5_S5_PT6_21rocsparse_index_base_b,"axG",@progbits,_ZN9rocsparseL18bsrxmvn_4x4_kernelILj128ELj16EdllfddEEvT3_20rocsparse_direction_NS_24const_host_device_scalarIT1_EES1_PKS1_PKT2_SA_S7_PKT4_PKT5_S5_PT6_21rocsparse_index_base_b,comdat
.Lfunc_end162:
	.size	_ZN9rocsparseL18bsrxmvn_4x4_kernelILj128ELj16EdllfddEEvT3_20rocsparse_direction_NS_24const_host_device_scalarIT1_EES1_PKS1_PKT2_SA_S7_PKT4_PKT5_S5_PT6_21rocsparse_index_base_b, .Lfunc_end162-_ZN9rocsparseL18bsrxmvn_4x4_kernelILj128ELj16EdllfddEEvT3_20rocsparse_direction_NS_24const_host_device_scalarIT1_EES1_PKS1_PKT2_SA_S7_PKT4_PKT5_S5_PT6_21rocsparse_index_base_b
                                        ; -- End function
	.set _ZN9rocsparseL18bsrxmvn_4x4_kernelILj128ELj16EdllfddEEvT3_20rocsparse_direction_NS_24const_host_device_scalarIT1_EES1_PKS1_PKT2_SA_S7_PKT4_PKT5_S5_PT6_21rocsparse_index_base_b.num_vgpr, 63
	.set _ZN9rocsparseL18bsrxmvn_4x4_kernelILj128ELj16EdllfddEEvT3_20rocsparse_direction_NS_24const_host_device_scalarIT1_EES1_PKS1_PKT2_SA_S7_PKT4_PKT5_S5_PT6_21rocsparse_index_base_b.num_agpr, 0
	.set _ZN9rocsparseL18bsrxmvn_4x4_kernelILj128ELj16EdllfddEEvT3_20rocsparse_direction_NS_24const_host_device_scalarIT1_EES1_PKS1_PKT2_SA_S7_PKT4_PKT5_S5_PT6_21rocsparse_index_base_b.numbered_sgpr, 19
	.set _ZN9rocsparseL18bsrxmvn_4x4_kernelILj128ELj16EdllfddEEvT3_20rocsparse_direction_NS_24const_host_device_scalarIT1_EES1_PKS1_PKT2_SA_S7_PKT4_PKT5_S5_PT6_21rocsparse_index_base_b.num_named_barrier, 0
	.set _ZN9rocsparseL18bsrxmvn_4x4_kernelILj128ELj16EdllfddEEvT3_20rocsparse_direction_NS_24const_host_device_scalarIT1_EES1_PKS1_PKT2_SA_S7_PKT4_PKT5_S5_PT6_21rocsparse_index_base_b.private_seg_size, 0
	.set _ZN9rocsparseL18bsrxmvn_4x4_kernelILj128ELj16EdllfddEEvT3_20rocsparse_direction_NS_24const_host_device_scalarIT1_EES1_PKS1_PKT2_SA_S7_PKT4_PKT5_S5_PT6_21rocsparse_index_base_b.uses_vcc, 1
	.set _ZN9rocsparseL18bsrxmvn_4x4_kernelILj128ELj16EdllfddEEvT3_20rocsparse_direction_NS_24const_host_device_scalarIT1_EES1_PKS1_PKT2_SA_S7_PKT4_PKT5_S5_PT6_21rocsparse_index_base_b.uses_flat_scratch, 0
	.set _ZN9rocsparseL18bsrxmvn_4x4_kernelILj128ELj16EdllfddEEvT3_20rocsparse_direction_NS_24const_host_device_scalarIT1_EES1_PKS1_PKT2_SA_S7_PKT4_PKT5_S5_PT6_21rocsparse_index_base_b.has_dyn_sized_stack, 0
	.set _ZN9rocsparseL18bsrxmvn_4x4_kernelILj128ELj16EdllfddEEvT3_20rocsparse_direction_NS_24const_host_device_scalarIT1_EES1_PKS1_PKT2_SA_S7_PKT4_PKT5_S5_PT6_21rocsparse_index_base_b.has_recursion, 0
	.set _ZN9rocsparseL18bsrxmvn_4x4_kernelILj128ELj16EdllfddEEvT3_20rocsparse_direction_NS_24const_host_device_scalarIT1_EES1_PKS1_PKT2_SA_S7_PKT4_PKT5_S5_PT6_21rocsparse_index_base_b.has_indirect_call, 0
	.section	.AMDGPU.csdata,"",@progbits
; Kernel info:
; codeLenInByte = 4872
; TotalNumSgprs: 23
; NumVgprs: 63
; ScratchSize: 0
; MemoryBound: 0
; FloatMode: 240
; IeeeMode: 1
; LDSByteSize: 0 bytes/workgroup (compile time only)
; SGPRBlocks: 2
; VGPRBlocks: 15
; NumSGPRsForWavesPerEU: 23
; NumVGPRsForWavesPerEU: 63
; Occupancy: 4
; WaveLimiterHint : 1
; COMPUTE_PGM_RSRC2:SCRATCH_EN: 0
; COMPUTE_PGM_RSRC2:USER_SGPR: 6
; COMPUTE_PGM_RSRC2:TRAP_HANDLER: 0
; COMPUTE_PGM_RSRC2:TGID_X_EN: 1
; COMPUTE_PGM_RSRC2:TGID_Y_EN: 0
; COMPUTE_PGM_RSRC2:TGID_Z_EN: 0
; COMPUTE_PGM_RSRC2:TIDIG_COMP_CNT: 0
	.section	.text._ZN9rocsparseL18bsrxmvn_4x4_kernelILj128ELj32EdllfddEEvT3_20rocsparse_direction_NS_24const_host_device_scalarIT1_EES1_PKS1_PKT2_SA_S7_PKT4_PKT5_S5_PT6_21rocsparse_index_base_b,"axG",@progbits,_ZN9rocsparseL18bsrxmvn_4x4_kernelILj128ELj32EdllfddEEvT3_20rocsparse_direction_NS_24const_host_device_scalarIT1_EES1_PKS1_PKT2_SA_S7_PKT4_PKT5_S5_PT6_21rocsparse_index_base_b,comdat
	.globl	_ZN9rocsparseL18bsrxmvn_4x4_kernelILj128ELj32EdllfddEEvT3_20rocsparse_direction_NS_24const_host_device_scalarIT1_EES1_PKS1_PKT2_SA_S7_PKT4_PKT5_S5_PT6_21rocsparse_index_base_b ; -- Begin function _ZN9rocsparseL18bsrxmvn_4x4_kernelILj128ELj32EdllfddEEvT3_20rocsparse_direction_NS_24const_host_device_scalarIT1_EES1_PKS1_PKT2_SA_S7_PKT4_PKT5_S5_PT6_21rocsparse_index_base_b
	.p2align	8
	.type	_ZN9rocsparseL18bsrxmvn_4x4_kernelILj128ELj32EdllfddEEvT3_20rocsparse_direction_NS_24const_host_device_scalarIT1_EES1_PKS1_PKT2_SA_S7_PKT4_PKT5_S5_PT6_21rocsparse_index_base_b,@function
_ZN9rocsparseL18bsrxmvn_4x4_kernelILj128ELj32EdllfddEEvT3_20rocsparse_direction_NS_24const_host_device_scalarIT1_EES1_PKS1_PKT2_SA_S7_PKT4_PKT5_S5_PT6_21rocsparse_index_base_b: ; @_ZN9rocsparseL18bsrxmvn_4x4_kernelILj128ELj32EdllfddEEvT3_20rocsparse_direction_NS_24const_host_device_scalarIT1_EES1_PKS1_PKT2_SA_S7_PKT4_PKT5_S5_PT6_21rocsparse_index_base_b
; %bb.0:
	s_load_dwordx2 s[8:9], s[4:5], 0x60
	s_load_dwordx4 s[0:3], s[4:5], 0x10
	s_load_dwordx2 s[10:11], s[4:5], 0x50
	s_waitcnt lgkmcnt(0)
	s_bitcmp1_b32 s9, 0
	s_cselect_b64 s[14:15], -1, 0
	v_mov_b32_e32 v3, s1
	s_xor_b64 s[12:13], s[14:15], -1
	s_and_b64 vcc, exec, s[14:15]
	v_mov_b32_e32 v2, s0
	s_cbranch_vccnz .LBB163_2
; %bb.1:
	v_mov_b32_e32 v2, s1
	v_mov_b32_e32 v1, s0
	flat_load_dwordx2 v[2:3], v[1:2]
.LBB163_2:
	v_mov_b32_e32 v8, s10
	s_andn2_b64 vcc, exec, s[12:13]
	v_mov_b32_e32 v9, s11
	s_cbranch_vccnz .LBB163_4
; %bb.3:
	v_mov_b32_e32 v4, s10
	v_mov_b32_e32 v5, s11
	flat_load_dwordx2 v[8:9], v[4:5]
.LBB163_4:
	s_waitcnt vmcnt(0) lgkmcnt(0)
	v_cmp_neq_f64_e32 vcc, 0, v[2:3]
	v_cmp_neq_f64_e64 s[0:1], 1.0, v[8:9]
	s_mov_b64 s[10:11], 0
	s_or_b64 s[0:1], vcc, s[0:1]
	s_and_saveexec_b64 s[12:13], s[0:1]
	s_cbranch_execz .LBB163_10
; %bb.5:
	s_load_dwordx2 s[12:13], s[4:5], 0x20
	v_lshrrev_b32_e32 v1, 5, v0
	v_lshl_or_b32 v6, s6, 2, v1
	v_mov_b32_e32 v7, 0
	s_mov_b64 s[0:1], 0
	s_waitcnt lgkmcnt(0)
	s_cmp_lg_u64 s[12:13], 0
	s_cbranch_scc0 .LBB163_11
; %bb.6:
	v_cmp_gt_i64_e32 vcc, s[2:3], v[6:7]
                                        ; implicit-def: $vgpr10_vgpr11
                                        ; implicit-def: $vgpr4_vgpr5
	s_and_saveexec_b64 s[2:3], vcc
	s_xor_b64 s[2:3], exec, s[2:3]
	s_cbranch_execz .LBB163_8
; %bb.7:
	v_lshlrev_b64 v[4:5], 3, v[6:7]
	v_mov_b32_e32 v1, s13
	v_add_co_u32_e32 v4, vcc, s12, v4
	v_addc_co_u32_e32 v5, vcc, v1, v5, vcc
	global_load_dwordx2 v[4:5], v[4:5], off
	s_mov_b32 s9, 0
	s_mov_b64 s[0:1], exec
	s_waitcnt vmcnt(0)
	v_subrev_co_u32_e32 v10, vcc, s8, v4
	v_subbrev_co_u32_e32 v11, vcc, 0, v5, vcc
	v_mov_b32_e32 v4, s8
	v_mov_b32_e32 v5, s9
.LBB163_8:
	s_or_b64 exec, exec, s[2:3]
	s_mov_b64 s[10:11], s[0:1]
.LBB163_9:
	s_and_b64 exec, exec, s[10:11]
	s_cbranch_execnz .LBB163_15
.LBB163_10:
	s_endpgm
.LBB163_11:
                                        ; implicit-def: $vgpr10_vgpr11
                                        ; implicit-def: $vgpr4_vgpr5
	s_cbranch_execz .LBB163_9
; %bb.12:
	s_load_dwordx2 s[0:1], s[4:5], 0x0
	s_waitcnt lgkmcnt(0)
	v_cmp_gt_i64_e32 vcc, s[0:1], v[6:7]
	s_and_saveexec_b64 s[0:1], vcc
; %bb.13:
	s_mov_b32 s9, 0
	s_or_b64 s[10:11], s[10:11], exec
; %bb.14:
	s_or_b64 exec, exec, s[0:1]
	v_mov_b32_e32 v4, s8
	v_mov_b32_e32 v11, v7
	;; [unrolled: 1-line block ×4, first 2 shown]
	s_and_b64 exec, exec, s[10:11]
	s_cbranch_execz .LBB163_10
.LBB163_15:
	s_load_dwordx8 s[8:15], s[4:5], 0x28
	v_lshlrev_b64 v[6:7], 3, v[10:11]
	v_and_b32_e32 v34, 31, v0
	s_waitcnt lgkmcnt(0)
	v_mov_b32_e32 v1, s9
	v_add_co_u32_e32 v12, vcc, s8, v6
	v_addc_co_u32_e32 v13, vcc, v1, v7, vcc
	v_add_co_u32_e32 v1, vcc, 8, v12
	global_load_dwordx2 v[14:15], v[12:13], off
	v_addc_co_u32_e32 v12, vcc, 0, v13, vcc
	v_mov_b32_e32 v13, s11
	v_add_co_u32_e32 v6, vcc, s10, v6
	s_cmp_eq_u64 s[10:11], 0
	v_addc_co_u32_e32 v7, vcc, v13, v7, vcc
	s_cselect_b64 vcc, -1, 0
	v_cndmask_b32_e32 v7, v7, v12, vcc
	v_cndmask_b32_e32 v6, v6, v1, vcc
	global_load_dwordx2 v[6:7], v[6:7], off
	s_load_dword s0, s[4:5], 0x8
	s_load_dwordx2 s[8:9], s[4:5], 0x48
	v_mov_b32_e32 v16, s15
	s_waitcnt lgkmcnt(0)
	s_cmp_eq_u32 s0, 1
	s_waitcnt vmcnt(1)
	v_sub_co_u32_e32 v0, vcc, v14, v4
	v_subb_co_u32_e32 v1, vcc, v15, v5, vcc
	v_add_co_u32_e32 v0, vcc, v0, v34
	v_addc_co_u32_e32 v1, vcc, 0, v1, vcc
	v_lshlrev_b64 v[12:13], 6, v[0:1]
	s_waitcnt vmcnt(0)
	v_sub_co_u32_e32 v6, vcc, v6, v4
	v_subb_co_u32_e32 v7, vcc, v7, v5, vcc
	v_cmp_lt_i64_e64 s[0:1], v[0:1], v[6:7]
	v_add_co_u32_e32 v12, vcc, s14, v12
	v_addc_co_u32_e32 v13, vcc, v16, v13, vcc
	s_cbranch_scc1 .LBB163_27
; %bb.16:
	v_mov_b32_e32 v20, 0
	v_mov_b32_e32 v22, 0
	;; [unrolled: 1-line block ×8, first 2 shown]
	s_and_saveexec_b64 s[10:11], s[0:1]
	s_cbranch_execz .LBB163_26
; %bb.17:
	v_or_b32_e32 v16, 32, v34
	v_sub_co_u32_e32 v16, vcc, v16, v4
	v_subb_co_u32_e32 v17, vcc, 0, v5, vcc
	v_add_co_u32_e32 v16, vcc, v16, v14
	v_addc_co_u32_e32 v17, vcc, v17, v15, vcc
	v_cmp_gt_i64_e32 vcc, v[16:17], v[6:7]
	v_not_b32_e32 v19, v14
	v_cndmask_b32_e32 v17, v7, v17, vcc
	v_cndmask_b32_e32 v16, v6, v16, vcc
	v_sub_co_u32_e32 v20, vcc, v4, v34
	v_subbrev_co_u32_e32 v21, vcc, 0, v5, vcc
	v_not_b32_e32 v18, v15
	v_add_co_u32_e32 v19, vcc, v20, v19
	v_addc_co_u32_e32 v18, vcc, v21, v18, vcc
	v_add_co_u32_e32 v28, vcc, v19, v16
	v_addc_co_u32_e32 v29, vcc, v18, v17, vcc
	v_and_b32_e32 v16, 0x60, v28
	v_mov_b32_e32 v17, 0
	s_mov_b64 s[2:3], 0x60
	v_cmp_ne_u64_e32 vcc, s[2:3], v[16:17]
	v_mov_b32_e32 v26, 0
	v_mov_b32_e32 v24, 0
	;; [unrolled: 1-line block ×12, first 2 shown]
	s_and_saveexec_b64 s[14:15], vcc
	s_cbranch_execz .LBB163_21
; %bb.18:
	v_lshrrev_b32_e32 v16, 5, v28
	v_add_u32_e32 v16, 1, v16
	v_and_b32_e32 v18, 3, v16
	v_lshlrev_b64 v[16:17], 3, v[0:1]
	v_mov_b32_e32 v19, s13
	v_add_co_u32_e32 v30, vcc, s12, v16
	v_addc_co_u32_e32 v31, vcc, v19, v17, vcc
	v_sub_co_u32_e32 v32, vcc, 0, v18
	v_mov_b32_e32 v20, 0
	v_mov_b32_e32 v17, v13
	;; [unrolled: 1-line block ×6, first 2 shown]
	s_mov_b64 s[16:17], 0
	v_subb_co_u32_e64 v33, s[2:3], 0, 0, vcc
	v_mov_b32_e32 v21, 0
	s_movk_i32 s18, 0x800
	v_mov_b32_e32 v16, v12
	v_mov_b32_e32 v23, 0
	;; [unrolled: 1-line block ×5, first 2 shown]
.LBB163_19:                             ; =>This Inner Loop Header: Depth=1
	global_load_dwordx2 v[43:44], v[30:31], off
	global_load_dwordx4 v[35:38], v[16:17], off
	global_load_dwordx4 v[39:42], v[16:17], off offset:16
	v_mov_b32_e32 v45, s9
	v_add_co_u32_e64 v32, s[6:7], 1, v32
	s_waitcnt vmcnt(2)
	v_sub_co_u32_e32 v43, vcc, v43, v4
	v_subb_co_u32_e32 v44, vcc, v44, v5, vcc
	v_lshlrev_b64 v[43:44], 5, v[43:44]
	s_waitcnt vmcnt(1)
	v_cvt_f64_f32_e32 v[47:48], v35
	v_add_co_u32_e32 v51, vcc, s8, v43
	v_addc_co_u32_e32 v52, vcc, v45, v44, vcc
	global_load_dwordx4 v[43:46], v[51:52], off
	s_waitcnt vmcnt(1)
	v_cvt_f64_f32_e32 v[49:50], v39
	v_cvt_f64_f32_e32 v[35:36], v36
	s_waitcnt vmcnt(0)
	v_fma_f64 v[53:54], v[47:48], v[43:44], v[26:27]
	v_fma_f64 v[55:56], v[49:50], v[43:44], v[24:25]
	global_load_dwordx4 v[24:27], v[16:17], off offset:32
	s_waitcnt vmcnt(0)
	v_cvt_f64_f32_e32 v[47:48], v24
	v_cvt_f64_f32_e32 v[24:25], v25
	v_fma_f64 v[22:23], v[47:48], v[43:44], v[22:23]
	global_load_dwordx4 v[47:50], v[16:17], off offset:48
	v_add_co_u32_e32 v16, vcc, s18, v16
	s_mov_b64 s[2:3], vcc
	v_add_co_u32_e32 v18, vcc, 32, v18
	v_addc_co_u32_e32 v19, vcc, 0, v19, vcc
	v_fma_f64 v[22:23], v[24:25], v[45:46], v[22:23]
	v_addc_co_u32_e64 v33, vcc, 0, v33, s[6:7]
	v_cmp_eq_u64_e64 s[6:7], 0, v[32:33]
	v_add_co_u32_e32 v30, vcc, 0x100, v30
	v_addc_co_u32_e64 v17, s[2:3], 0, v17, s[2:3]
	s_or_b64 s[16:17], s[6:7], s[16:17]
	v_addc_co_u32_e32 v31, vcc, 0, v31, vcc
	s_waitcnt vmcnt(0)
	v_cvt_f64_f32_e32 v[57:58], v47
	v_cvt_f64_f32_e32 v[24:25], v48
	v_fma_f64 v[20:21], v[57:58], v[43:44], v[20:21]
	v_fma_f64 v[43:44], v[35:36], v[45:46], v[53:54]
	v_cvt_f64_f32_e32 v[35:36], v40
	v_fma_f64 v[39:40], v[35:36], v[45:46], v[55:56]
	v_fma_f64 v[20:21], v[24:25], v[45:46], v[20:21]
	v_cvt_f64_f32_e32 v[24:25], v37
	v_cvt_f64_f32_e32 v[45:46], v38
	global_load_dwordx4 v[35:38], v[51:52], off offset:16
	s_waitcnt vmcnt(0)
	v_fma_f64 v[24:25], v[24:25], v[35:36], v[43:44]
	v_cvt_f64_f32_e32 v[43:44], v41
	v_fma_f64 v[39:40], v[43:44], v[35:36], v[39:40]
	v_cvt_f64_f32_e32 v[43:44], v26
	;; [unrolled: 2-line block ×4, first 2 shown]
	v_cvt_f64_f32_e32 v[41:42], v27
	v_cvt_f64_f32_e32 v[43:44], v50
	v_fma_f64 v[26:27], v[45:46], v[37:38], v[24:25]
	v_fma_f64 v[24:25], v[35:36], v[37:38], v[39:40]
	;; [unrolled: 1-line block ×4, first 2 shown]
	s_andn2_b64 exec, exec, s[16:17]
	s_cbranch_execnz .LBB163_19
; %bb.20:
	s_or_b64 exec, exec, s[16:17]
.LBB163_21:
	s_or_b64 exec, exec, s[14:15]
	s_mov_b64 s[2:3], 0x5f
	v_cmp_lt_u64_e32 vcc, s[2:3], v[28:29]
	s_and_saveexec_b64 s[6:7], vcc
	s_cbranch_execz .LBB163_25
; %bb.22:
	v_lshlrev_b64 v[28:29], 3, v[18:19]
	v_mov_b32_e32 v30, s13
	v_add_co_u32_e32 v28, vcc, s12, v28
	v_addc_co_u32_e32 v29, vcc, v30, v29, vcc
	v_add_co_u32_e32 v28, vcc, 0x200, v28
	v_addc_co_u32_e32 v29, vcc, 0, v29, vcc
	s_mov_b64 s[14:15], 0
	v_mov_b32_e32 v30, s9
	s_movk_i32 s16, 0x1000
.LBB163_23:                             ; =>This Inner Loop Header: Depth=1
	global_load_dwordx2 v[31:32], v[28:29], off offset:-512
	global_load_dwordx4 v[35:38], v[16:17], off offset:48
	global_load_dwordx4 v[39:42], v[16:17], off offset:32
	;; [unrolled: 1-line block ×3, first 2 shown]
	global_load_dwordx4 v[47:50], v[16:17], off
	s_waitcnt vmcnt(4)
	v_sub_co_u32_e32 v31, vcc, v31, v4
	v_subb_co_u32_e32 v32, vcc, v32, v5, vcc
	v_lshlrev_b64 v[31:32], 5, v[31:32]
	s_waitcnt vmcnt(0)
	v_cvt_f64_f32_e32 v[59:60], v47
	v_add_co_u32_e32 v31, vcc, s8, v31
	v_addc_co_u32_e32 v32, vcc, v30, v32, vcc
	global_load_dwordx4 v[51:54], v[31:32], off offset:16
	global_load_dwordx4 v[55:58], v[31:32], off
	v_cvt_f64_f32_e32 v[31:32], v48
	s_waitcnt vmcnt(0)
	v_fma_f64 v[26:27], v[59:60], v[55:56], v[26:27]
	v_fma_f64 v[26:27], v[31:32], v[57:58], v[26:27]
	v_cvt_f64_f32_e32 v[31:32], v49
	v_fma_f64 v[26:27], v[31:32], v[51:52], v[26:27]
	v_cvt_f64_f32_e32 v[31:32], v50
	v_fma_f64 v[31:32], v[31:32], v[53:54], v[26:27]
	v_cvt_f64_f32_e32 v[26:27], v43
	v_fma_f64 v[24:25], v[26:27], v[55:56], v[24:25]
	v_cvt_f64_f32_e32 v[26:27], v44
	v_fma_f64 v[24:25], v[26:27], v[57:58], v[24:25]
	v_cvt_f64_f32_e32 v[26:27], v45
	v_fma_f64 v[24:25], v[26:27], v[51:52], v[24:25]
	v_cvt_f64_f32_e32 v[26:27], v46
	v_fma_f64 v[59:60], v[26:27], v[53:54], v[24:25]
	v_cvt_f64_f32_e32 v[24:25], v39
	v_fma_f64 v[22:23], v[24:25], v[55:56], v[22:23]
	v_cvt_f64_f32_e32 v[24:25], v40
	v_fma_f64 v[22:23], v[24:25], v[57:58], v[22:23]
	v_cvt_f64_f32_e32 v[24:25], v41
	v_fma_f64 v[22:23], v[24:25], v[51:52], v[22:23]
	v_cvt_f64_f32_e32 v[24:25], v42
	v_fma_f64 v[61:62], v[24:25], v[53:54], v[22:23]
	v_cvt_f64_f32_e32 v[22:23], v35
	v_fma_f64 v[20:21], v[22:23], v[55:56], v[20:21]
	v_cvt_f64_f32_e32 v[22:23], v36
	v_fma_f64 v[20:21], v[22:23], v[57:58], v[20:21]
	v_cvt_f64_f32_e32 v[22:23], v37
	v_fma_f64 v[20:21], v[22:23], v[51:52], v[20:21]
	v_cvt_f64_f32_e32 v[22:23], v38
	v_fma_f64 v[51:52], v[22:23], v[53:54], v[20:21]
	global_load_dwordx2 v[20:21], v[28:29], off offset:-256
	s_waitcnt vmcnt(0)
	v_sub_co_u32_e32 v43, vcc, v20, v4
	v_subb_co_u32_e32 v44, vcc, v21, v5, vcc
	global_load_dwordx4 v[20:23], v[16:17], off offset:2096
	global_load_dwordx4 v[24:27], v[16:17], off offset:2080
	;; [unrolled: 1-line block ×4, first 2 shown]
	v_lshlrev_b64 v[43:44], 5, v[43:44]
	v_add_co_u32_e32 v55, vcc, s8, v43
	v_addc_co_u32_e32 v56, vcc, v30, v44, vcc
	global_load_dwordx4 v[43:46], v[55:56], off offset:16
	global_load_dwordx4 v[47:50], v[55:56], off
	v_add_co_u32_e32 v57, vcc, s16, v16
	v_addc_co_u32_e32 v58, vcc, 0, v17, vcc
	s_waitcnt vmcnt(2)
	v_cvt_f64_f32_e32 v[53:54], v39
	v_cvt_f64_f32_e32 v[39:40], v40
	s_waitcnt vmcnt(0)
	v_fma_f64 v[31:32], v[53:54], v[47:48], v[31:32]
	v_fma_f64 v[31:32], v[39:40], v[49:50], v[31:32]
	v_cvt_f64_f32_e32 v[39:40], v41
	v_fma_f64 v[31:32], v[39:40], v[43:44], v[31:32]
	v_cvt_f64_f32_e32 v[39:40], v42
	;; [unrolled: 2-line block ×3, first 2 shown]
	v_cvt_f64_f32_e32 v[35:36], v36
	v_fma_f64 v[39:40], v[39:40], v[47:48], v[59:60]
	v_fma_f64 v[35:36], v[35:36], v[49:50], v[39:40]
	v_cvt_f64_f32_e32 v[39:40], v37
	v_cvt_f64_f32_e32 v[37:38], v38
	v_fma_f64 v[35:36], v[39:40], v[43:44], v[35:36]
	v_fma_f64 v[53:54], v[37:38], v[45:46], v[35:36]
	v_cvt_f64_f32_e32 v[35:36], v24
	;; [unrolled: 4-line block ×5, first 2 shown]
	v_cvt_f64_f32_e32 v[22:23], v23
	v_fma_f64 v[20:21], v[24:25], v[43:44], v[20:21]
	v_fma_f64 v[51:52], v[22:23], v[45:46], v[20:21]
	global_load_dwordx2 v[20:21], v[28:29], off
	s_waitcnt vmcnt(0)
	v_sub_co_u32_e32 v43, vcc, v20, v4
	v_subb_co_u32_e32 v44, vcc, v21, v5, vcc
	v_lshlrev_b64 v[43:44], 5, v[43:44]
	global_load_dwordx4 v[20:23], v[57:58], off
	global_load_dwordx4 v[24:27], v[57:58], off offset:48
	global_load_dwordx4 v[35:38], v[57:58], off offset:32
	;; [unrolled: 1-line block ×3, first 2 shown]
	v_add_co_u32_e32 v61, vcc, s8, v43
	v_addc_co_u32_e32 v62, vcc, v30, v44, vcc
	global_load_dwordx4 v[43:46], v[61:62], off offset:16
	global_load_dwordx4 v[47:50], v[61:62], off
	s_waitcnt vmcnt(5)
	v_cvt_f64_f32_e32 v[59:60], v20
	v_cvt_f64_f32_e32 v[20:21], v21
	s_waitcnt vmcnt(0)
	v_fma_f64 v[31:32], v[59:60], v[47:48], v[31:32]
	v_fma_f64 v[20:21], v[20:21], v[49:50], v[31:32]
	v_cvt_f64_f32_e32 v[31:32], v22
	v_cvt_f64_f32_e32 v[22:23], v23
	v_fma_f64 v[20:21], v[31:32], v[43:44], v[20:21]
	v_fma_f64 v[31:32], v[22:23], v[45:46], v[20:21]
	v_cvt_f64_f32_e32 v[20:21], v39
	v_cvt_f64_f32_e32 v[22:23], v40
	v_fma_f64 v[20:21], v[20:21], v[47:48], v[53:54]
	v_fma_f64 v[20:21], v[22:23], v[49:50], v[20:21]
	v_cvt_f64_f32_e32 v[22:23], v41
	v_fma_f64 v[20:21], v[22:23], v[43:44], v[20:21]
	v_cvt_f64_f32_e32 v[22:23], v42
	v_fma_f64 v[53:54], v[22:23], v[45:46], v[20:21]
	v_cvt_f64_f32_e32 v[20:21], v35
	v_cvt_f64_f32_e32 v[22:23], v36
	v_fma_f64 v[20:21], v[20:21], v[47:48], v[55:56]
	v_fma_f64 v[20:21], v[22:23], v[49:50], v[20:21]
	v_cvt_f64_f32_e32 v[22:23], v37
	v_fma_f64 v[20:21], v[22:23], v[43:44], v[20:21]
	v_cvt_f64_f32_e32 v[22:23], v38
	v_fma_f64 v[55:56], v[22:23], v[45:46], v[20:21]
	v_cvt_f64_f32_e32 v[20:21], v24
	v_cvt_f64_f32_e32 v[22:23], v25
	v_fma_f64 v[20:21], v[20:21], v[47:48], v[51:52]
	v_fma_f64 v[20:21], v[22:23], v[49:50], v[20:21]
	v_cvt_f64_f32_e32 v[22:23], v26
	v_fma_f64 v[20:21], v[22:23], v[43:44], v[20:21]
	v_cvt_f64_f32_e32 v[22:23], v27
	v_fma_f64 v[51:52], v[22:23], v[45:46], v[20:21]
	global_load_dwordx2 v[20:21], v[28:29], off offset:256
	s_waitcnt vmcnt(0)
	v_sub_co_u32_e32 v43, vcc, v20, v4
	v_subb_co_u32_e32 v44, vcc, v21, v5, vcc
	global_load_dwordx4 v[35:38], v[57:58], off offset:2096
	global_load_dwordx4 v[20:23], v[57:58], off offset:2080
	global_load_dwordx4 v[39:42], v[57:58], off offset:2064
	global_load_dwordx4 v[24:27], v[57:58], off offset:2048
	v_lshlrev_b64 v[43:44], 5, v[43:44]
	v_add_co_u32_e32 v59, vcc, s8, v43
	v_addc_co_u32_e32 v60, vcc, v30, v44, vcc
	global_load_dwordx4 v[43:46], v[59:60], off offset:16
	global_load_dwordx4 v[47:50], v[59:60], off
	v_add_co_u32_e32 v18, vcc, 0x80, v18
	v_addc_co_u32_e32 v19, vcc, 0, v19, vcc
	v_add_co_u32_e32 v28, vcc, 0x400, v28
	v_addc_co_u32_e32 v29, vcc, 0, v29, vcc
	v_cmp_ge_i64_e64 s[2:3], v[18:19], v[6:7]
	v_add_co_u32_e32 v16, vcc, 0x2000, v16
	v_addc_co_u32_e32 v17, vcc, 0, v17, vcc
	s_or_b64 s[14:15], s[2:3], s[14:15]
	s_waitcnt vmcnt(2)
	v_cvt_f64_f32_e32 v[57:58], v24
	v_cvt_f64_f32_e32 v[24:25], v25
	s_waitcnt vmcnt(0)
	v_fma_f64 v[31:32], v[57:58], v[47:48], v[31:32]
	v_fma_f64 v[24:25], v[24:25], v[49:50], v[31:32]
	v_cvt_f64_f32_e32 v[31:32], v26
	v_cvt_f64_f32_e32 v[26:27], v27
	v_fma_f64 v[24:25], v[31:32], v[43:44], v[24:25]
	v_cvt_f64_f32_e32 v[31:32], v40
	v_fma_f64 v[26:27], v[26:27], v[45:46], v[24:25]
	v_cvt_f64_f32_e32 v[24:25], v39
	v_fma_f64 v[24:25], v[24:25], v[47:48], v[53:54]
	v_fma_f64 v[24:25], v[31:32], v[49:50], v[24:25]
	v_cvt_f64_f32_e32 v[31:32], v41
	v_fma_f64 v[24:25], v[31:32], v[43:44], v[24:25]
	v_cvt_f64_f32_e32 v[31:32], v42
	;; [unrolled: 2-line block ×3, first 2 shown]
	v_cvt_f64_f32_e32 v[20:21], v21
	v_fma_f64 v[31:32], v[31:32], v[47:48], v[55:56]
	v_fma_f64 v[20:21], v[20:21], v[49:50], v[31:32]
	v_cvt_f64_f32_e32 v[31:32], v22
	v_cvt_f64_f32_e32 v[22:23], v23
	v_fma_f64 v[20:21], v[31:32], v[43:44], v[20:21]
	v_cvt_f64_f32_e32 v[31:32], v36
	v_fma_f64 v[22:23], v[22:23], v[45:46], v[20:21]
	;; [unrolled: 2-line block ×3, first 2 shown]
	v_fma_f64 v[20:21], v[31:32], v[49:50], v[20:21]
	v_cvt_f64_f32_e32 v[31:32], v37
	v_fma_f64 v[20:21], v[31:32], v[43:44], v[20:21]
	v_cvt_f64_f32_e32 v[31:32], v38
	v_fma_f64 v[20:21], v[31:32], v[45:46], v[20:21]
	s_andn2_b64 exec, exec, s[14:15]
	s_cbranch_execnz .LBB163_23
; %bb.24:
	s_or_b64 exec, exec, s[14:15]
.LBB163_25:
	s_or_b64 exec, exec, s[6:7]
.LBB163_26:
	s_or_b64 exec, exec, s[10:11]
	s_cbranch_execz .LBB163_28
	s_branch .LBB163_39
.LBB163_27:
                                        ; implicit-def: $vgpr20_vgpr21
                                        ; implicit-def: $vgpr22_vgpr23
                                        ; implicit-def: $vgpr24_vgpr25
                                        ; implicit-def: $vgpr26_vgpr27
.LBB163_28:
	v_mov_b32_e32 v20, 0
	v_mov_b32_e32 v22, 0
	;; [unrolled: 1-line block ×8, first 2 shown]
	s_and_saveexec_b64 s[2:3], s[0:1]
	s_cbranch_execz .LBB163_38
; %bb.29:
	v_or_b32_e32 v16, 32, v34
	v_sub_co_u32_e32 v16, vcc, v16, v4
	v_subb_co_u32_e32 v17, vcc, 0, v5, vcc
	v_add_co_u32_e32 v16, vcc, v16, v14
	v_addc_co_u32_e32 v17, vcc, v17, v15, vcc
	v_cmp_gt_i64_e32 vcc, v[16:17], v[6:7]
	v_not_b32_e32 v14, v14
	v_cndmask_b32_e32 v17, v7, v17, vcc
	v_cndmask_b32_e32 v16, v6, v16, vcc
	v_sub_co_u32_e32 v18, vcc, v4, v34
	v_subbrev_co_u32_e32 v19, vcc, 0, v5, vcc
	v_not_b32_e32 v15, v15
	v_add_co_u32_e32 v14, vcc, v18, v14
	v_addc_co_u32_e32 v15, vcc, v19, v15, vcc
	v_add_co_u32_e32 v14, vcc, v14, v16
	v_addc_co_u32_e32 v15, vcc, v15, v17, vcc
	v_and_b32_e32 v16, 0x60, v14
	v_mov_b32_e32 v17, 0
	s_mov_b64 s[0:1], 0x60
	v_cmp_ne_u64_e32 vcc, s[0:1], v[16:17]
	v_mov_b32_e32 v26, 0
	v_mov_b32_e32 v24, 0
	;; [unrolled: 1-line block ×8, first 2 shown]
	s_and_saveexec_b64 s[6:7], vcc
	s_cbranch_execz .LBB163_33
; %bb.30:
	v_lshrrev_b32_e32 v16, 5, v14
	v_add_u32_e32 v16, 1, v16
	v_and_b32_e32 v18, 3, v16
	v_lshlrev_b64 v[16:17], 3, v[0:1]
	v_mov_b32_e32 v19, s13
	v_add_co_u32_e32 v16, vcc, s12, v16
	v_addc_co_u32_e32 v17, vcc, v19, v17, vcc
	v_sub_co_u32_e32 v18, vcc, 0, v18
	v_mov_b32_e32 v20, 0
	v_mov_b32_e32 v22, 0
	;; [unrolled: 1-line block ×4, first 2 shown]
	s_mov_b64 s[10:11], 0
	v_subb_co_u32_e64 v19, s[0:1], 0, 0, vcc
	v_mov_b32_e32 v21, 0
	v_mov_b32_e32 v23, 0
	;; [unrolled: 1-line block ×4, first 2 shown]
	s_movk_i32 s14, 0x800
.LBB163_31:                             ; =>This Inner Loop Header: Depth=1
	global_load_dwordx2 v[32:33], v[16:17], off
	global_load_dwordx4 v[28:31], v[12:13], off offset:16
	global_load_dwordx4 v[35:38], v[12:13], off
	v_mov_b32_e32 v39, s9
	v_add_co_u32_e64 v0, s[0:1], 32, v0
	v_addc_co_u32_e64 v1, s[0:1], 0, v1, s[0:1]
	v_add_co_u32_e64 v18, s[0:1], 1, v18
	v_addc_co_u32_e64 v19, s[0:1], 0, v19, s[0:1]
	v_cmp_eq_u64_e64 s[0:1], 0, v[18:19]
	s_or_b64 s[10:11], s[0:1], s[10:11]
	s_waitcnt vmcnt(2)
	v_sub_co_u32_e32 v32, vcc, v32, v4
	v_subb_co_u32_e32 v33, vcc, v33, v5, vcc
	v_lshlrev_b64 v[32:33], 5, v[32:33]
	s_waitcnt vmcnt(0)
	v_cvt_f64_f32_e32 v[55:56], v37
	v_add_co_u32_e32 v32, vcc, s8, v32
	v_addc_co_u32_e32 v33, vcc, v39, v33, vcc
	global_load_dwordx4 v[39:42], v[32:33], off
	global_load_dwordx4 v[43:46], v[32:33], off offset:16
	global_load_dwordx4 v[47:50], v[12:13], off offset:32
	;; [unrolled: 1-line block ×3, first 2 shown]
	v_cvt_f64_f32_e32 v[32:33], v35
	v_cvt_f64_f32_e32 v[35:36], v36
	;; [unrolled: 1-line block ×3, first 2 shown]
	v_add_co_u32_e32 v12, vcc, s14, v12
	v_addc_co_u32_e32 v13, vcc, 0, v13, vcc
	v_add_co_u32_e32 v16, vcc, 0x100, v16
	v_addc_co_u32_e32 v17, vcc, 0, v17, vcc
	s_waitcnt vmcnt(3)
	v_fma_f64 v[26:27], v[32:33], v[39:40], v[26:27]
	v_fma_f64 v[24:25], v[35:36], v[39:40], v[24:25]
	;; [unrolled: 1-line block ×4, first 2 shown]
	v_cvt_f64_f32_e32 v[32:33], v28
	v_cvt_f64_f32_e32 v[28:29], v29
	;; [unrolled: 1-line block ×4, first 2 shown]
	v_fma_f64 v[26:27], v[32:33], v[41:42], v[26:27]
	v_fma_f64 v[24:25], v[28:29], v[41:42], v[24:25]
	;; [unrolled: 1-line block ×4, first 2 shown]
	s_waitcnt vmcnt(1)
	v_cvt_f64_f32_e32 v[28:29], v47
	v_cvt_f64_f32_e32 v[30:31], v48
	v_cvt_f64_f32_e32 v[32:33], v49
	v_cvt_f64_f32_e32 v[35:36], v50
	v_fma_f64 v[26:27], v[28:29], v[43:44], v[26:27]
	v_fma_f64 v[24:25], v[30:31], v[43:44], v[24:25]
	;; [unrolled: 1-line block ×4, first 2 shown]
	s_waitcnt vmcnt(0)
	v_cvt_f64_f32_e32 v[28:29], v51
	v_cvt_f64_f32_e32 v[30:31], v52
	;; [unrolled: 1-line block ×4, first 2 shown]
	v_fma_f64 v[26:27], v[28:29], v[45:46], v[26:27]
	v_fma_f64 v[24:25], v[30:31], v[45:46], v[24:25]
	;; [unrolled: 1-line block ×4, first 2 shown]
	s_andn2_b64 exec, exec, s[10:11]
	s_cbranch_execnz .LBB163_31
; %bb.32:
	s_or_b64 exec, exec, s[10:11]
.LBB163_33:
	s_or_b64 exec, exec, s[6:7]
	s_mov_b64 s[0:1], 0x5f
	v_cmp_lt_u64_e32 vcc, s[0:1], v[14:15]
	s_and_saveexec_b64 s[6:7], vcc
	s_cbranch_execz .LBB163_37
; %bb.34:
	v_lshlrev_b64 v[14:15], 3, v[0:1]
	v_mov_b32_e32 v16, s13
	v_add_co_u32_e32 v14, vcc, s12, v14
	v_addc_co_u32_e32 v15, vcc, v16, v15, vcc
	v_add_co_u32_e32 v14, vcc, 0x200, v14
	v_addc_co_u32_e32 v15, vcc, 0, v15, vcc
	s_mov_b64 s[10:11], 0
	v_mov_b32_e32 v16, s9
	s_movk_i32 s9, 0x1000
.LBB163_35:                             ; =>This Inner Loop Header: Depth=1
	global_load_dwordx2 v[17:18], v[14:15], off offset:-512
	global_load_dwordx4 v[28:31], v[12:13], off offset:48
	global_load_dwordx4 v[35:38], v[12:13], off offset:32
	;; [unrolled: 1-line block ×3, first 2 shown]
	global_load_dwordx4 v[43:46], v[12:13], off
	s_waitcnt vmcnt(4)
	v_sub_co_u32_e32 v17, vcc, v17, v4
	v_subb_co_u32_e32 v18, vcc, v18, v5, vcc
	v_lshlrev_b64 v[17:18], 5, v[17:18]
	s_waitcnt vmcnt(0)
	v_cvt_f64_f32_e32 v[32:33], v43
	v_add_co_u32_e32 v17, vcc, s8, v17
	v_addc_co_u32_e32 v18, vcc, v16, v18, vcc
	global_load_dwordx4 v[47:50], v[17:18], off offset:16
	global_load_dwordx4 v[51:54], v[17:18], off
	s_waitcnt vmcnt(0)
	v_fma_f64 v[17:18], v[32:33], v[51:52], v[26:27]
	v_cvt_f64_f32_e32 v[26:27], v44
	v_fma_f64 v[24:25], v[26:27], v[51:52], v[24:25]
	v_cvt_f64_f32_e32 v[26:27], v45
	;; [unrolled: 2-line block ×15, first 2 shown]
	v_fma_f64 v[49:50], v[17:18], v[49:50], v[19:20]
	global_load_dwordx2 v[17:18], v[14:15], off offset:-256
	s_waitcnt vmcnt(0)
	v_sub_co_u32_e32 v35, vcc, v17, v4
	v_subb_co_u32_e32 v36, vcc, v18, v5, vcc
	global_load_dwordx4 v[17:20], v[12:13], off offset:2096
	global_load_dwordx4 v[21:24], v[12:13], off offset:2080
	;; [unrolled: 1-line block ×4, first 2 shown]
	v_lshlrev_b64 v[35:36], 5, v[35:36]
	v_add_co_u32_e32 v53, vcc, s8, v35
	v_addc_co_u32_e32 v54, vcc, v16, v36, vcc
	global_load_dwordx4 v[35:38], v[53:54], off offset:16
	global_load_dwordx4 v[39:42], v[53:54], off
	s_waitcnt vmcnt(2)
	v_cvt_f64_f32_e32 v[51:52], v29
	v_cvt_f64_f32_e32 v[29:30], v30
	s_waitcnt vmcnt(0)
	v_fma_f64 v[29:30], v[29:30], v[39:40], v[45:46]
	v_cvt_f64_f32_e32 v[45:46], v31
	v_cvt_f64_f32_e32 v[31:32], v32
	v_fma_f64 v[43:44], v[51:52], v[39:40], v[43:44]
	v_add_co_u32_e32 v51, vcc, s9, v12
	v_fma_f64 v[45:46], v[45:46], v[39:40], v[47:48]
	v_fma_f64 v[31:32], v[31:32], v[39:40], v[49:50]
	v_cvt_f64_f32_e32 v[39:40], v25
	v_cvt_f64_f32_e32 v[25:26], v26
	v_addc_co_u32_e32 v52, vcc, 0, v13, vcc
	v_fma_f64 v[39:40], v[39:40], v[41:42], v[43:44]
	v_fma_f64 v[25:26], v[25:26], v[41:42], v[29:30]
	v_cvt_f64_f32_e32 v[29:30], v27
	v_cvt_f64_f32_e32 v[27:28], v28
	v_fma_f64 v[29:30], v[29:30], v[41:42], v[45:46]
	v_fma_f64 v[27:28], v[27:28], v[41:42], v[31:32]
	v_cvt_f64_f32_e32 v[31:32], v21
	v_cvt_f64_f32_e32 v[21:22], v22
	;; [unrolled: 4-line block ×4, first 2 shown]
	v_fma_f64 v[43:44], v[27:28], v[37:38], v[31:32]
	v_fma_f64 v[45:46], v[17:18], v[37:38], v[21:22]
	v_cvt_f64_f32_e32 v[17:18], v19
	v_fma_f64 v[47:48], v[17:18], v[37:38], v[25:26]
	v_cvt_f64_f32_e32 v[17:18], v20
	v_fma_f64 v[49:50], v[17:18], v[37:38], v[23:24]
	global_load_dwordx2 v[17:18], v[14:15], off
	s_waitcnt vmcnt(0)
	v_sub_co_u32_e32 v35, vcc, v17, v4
	v_subb_co_u32_e32 v36, vcc, v18, v5, vcc
	v_lshlrev_b64 v[35:36], 5, v[35:36]
	global_load_dwordx4 v[17:20], v[51:52], off
	global_load_dwordx4 v[21:24], v[51:52], off offset:48
	global_load_dwordx4 v[25:28], v[51:52], off offset:32
	;; [unrolled: 1-line block ×3, first 2 shown]
	v_add_co_u32_e32 v55, vcc, s8, v35
	v_addc_co_u32_e32 v56, vcc, v16, v36, vcc
	global_load_dwordx4 v[35:38], v[55:56], off offset:16
	global_load_dwordx4 v[39:42], v[55:56], off
	s_waitcnt vmcnt(5)
	v_cvt_f64_f32_e32 v[53:54], v17
	v_cvt_f64_f32_e32 v[17:18], v18
	s_waitcnt vmcnt(0)
	v_fma_f64 v[17:18], v[17:18], v[39:40], v[45:46]
	v_cvt_f64_f32_e32 v[45:46], v19
	v_cvt_f64_f32_e32 v[19:20], v20
	v_fma_f64 v[43:44], v[53:54], v[39:40], v[43:44]
	v_fma_f64 v[45:46], v[45:46], v[39:40], v[47:48]
	;; [unrolled: 1-line block ×3, first 2 shown]
	v_cvt_f64_f32_e32 v[39:40], v29
	v_cvt_f64_f32_e32 v[29:30], v30
	v_fma_f64 v[39:40], v[39:40], v[41:42], v[43:44]
	v_fma_f64 v[17:18], v[29:30], v[41:42], v[17:18]
	v_cvt_f64_f32_e32 v[29:30], v31
	v_cvt_f64_f32_e32 v[31:32], v32
	v_fma_f64 v[29:30], v[29:30], v[41:42], v[45:46]
	v_fma_f64 v[19:20], v[31:32], v[41:42], v[19:20]
	;; [unrolled: 4-line block ×5, first 2 shown]
	v_cvt_f64_f32_e32 v[17:18], v23
	v_fma_f64 v[47:48], v[17:18], v[37:38], v[25:26]
	v_cvt_f64_f32_e32 v[17:18], v24
	v_fma_f64 v[49:50], v[17:18], v[37:38], v[19:20]
	global_load_dwordx2 v[17:18], v[14:15], off offset:256
	s_waitcnt vmcnt(0)
	v_sub_co_u32_e32 v35, vcc, v17, v4
	v_subb_co_u32_e32 v36, vcc, v18, v5, vcc
	global_load_dwordx4 v[17:20], v[51:52], off offset:2096
	global_load_dwordx4 v[21:24], v[51:52], off offset:2080
	;; [unrolled: 1-line block ×4, first 2 shown]
	v_lshlrev_b64 v[35:36], 5, v[35:36]
	v_add_co_u32_e32 v53, vcc, s8, v35
	v_addc_co_u32_e32 v54, vcc, v16, v36, vcc
	global_load_dwordx4 v[35:38], v[53:54], off offset:16
	global_load_dwordx4 v[39:42], v[53:54], off
	v_add_co_u32_e32 v0, vcc, 0x80, v0
	v_addc_co_u32_e32 v1, vcc, 0, v1, vcc
	v_add_co_u32_e32 v14, vcc, 0x400, v14
	v_addc_co_u32_e32 v15, vcc, 0, v15, vcc
	v_cmp_ge_i64_e64 s[0:1], v[0:1], v[6:7]
	v_add_co_u32_e32 v12, vcc, 0x2000, v12
	v_addc_co_u32_e32 v13, vcc, 0, v13, vcc
	s_or_b64 s[10:11], s[0:1], s[10:11]
	s_waitcnt vmcnt(2)
	v_cvt_f64_f32_e32 v[51:52], v29
	v_cvt_f64_f32_e32 v[29:30], v30
	s_waitcnt vmcnt(0)
	v_fma_f64 v[43:44], v[51:52], v[39:40], v[43:44]
	v_fma_f64 v[29:30], v[29:30], v[39:40], v[45:46]
	v_cvt_f64_f32_e32 v[45:46], v31
	v_cvt_f64_f32_e32 v[31:32], v32
	v_fma_f64 v[45:46], v[45:46], v[39:40], v[47:48]
	v_fma_f64 v[31:32], v[31:32], v[39:40], v[49:50]
	v_cvt_f64_f32_e32 v[39:40], v25
	v_cvt_f64_f32_e32 v[25:26], v26
	;; [unrolled: 4-line block ×6, first 2 shown]
	v_fma_f64 v[26:27], v[23:24], v[37:38], v[31:32]
	v_fma_f64 v[24:25], v[17:18], v[37:38], v[21:22]
	v_cvt_f64_f32_e32 v[17:18], v19
	v_fma_f64 v[22:23], v[17:18], v[37:38], v[29:30]
	v_cvt_f64_f32_e32 v[17:18], v20
	v_fma_f64 v[20:21], v[17:18], v[37:38], v[35:36]
	s_andn2_b64 exec, exec, s[10:11]
	s_cbranch_execnz .LBB163_35
; %bb.36:
	s_or_b64 exec, exec, s[10:11]
.LBB163_37:
	s_or_b64 exec, exec, s[6:7]
.LBB163_38:
	s_or_b64 exec, exec, s[2:3]
.LBB163_39:
	v_mov_b32_dpp v0, v26 row_shr:1 row_mask:0xf bank_mask:0xf
	v_mov_b32_dpp v1, v27 row_shr:1 row_mask:0xf bank_mask:0xf
	v_add_f64 v[0:1], v[26:27], v[0:1]
	v_mov_b32_dpp v4, v24 row_shr:1 row_mask:0xf bank_mask:0xf
	v_mov_b32_dpp v5, v25 row_shr:1 row_mask:0xf bank_mask:0xf
	;; [unrolled: 1-line block ×3, first 2 shown]
	v_add_f64 v[4:5], v[24:25], v[4:5]
	v_mov_b32_dpp v7, v23 row_shr:1 row_mask:0xf bank_mask:0xf
	v_add_f64 v[6:7], v[22:23], v[6:7]
	v_cmp_eq_u32_e32 vcc, 31, v34
	v_mov_b32_dpp v12, v0 row_shr:2 row_mask:0xf bank_mask:0xf
	v_mov_b32_dpp v13, v1 row_shr:2 row_mask:0xf bank_mask:0xf
	v_add_f64 v[0:1], v[0:1], v[12:13]
	v_mov_b32_dpp v12, v20 row_shr:1 row_mask:0xf bank_mask:0xf
	v_mov_b32_dpp v13, v21 row_shr:1 row_mask:0xf bank_mask:0xf
	v_add_f64 v[12:13], v[20:21], v[12:13]
	;; [unrolled: 3-line block ×4, first 2 shown]
	v_mov_b32_dpp v16, v6 row_shr:2 row_mask:0xf bank_mask:0xf
	v_mov_b32_dpp v17, v7 row_shr:2 row_mask:0xf bank_mask:0xf
	;; [unrolled: 1-line block ×3, first 2 shown]
	v_add_f64 v[6:7], v[6:7], v[16:17]
	v_mov_b32_dpp v15, v13 row_shr:2 row_mask:0xf bank_mask:0xf
	v_add_f64 v[12:13], v[12:13], v[14:15]
	v_mov_b32_dpp v16, v4 row_shr:4 row_mask:0xf bank_mask:0xe
	v_mov_b32_dpp v17, v5 row_shr:4 row_mask:0xf bank_mask:0xe
	v_add_f64 v[4:5], v[4:5], v[16:17]
	v_mov_b32_dpp v14, v0 row_shr:8 row_mask:0xf bank_mask:0xc
	v_mov_b32_dpp v15, v1 row_shr:8 row_mask:0xf bank_mask:0xc
	;; [unrolled: 1-line block ×4, first 2 shown]
	v_add_f64 v[6:7], v[6:7], v[16:17]
	v_mov_b32_dpp v16, v12 row_shr:4 row_mask:0xf bank_mask:0xe
	v_mov_b32_dpp v17, v13 row_shr:4 row_mask:0xf bank_mask:0xe
	v_add_f64 v[12:13], v[12:13], v[16:17]
	v_add_f64 v[0:1], v[0:1], v[14:15]
	v_mov_b32_dpp v14, v4 row_shr:8 row_mask:0xf bank_mask:0xc
	v_mov_b32_dpp v15, v5 row_shr:8 row_mask:0xf bank_mask:0xc
	v_add_f64 v[4:5], v[4:5], v[14:15]
	v_mov_b32_dpp v14, v6 row_shr:8 row_mask:0xf bank_mask:0xc
	v_mov_b32_dpp v15, v7 row_shr:8 row_mask:0xf bank_mask:0xc
	;; [unrolled: 3-line block ×3, first 2 shown]
	v_add_f64 v[12:13], v[12:13], v[14:15]
	v_mov_b32_dpp v20, v0 row_bcast:15 row_mask:0xa bank_mask:0xf
	v_mov_b32_dpp v21, v1 row_bcast:15 row_mask:0xa bank_mask:0xf
	;; [unrolled: 1-line block ×8, first 2 shown]
	s_and_b64 exec, exec, vcc
	s_cbranch_execz .LBB163_10
; %bb.40:
	v_add_f64 v[0:1], v[0:1], v[20:21]
	v_add_f64 v[18:19], v[4:5], v[18:19]
	;; [unrolled: 1-line block ×4, first 2 shown]
	v_cmp_eq_f64_e32 vcc, 0, v[8:9]
	s_load_dwordx2 s[0:1], s[4:5], 0x58
	v_lshlrev_b64 v[10:11], 5, v[10:11]
	v_mul_f64 v[4:5], v[2:3], v[0:1]
	v_mul_f64 v[6:7], v[2:3], v[18:19]
	;; [unrolled: 1-line block ×4, first 2 shown]
	s_and_saveexec_b64 s[2:3], vcc
	s_xor_b64 s[2:3], exec, s[2:3]
	s_cbranch_execz .LBB163_42
; %bb.41:
	s_waitcnt lgkmcnt(0)
	v_mov_b32_e32 v9, s1
	v_add_co_u32_e32 v8, vcc, s0, v10
	v_addc_co_u32_e32 v9, vcc, v9, v11, vcc
	global_store_dwordx4 v[8:9], v[4:7], off
	global_store_dwordx4 v[8:9], v[0:3], off offset:16
                                        ; implicit-def: $vgpr10_vgpr11
                                        ; implicit-def: $vgpr8_vgpr9
                                        ; implicit-def: $vgpr4_vgpr5
                                        ; implicit-def: $vgpr0_vgpr1
.LBB163_42:
	s_andn2_saveexec_b64 s[2:3], s[2:3]
	s_cbranch_execz .LBB163_10
; %bb.43:
	s_waitcnt lgkmcnt(0)
	v_mov_b32_e32 v12, s1
	v_add_co_u32_e32 v18, vcc, s0, v10
	v_addc_co_u32_e32 v19, vcc, v12, v11, vcc
	global_load_dwordx4 v[10:13], v[18:19], off
	global_load_dwordx4 v[14:17], v[18:19], off offset:16
	s_waitcnt vmcnt(1)
	v_fma_f64 v[4:5], v[8:9], v[10:11], v[4:5]
	v_fma_f64 v[6:7], v[8:9], v[12:13], v[6:7]
	s_waitcnt vmcnt(0)
	v_fma_f64 v[0:1], v[8:9], v[14:15], v[0:1]
	v_fma_f64 v[2:3], v[8:9], v[16:17], v[2:3]
	global_store_dwordx4 v[18:19], v[4:7], off
	global_store_dwordx4 v[18:19], v[0:3], off offset:16
	s_endpgm
	.section	.rodata,"a",@progbits
	.p2align	6, 0x0
	.amdhsa_kernel _ZN9rocsparseL18bsrxmvn_4x4_kernelILj128ELj32EdllfddEEvT3_20rocsparse_direction_NS_24const_host_device_scalarIT1_EES1_PKS1_PKT2_SA_S7_PKT4_PKT5_S5_PT6_21rocsparse_index_base_b
		.amdhsa_group_segment_fixed_size 0
		.amdhsa_private_segment_fixed_size 0
		.amdhsa_kernarg_size 104
		.amdhsa_user_sgpr_count 6
		.amdhsa_user_sgpr_private_segment_buffer 1
		.amdhsa_user_sgpr_dispatch_ptr 0
		.amdhsa_user_sgpr_queue_ptr 0
		.amdhsa_user_sgpr_kernarg_segment_ptr 1
		.amdhsa_user_sgpr_dispatch_id 0
		.amdhsa_user_sgpr_flat_scratch_init 0
		.amdhsa_user_sgpr_private_segment_size 0
		.amdhsa_uses_dynamic_stack 0
		.amdhsa_system_sgpr_private_segment_wavefront_offset 0
		.amdhsa_system_sgpr_workgroup_id_x 1
		.amdhsa_system_sgpr_workgroup_id_y 0
		.amdhsa_system_sgpr_workgroup_id_z 0
		.amdhsa_system_sgpr_workgroup_info 0
		.amdhsa_system_vgpr_workitem_id 0
		.amdhsa_next_free_vgpr 63
		.amdhsa_next_free_sgpr 19
		.amdhsa_reserve_vcc 1
		.amdhsa_reserve_flat_scratch 0
		.amdhsa_float_round_mode_32 0
		.amdhsa_float_round_mode_16_64 0
		.amdhsa_float_denorm_mode_32 3
		.amdhsa_float_denorm_mode_16_64 3
		.amdhsa_dx10_clamp 1
		.amdhsa_ieee_mode 1
		.amdhsa_fp16_overflow 0
		.amdhsa_exception_fp_ieee_invalid_op 0
		.amdhsa_exception_fp_denorm_src 0
		.amdhsa_exception_fp_ieee_div_zero 0
		.amdhsa_exception_fp_ieee_overflow 0
		.amdhsa_exception_fp_ieee_underflow 0
		.amdhsa_exception_fp_ieee_inexact 0
		.amdhsa_exception_int_div_zero 0
	.end_amdhsa_kernel
	.section	.text._ZN9rocsparseL18bsrxmvn_4x4_kernelILj128ELj32EdllfddEEvT3_20rocsparse_direction_NS_24const_host_device_scalarIT1_EES1_PKS1_PKT2_SA_S7_PKT4_PKT5_S5_PT6_21rocsparse_index_base_b,"axG",@progbits,_ZN9rocsparseL18bsrxmvn_4x4_kernelILj128ELj32EdllfddEEvT3_20rocsparse_direction_NS_24const_host_device_scalarIT1_EES1_PKS1_PKT2_SA_S7_PKT4_PKT5_S5_PT6_21rocsparse_index_base_b,comdat
.Lfunc_end163:
	.size	_ZN9rocsparseL18bsrxmvn_4x4_kernelILj128ELj32EdllfddEEvT3_20rocsparse_direction_NS_24const_host_device_scalarIT1_EES1_PKS1_PKT2_SA_S7_PKT4_PKT5_S5_PT6_21rocsparse_index_base_b, .Lfunc_end163-_ZN9rocsparseL18bsrxmvn_4x4_kernelILj128ELj32EdllfddEEvT3_20rocsparse_direction_NS_24const_host_device_scalarIT1_EES1_PKS1_PKT2_SA_S7_PKT4_PKT5_S5_PT6_21rocsparse_index_base_b
                                        ; -- End function
	.set _ZN9rocsparseL18bsrxmvn_4x4_kernelILj128ELj32EdllfddEEvT3_20rocsparse_direction_NS_24const_host_device_scalarIT1_EES1_PKS1_PKT2_SA_S7_PKT4_PKT5_S5_PT6_21rocsparse_index_base_b.num_vgpr, 63
	.set _ZN9rocsparseL18bsrxmvn_4x4_kernelILj128ELj32EdllfddEEvT3_20rocsparse_direction_NS_24const_host_device_scalarIT1_EES1_PKS1_PKT2_SA_S7_PKT4_PKT5_S5_PT6_21rocsparse_index_base_b.num_agpr, 0
	.set _ZN9rocsparseL18bsrxmvn_4x4_kernelILj128ELj32EdllfddEEvT3_20rocsparse_direction_NS_24const_host_device_scalarIT1_EES1_PKS1_PKT2_SA_S7_PKT4_PKT5_S5_PT6_21rocsparse_index_base_b.numbered_sgpr, 19
	.set _ZN9rocsparseL18bsrxmvn_4x4_kernelILj128ELj32EdllfddEEvT3_20rocsparse_direction_NS_24const_host_device_scalarIT1_EES1_PKS1_PKT2_SA_S7_PKT4_PKT5_S5_PT6_21rocsparse_index_base_b.num_named_barrier, 0
	.set _ZN9rocsparseL18bsrxmvn_4x4_kernelILj128ELj32EdllfddEEvT3_20rocsparse_direction_NS_24const_host_device_scalarIT1_EES1_PKS1_PKT2_SA_S7_PKT4_PKT5_S5_PT6_21rocsparse_index_base_b.private_seg_size, 0
	.set _ZN9rocsparseL18bsrxmvn_4x4_kernelILj128ELj32EdllfddEEvT3_20rocsparse_direction_NS_24const_host_device_scalarIT1_EES1_PKS1_PKT2_SA_S7_PKT4_PKT5_S5_PT6_21rocsparse_index_base_b.uses_vcc, 1
	.set _ZN9rocsparseL18bsrxmvn_4x4_kernelILj128ELj32EdllfddEEvT3_20rocsparse_direction_NS_24const_host_device_scalarIT1_EES1_PKS1_PKT2_SA_S7_PKT4_PKT5_S5_PT6_21rocsparse_index_base_b.uses_flat_scratch, 0
	.set _ZN9rocsparseL18bsrxmvn_4x4_kernelILj128ELj32EdllfddEEvT3_20rocsparse_direction_NS_24const_host_device_scalarIT1_EES1_PKS1_PKT2_SA_S7_PKT4_PKT5_S5_PT6_21rocsparse_index_base_b.has_dyn_sized_stack, 0
	.set _ZN9rocsparseL18bsrxmvn_4x4_kernelILj128ELj32EdllfddEEvT3_20rocsparse_direction_NS_24const_host_device_scalarIT1_EES1_PKS1_PKT2_SA_S7_PKT4_PKT5_S5_PT6_21rocsparse_index_base_b.has_recursion, 0
	.set _ZN9rocsparseL18bsrxmvn_4x4_kernelILj128ELj32EdllfddEEvT3_20rocsparse_direction_NS_24const_host_device_scalarIT1_EES1_PKS1_PKT2_SA_S7_PKT4_PKT5_S5_PT6_21rocsparse_index_base_b.has_indirect_call, 0
	.section	.AMDGPU.csdata,"",@progbits
; Kernel info:
; codeLenInByte = 5048
; TotalNumSgprs: 23
; NumVgprs: 63
; ScratchSize: 0
; MemoryBound: 0
; FloatMode: 240
; IeeeMode: 1
; LDSByteSize: 0 bytes/workgroup (compile time only)
; SGPRBlocks: 2
; VGPRBlocks: 15
; NumSGPRsForWavesPerEU: 23
; NumVGPRsForWavesPerEU: 63
; Occupancy: 4
; WaveLimiterHint : 1
; COMPUTE_PGM_RSRC2:SCRATCH_EN: 0
; COMPUTE_PGM_RSRC2:USER_SGPR: 6
; COMPUTE_PGM_RSRC2:TRAP_HANDLER: 0
; COMPUTE_PGM_RSRC2:TGID_X_EN: 1
; COMPUTE_PGM_RSRC2:TGID_Y_EN: 0
; COMPUTE_PGM_RSRC2:TGID_Z_EN: 0
; COMPUTE_PGM_RSRC2:TIDIG_COMP_CNT: 0
	.section	.text._ZN9rocsparseL18bsrxmvn_4x4_kernelILj128ELj64EdllfddEEvT3_20rocsparse_direction_NS_24const_host_device_scalarIT1_EES1_PKS1_PKT2_SA_S7_PKT4_PKT5_S5_PT6_21rocsparse_index_base_b,"axG",@progbits,_ZN9rocsparseL18bsrxmvn_4x4_kernelILj128ELj64EdllfddEEvT3_20rocsparse_direction_NS_24const_host_device_scalarIT1_EES1_PKS1_PKT2_SA_S7_PKT4_PKT5_S5_PT6_21rocsparse_index_base_b,comdat
	.globl	_ZN9rocsparseL18bsrxmvn_4x4_kernelILj128ELj64EdllfddEEvT3_20rocsparse_direction_NS_24const_host_device_scalarIT1_EES1_PKS1_PKT2_SA_S7_PKT4_PKT5_S5_PT6_21rocsparse_index_base_b ; -- Begin function _ZN9rocsparseL18bsrxmvn_4x4_kernelILj128ELj64EdllfddEEvT3_20rocsparse_direction_NS_24const_host_device_scalarIT1_EES1_PKS1_PKT2_SA_S7_PKT4_PKT5_S5_PT6_21rocsparse_index_base_b
	.p2align	8
	.type	_ZN9rocsparseL18bsrxmvn_4x4_kernelILj128ELj64EdllfddEEvT3_20rocsparse_direction_NS_24const_host_device_scalarIT1_EES1_PKS1_PKT2_SA_S7_PKT4_PKT5_S5_PT6_21rocsparse_index_base_b,@function
_ZN9rocsparseL18bsrxmvn_4x4_kernelILj128ELj64EdllfddEEvT3_20rocsparse_direction_NS_24const_host_device_scalarIT1_EES1_PKS1_PKT2_SA_S7_PKT4_PKT5_S5_PT6_21rocsparse_index_base_b: ; @_ZN9rocsparseL18bsrxmvn_4x4_kernelILj128ELj64EdllfddEEvT3_20rocsparse_direction_NS_24const_host_device_scalarIT1_EES1_PKS1_PKT2_SA_S7_PKT4_PKT5_S5_PT6_21rocsparse_index_base_b
; %bb.0:
	s_load_dwordx2 s[8:9], s[4:5], 0x60
	s_load_dwordx4 s[0:3], s[4:5], 0x10
	s_load_dwordx2 s[10:11], s[4:5], 0x50
	s_waitcnt lgkmcnt(0)
	s_bitcmp1_b32 s9, 0
	s_cselect_b64 s[14:15], -1, 0
	v_mov_b32_e32 v3, s1
	s_xor_b64 s[12:13], s[14:15], -1
	s_and_b64 vcc, exec, s[14:15]
	v_mov_b32_e32 v2, s0
	s_cbranch_vccnz .LBB164_2
; %bb.1:
	v_mov_b32_e32 v2, s1
	v_mov_b32_e32 v1, s0
	flat_load_dwordx2 v[2:3], v[1:2]
.LBB164_2:
	v_mov_b32_e32 v8, s10
	s_andn2_b64 vcc, exec, s[12:13]
	v_mov_b32_e32 v9, s11
	s_cbranch_vccnz .LBB164_4
; %bb.3:
	v_mov_b32_e32 v4, s10
	v_mov_b32_e32 v5, s11
	flat_load_dwordx2 v[8:9], v[4:5]
.LBB164_4:
	s_waitcnt vmcnt(0) lgkmcnt(0)
	v_cmp_neq_f64_e32 vcc, 0, v[2:3]
	v_cmp_neq_f64_e64 s[0:1], 1.0, v[8:9]
	s_mov_b64 s[10:11], 0
	s_or_b64 s[0:1], vcc, s[0:1]
	s_and_saveexec_b64 s[12:13], s[0:1]
	s_cbranch_execz .LBB164_10
; %bb.5:
	s_load_dwordx2 s[12:13], s[4:5], 0x20
	v_lshrrev_b32_e32 v1, 6, v0
	v_lshl_or_b32 v6, s6, 1, v1
	v_mov_b32_e32 v7, 0
	s_mov_b64 s[0:1], 0
	s_waitcnt lgkmcnt(0)
	s_cmp_lg_u64 s[12:13], 0
	s_cbranch_scc0 .LBB164_11
; %bb.6:
	v_cmp_gt_i64_e32 vcc, s[2:3], v[6:7]
                                        ; implicit-def: $vgpr10_vgpr11
                                        ; implicit-def: $vgpr4_vgpr5
	s_and_saveexec_b64 s[2:3], vcc
	s_xor_b64 s[2:3], exec, s[2:3]
	s_cbranch_execz .LBB164_8
; %bb.7:
	v_lshlrev_b64 v[4:5], 3, v[6:7]
	v_mov_b32_e32 v1, s13
	v_add_co_u32_e32 v4, vcc, s12, v4
	v_addc_co_u32_e32 v5, vcc, v1, v5, vcc
	global_load_dwordx2 v[4:5], v[4:5], off
	s_mov_b32 s9, 0
	s_mov_b64 s[0:1], exec
	s_waitcnt vmcnt(0)
	v_subrev_co_u32_e32 v10, vcc, s8, v4
	v_subbrev_co_u32_e32 v11, vcc, 0, v5, vcc
	v_mov_b32_e32 v4, s8
	v_mov_b32_e32 v5, s9
.LBB164_8:
	s_or_b64 exec, exec, s[2:3]
	s_mov_b64 s[10:11], s[0:1]
.LBB164_9:
	s_and_b64 exec, exec, s[10:11]
	s_cbranch_execnz .LBB164_15
.LBB164_10:
	s_endpgm
.LBB164_11:
                                        ; implicit-def: $vgpr10_vgpr11
                                        ; implicit-def: $vgpr4_vgpr5
	s_cbranch_execz .LBB164_9
; %bb.12:
	s_load_dwordx2 s[0:1], s[4:5], 0x0
	s_waitcnt lgkmcnt(0)
	v_cmp_gt_i64_e32 vcc, s[0:1], v[6:7]
	s_and_saveexec_b64 s[0:1], vcc
; %bb.13:
	s_mov_b32 s9, 0
	s_or_b64 s[10:11], s[10:11], exec
; %bb.14:
	s_or_b64 exec, exec, s[0:1]
	v_mov_b32_e32 v4, s8
	v_mov_b32_e32 v11, v7
	;; [unrolled: 1-line block ×4, first 2 shown]
	s_and_b64 exec, exec, s[10:11]
	s_cbranch_execz .LBB164_10
.LBB164_15:
	s_load_dwordx8 s[8:15], s[4:5], 0x28
	v_lshlrev_b64 v[6:7], 3, v[10:11]
	v_and_b32_e32 v34, 63, v0
	s_waitcnt lgkmcnt(0)
	v_mov_b32_e32 v1, s9
	v_add_co_u32_e32 v12, vcc, s8, v6
	v_addc_co_u32_e32 v13, vcc, v1, v7, vcc
	v_add_co_u32_e32 v1, vcc, 8, v12
	global_load_dwordx2 v[14:15], v[12:13], off
	v_addc_co_u32_e32 v12, vcc, 0, v13, vcc
	v_mov_b32_e32 v13, s11
	v_add_co_u32_e32 v6, vcc, s10, v6
	s_cmp_eq_u64 s[10:11], 0
	v_addc_co_u32_e32 v7, vcc, v13, v7, vcc
	s_cselect_b64 vcc, -1, 0
	v_cndmask_b32_e32 v7, v7, v12, vcc
	v_cndmask_b32_e32 v6, v6, v1, vcc
	global_load_dwordx2 v[6:7], v[6:7], off
	s_load_dword s0, s[4:5], 0x8
	s_load_dwordx2 s[8:9], s[4:5], 0x48
	v_mov_b32_e32 v16, s15
	s_waitcnt lgkmcnt(0)
	s_cmp_eq_u32 s0, 1
	s_waitcnt vmcnt(1)
	v_sub_co_u32_e32 v0, vcc, v14, v4
	v_subb_co_u32_e32 v1, vcc, v15, v5, vcc
	v_add_co_u32_e32 v0, vcc, v0, v34
	v_addc_co_u32_e32 v1, vcc, 0, v1, vcc
	v_lshlrev_b64 v[12:13], 6, v[0:1]
	s_waitcnt vmcnt(0)
	v_sub_co_u32_e32 v6, vcc, v6, v4
	v_subb_co_u32_e32 v7, vcc, v7, v5, vcc
	v_cmp_lt_i64_e64 s[0:1], v[0:1], v[6:7]
	v_add_co_u32_e32 v12, vcc, s14, v12
	v_addc_co_u32_e32 v13, vcc, v16, v13, vcc
	s_cbranch_scc1 .LBB164_27
; %bb.16:
	v_mov_b32_e32 v20, 0
	v_mov_b32_e32 v22, 0
	;; [unrolled: 1-line block ×8, first 2 shown]
	s_and_saveexec_b64 s[10:11], s[0:1]
	s_cbranch_execz .LBB164_26
; %bb.17:
	v_or_b32_e32 v16, 64, v34
	v_sub_co_u32_e32 v16, vcc, v16, v4
	v_subb_co_u32_e32 v17, vcc, 0, v5, vcc
	v_add_co_u32_e32 v16, vcc, v16, v14
	v_addc_co_u32_e32 v17, vcc, v17, v15, vcc
	v_cmp_gt_i64_e32 vcc, v[16:17], v[6:7]
	v_not_b32_e32 v19, v14
	v_cndmask_b32_e32 v17, v7, v17, vcc
	v_cndmask_b32_e32 v16, v6, v16, vcc
	v_sub_co_u32_e32 v20, vcc, v4, v34
	v_subbrev_co_u32_e32 v21, vcc, 0, v5, vcc
	v_not_b32_e32 v18, v15
	v_add_co_u32_e32 v19, vcc, v20, v19
	v_addc_co_u32_e32 v18, vcc, v21, v18, vcc
	v_add_co_u32_e32 v28, vcc, v19, v16
	v_addc_co_u32_e32 v29, vcc, v18, v17, vcc
	v_and_b32_e32 v16, 0xc0, v28
	v_mov_b32_e32 v17, 0
	s_mov_b64 s[2:3], 0xc0
	v_cmp_ne_u64_e32 vcc, s[2:3], v[16:17]
	v_mov_b32_e32 v26, 0
	v_mov_b32_e32 v24, 0
	;; [unrolled: 1-line block ×12, first 2 shown]
	s_and_saveexec_b64 s[14:15], vcc
	s_cbranch_execz .LBB164_21
; %bb.18:
	v_lshrrev_b32_e32 v16, 6, v28
	v_add_u32_e32 v16, 1, v16
	v_and_b32_e32 v18, 3, v16
	v_lshlrev_b64 v[16:17], 3, v[0:1]
	v_mov_b32_e32 v19, s13
	v_add_co_u32_e32 v30, vcc, s12, v16
	v_addc_co_u32_e32 v31, vcc, v19, v17, vcc
	v_sub_co_u32_e32 v32, vcc, 0, v18
	v_mov_b32_e32 v20, 0
	v_mov_b32_e32 v17, v13
	;; [unrolled: 1-line block ×6, first 2 shown]
	s_mov_b64 s[16:17], 0
	v_subb_co_u32_e64 v33, s[2:3], 0, 0, vcc
	v_mov_b32_e32 v21, 0
	s_movk_i32 s18, 0x1000
	v_mov_b32_e32 v16, v12
	v_mov_b32_e32 v23, 0
	;; [unrolled: 1-line block ×5, first 2 shown]
.LBB164_19:                             ; =>This Inner Loop Header: Depth=1
	global_load_dwordx2 v[43:44], v[30:31], off
	global_load_dwordx4 v[35:38], v[16:17], off
	global_load_dwordx4 v[39:42], v[16:17], off offset:16
	v_mov_b32_e32 v45, s9
	v_add_co_u32_e64 v32, s[6:7], 1, v32
	s_waitcnt vmcnt(2)
	v_sub_co_u32_e32 v43, vcc, v43, v4
	v_subb_co_u32_e32 v44, vcc, v44, v5, vcc
	v_lshlrev_b64 v[43:44], 5, v[43:44]
	s_waitcnt vmcnt(1)
	v_cvt_f64_f32_e32 v[47:48], v35
	v_add_co_u32_e32 v51, vcc, s8, v43
	v_addc_co_u32_e32 v52, vcc, v45, v44, vcc
	global_load_dwordx4 v[43:46], v[51:52], off
	s_waitcnt vmcnt(1)
	v_cvt_f64_f32_e32 v[49:50], v39
	v_cvt_f64_f32_e32 v[35:36], v36
	s_waitcnt vmcnt(0)
	v_fma_f64 v[53:54], v[47:48], v[43:44], v[26:27]
	v_fma_f64 v[55:56], v[49:50], v[43:44], v[24:25]
	global_load_dwordx4 v[24:27], v[16:17], off offset:32
	s_waitcnt vmcnt(0)
	v_cvt_f64_f32_e32 v[47:48], v24
	v_cvt_f64_f32_e32 v[24:25], v25
	v_fma_f64 v[22:23], v[47:48], v[43:44], v[22:23]
	global_load_dwordx4 v[47:50], v[16:17], off offset:48
	v_add_co_u32_e32 v16, vcc, s18, v16
	s_mov_b64 s[2:3], vcc
	v_add_co_u32_e32 v18, vcc, 64, v18
	v_addc_co_u32_e32 v19, vcc, 0, v19, vcc
	v_fma_f64 v[22:23], v[24:25], v[45:46], v[22:23]
	v_addc_co_u32_e64 v33, vcc, 0, v33, s[6:7]
	v_cmp_eq_u64_e64 s[6:7], 0, v[32:33]
	v_add_co_u32_e32 v30, vcc, 0x200, v30
	v_addc_co_u32_e64 v17, s[2:3], 0, v17, s[2:3]
	s_or_b64 s[16:17], s[6:7], s[16:17]
	v_addc_co_u32_e32 v31, vcc, 0, v31, vcc
	s_waitcnt vmcnt(0)
	v_cvt_f64_f32_e32 v[57:58], v47
	v_cvt_f64_f32_e32 v[24:25], v48
	v_fma_f64 v[20:21], v[57:58], v[43:44], v[20:21]
	v_fma_f64 v[43:44], v[35:36], v[45:46], v[53:54]
	v_cvt_f64_f32_e32 v[35:36], v40
	v_fma_f64 v[39:40], v[35:36], v[45:46], v[55:56]
	v_fma_f64 v[20:21], v[24:25], v[45:46], v[20:21]
	v_cvt_f64_f32_e32 v[24:25], v37
	v_cvt_f64_f32_e32 v[45:46], v38
	global_load_dwordx4 v[35:38], v[51:52], off offset:16
	s_waitcnt vmcnt(0)
	v_fma_f64 v[24:25], v[24:25], v[35:36], v[43:44]
	v_cvt_f64_f32_e32 v[43:44], v41
	v_fma_f64 v[39:40], v[43:44], v[35:36], v[39:40]
	v_cvt_f64_f32_e32 v[43:44], v26
	;; [unrolled: 2-line block ×4, first 2 shown]
	v_cvt_f64_f32_e32 v[41:42], v27
	v_cvt_f64_f32_e32 v[43:44], v50
	v_fma_f64 v[26:27], v[45:46], v[37:38], v[24:25]
	v_fma_f64 v[24:25], v[35:36], v[37:38], v[39:40]
	;; [unrolled: 1-line block ×4, first 2 shown]
	s_andn2_b64 exec, exec, s[16:17]
	s_cbranch_execnz .LBB164_19
; %bb.20:
	s_or_b64 exec, exec, s[16:17]
.LBB164_21:
	s_or_b64 exec, exec, s[14:15]
	s_mov_b64 s[2:3], 0xbf
	v_cmp_lt_u64_e32 vcc, s[2:3], v[28:29]
	s_and_saveexec_b64 s[6:7], vcc
	s_cbranch_execz .LBB164_25
; %bb.22:
	v_lshlrev_b64 v[28:29], 3, v[18:19]
	v_mov_b32_e32 v30, s13
	v_add_co_u32_e32 v28, vcc, s12, v28
	v_addc_co_u32_e32 v29, vcc, v30, v29, vcc
	v_add_co_u32_e32 v28, vcc, 0x400, v28
	v_addc_co_u32_e32 v29, vcc, 0, v29, vcc
	s_mov_b64 s[14:15], 0
	v_mov_b32_e32 v30, s9
	s_movk_i32 s16, 0x1000
	s_movk_i32 s17, 0x2000
	;; [unrolled: 1-line block ×3, first 2 shown]
.LBB164_23:                             ; =>This Inner Loop Header: Depth=1
	global_load_dwordx2 v[31:32], v[28:29], off offset:-1024
	global_load_dwordx4 v[35:38], v[16:17], off offset:48
	global_load_dwordx4 v[39:42], v[16:17], off offset:32
	;; [unrolled: 1-line block ×3, first 2 shown]
	global_load_dwordx4 v[47:50], v[16:17], off
	s_waitcnt vmcnt(4)
	v_sub_co_u32_e32 v31, vcc, v31, v4
	v_subb_co_u32_e32 v32, vcc, v32, v5, vcc
	v_lshlrev_b64 v[31:32], 5, v[31:32]
	s_waitcnt vmcnt(0)
	v_cvt_f64_f32_e32 v[59:60], v47
	v_add_co_u32_e32 v31, vcc, s8, v31
	v_addc_co_u32_e32 v32, vcc, v30, v32, vcc
	global_load_dwordx4 v[51:54], v[31:32], off offset:16
	global_load_dwordx4 v[55:58], v[31:32], off
	v_cvt_f64_f32_e32 v[31:32], v48
	s_waitcnt vmcnt(0)
	v_fma_f64 v[26:27], v[59:60], v[55:56], v[26:27]
	v_fma_f64 v[26:27], v[31:32], v[57:58], v[26:27]
	v_cvt_f64_f32_e32 v[31:32], v49
	v_fma_f64 v[26:27], v[31:32], v[51:52], v[26:27]
	v_cvt_f64_f32_e32 v[31:32], v50
	;; [unrolled: 2-line block ×3, first 2 shown]
	v_add_co_u32_e32 v43, vcc, s16, v16
	v_fma_f64 v[24:25], v[26:27], v[55:56], v[24:25]
	v_cvt_f64_f32_e32 v[26:27], v44
	v_addc_co_u32_e32 v44, vcc, 0, v17, vcc
	v_fma_f64 v[24:25], v[26:27], v[57:58], v[24:25]
	v_cvt_f64_f32_e32 v[26:27], v45
	v_fma_f64 v[24:25], v[26:27], v[51:52], v[24:25]
	v_cvt_f64_f32_e32 v[26:27], v46
	;; [unrolled: 2-line block ×10, first 2 shown]
	v_fma_f64 v[51:52], v[22:23], v[53:54], v[20:21]
	global_load_dwordx2 v[20:21], v[28:29], off offset:-512
	s_waitcnt vmcnt(0)
	v_sub_co_u32_e32 v45, vcc, v20, v4
	v_subb_co_u32_e32 v46, vcc, v21, v5, vcc
	v_add_co_u32_e32 v53, vcc, s17, v16
	v_addc_co_u32_e32 v54, vcc, 0, v17, vcc
	global_load_dwordx4 v[20:23], v[53:54], off offset:-4096
	global_load_dwordx4 v[24:27], v[43:44], off offset:48
	global_load_dwordx4 v[35:38], v[43:44], off offset:32
	;; [unrolled: 1-line block ×3, first 2 shown]
	v_lshlrev_b64 v[43:44], 5, v[45:46]
	v_add_co_u32_e32 v57, vcc, s8, v43
	v_addc_co_u32_e32 v58, vcc, v30, v44, vcc
	global_load_dwordx4 v[43:46], v[57:58], off offset:16
	global_load_dwordx4 v[47:50], v[57:58], off
	s_waitcnt vmcnt(5)
	v_cvt_f64_f32_e32 v[55:56], v20
	v_cvt_f64_f32_e32 v[20:21], v21
	s_waitcnt vmcnt(0)
	v_fma_f64 v[31:32], v[55:56], v[47:48], v[31:32]
	v_fma_f64 v[20:21], v[20:21], v[49:50], v[31:32]
	v_cvt_f64_f32_e32 v[31:32], v22
	v_cvt_f64_f32_e32 v[22:23], v23
	v_fma_f64 v[20:21], v[31:32], v[43:44], v[20:21]
	v_fma_f64 v[31:32], v[22:23], v[45:46], v[20:21]
	v_cvt_f64_f32_e32 v[20:21], v39
	v_cvt_f64_f32_e32 v[22:23], v40
	v_fma_f64 v[20:21], v[20:21], v[47:48], v[59:60]
	v_fma_f64 v[20:21], v[22:23], v[49:50], v[20:21]
	v_cvt_f64_f32_e32 v[22:23], v41
	v_fma_f64 v[20:21], v[22:23], v[43:44], v[20:21]
	v_cvt_f64_f32_e32 v[22:23], v42
	v_fma_f64 v[55:56], v[22:23], v[45:46], v[20:21]
	v_cvt_f64_f32_e32 v[20:21], v35
	v_cvt_f64_f32_e32 v[22:23], v36
	v_fma_f64 v[20:21], v[20:21], v[47:48], v[61:62]
	v_fma_f64 v[20:21], v[22:23], v[49:50], v[20:21]
	v_cvt_f64_f32_e32 v[22:23], v37
	v_fma_f64 v[20:21], v[22:23], v[43:44], v[20:21]
	v_cvt_f64_f32_e32 v[22:23], v38
	;; [unrolled: 8-line block ×3, first 2 shown]
	v_fma_f64 v[51:52], v[22:23], v[45:46], v[20:21]
	global_load_dwordx2 v[20:21], v[28:29], off
	s_waitcnt vmcnt(0)
	v_sub_co_u32_e32 v43, vcc, v20, v4
	v_subb_co_u32_e32 v44, vcc, v21, v5, vcc
	v_lshlrev_b64 v[43:44], 5, v[43:44]
	global_load_dwordx4 v[20:23], v[53:54], off
	global_load_dwordx4 v[24:27], v[53:54], off offset:48
	global_load_dwordx4 v[35:38], v[53:54], off offset:32
	;; [unrolled: 1-line block ×3, first 2 shown]
	v_add_co_u32_e32 v59, vcc, s8, v43
	v_addc_co_u32_e32 v60, vcc, v30, v44, vcc
	global_load_dwordx4 v[43:46], v[59:60], off offset:16
	global_load_dwordx4 v[47:50], v[59:60], off
	s_waitcnt vmcnt(5)
	v_cvt_f64_f32_e32 v[53:54], v20
	v_cvt_f64_f32_e32 v[20:21], v21
	s_waitcnt vmcnt(0)
	v_fma_f64 v[31:32], v[53:54], v[47:48], v[31:32]
	v_fma_f64 v[20:21], v[20:21], v[49:50], v[31:32]
	v_cvt_f64_f32_e32 v[31:32], v22
	v_cvt_f64_f32_e32 v[22:23], v23
	v_fma_f64 v[20:21], v[31:32], v[43:44], v[20:21]
	v_fma_f64 v[31:32], v[22:23], v[45:46], v[20:21]
	v_cvt_f64_f32_e32 v[20:21], v39
	v_cvt_f64_f32_e32 v[22:23], v40
	v_fma_f64 v[20:21], v[20:21], v[47:48], v[55:56]
	v_fma_f64 v[20:21], v[22:23], v[49:50], v[20:21]
	v_cvt_f64_f32_e32 v[22:23], v41
	v_fma_f64 v[20:21], v[22:23], v[43:44], v[20:21]
	v_cvt_f64_f32_e32 v[22:23], v42
	v_fma_f64 v[55:56], v[22:23], v[45:46], v[20:21]
	v_cvt_f64_f32_e32 v[20:21], v35
	v_cvt_f64_f32_e32 v[22:23], v36
	v_fma_f64 v[20:21], v[20:21], v[47:48], v[57:58]
	v_fma_f64 v[20:21], v[22:23], v[49:50], v[20:21]
	v_cvt_f64_f32_e32 v[22:23], v37
	v_fma_f64 v[20:21], v[22:23], v[43:44], v[20:21]
	v_cvt_f64_f32_e32 v[22:23], v38
	v_fma_f64 v[57:58], v[22:23], v[45:46], v[20:21]
	v_cvt_f64_f32_e32 v[20:21], v24
	v_cvt_f64_f32_e32 v[22:23], v25
	v_fma_f64 v[20:21], v[20:21], v[47:48], v[51:52]
	v_fma_f64 v[20:21], v[22:23], v[49:50], v[20:21]
	v_cvt_f64_f32_e32 v[22:23], v26
	v_fma_f64 v[20:21], v[22:23], v[43:44], v[20:21]
	v_cvt_f64_f32_e32 v[22:23], v27
	v_fma_f64 v[59:60], v[22:23], v[45:46], v[20:21]
	global_load_dwordx2 v[20:21], v[28:29], off offset:512
	s_waitcnt vmcnt(0)
	v_sub_co_u32_e32 v24, vcc, v20, v4
	v_subb_co_u32_e32 v25, vcc, v21, v5, vcc
	v_add_co_u32_e32 v26, vcc, s18, v16
	v_lshlrev_b64 v[24:25], 5, v[24:25]
	v_addc_co_u32_e32 v27, vcc, 0, v17, vcc
	v_add_co_u32_e32 v24, vcc, s8, v24
	global_load_dwordx4 v[20:23], v[26:27], off
	global_load_dwordx4 v[35:38], v[26:27], off offset:48
	global_load_dwordx4 v[39:42], v[26:27], off offset:32
	;; [unrolled: 1-line block ×3, first 2 shown]
	v_addc_co_u32_e32 v25, vcc, v30, v25, vcc
	global_load_dwordx4 v[47:50], v[24:25], off offset:16
	global_load_dwordx4 v[51:54], v[24:25], off
	v_add_co_u32_e32 v18, vcc, 0x100, v18
	v_addc_co_u32_e32 v19, vcc, 0, v19, vcc
	v_add_co_u32_e32 v28, vcc, 0x800, v28
	v_addc_co_u32_e32 v29, vcc, 0, v29, vcc
	v_cmp_ge_i64_e64 s[2:3], v[18:19], v[6:7]
	v_add_co_u32_e32 v16, vcc, 0x4000, v16
	v_addc_co_u32_e32 v17, vcc, 0, v17, vcc
	s_or_b64 s[14:15], s[2:3], s[14:15]
	s_waitcnt vmcnt(5)
	v_cvt_f64_f32_e32 v[26:27], v20
	v_cvt_f64_f32_e32 v[20:21], v21
	s_waitcnt vmcnt(0)
	v_fma_f64 v[24:25], v[26:27], v[51:52], v[31:32]
	v_cvt_f64_f32_e32 v[31:32], v36
	v_fma_f64 v[20:21], v[20:21], v[53:54], v[24:25]
	v_cvt_f64_f32_e32 v[24:25], v22
	v_cvt_f64_f32_e32 v[22:23], v23
	v_fma_f64 v[20:21], v[24:25], v[47:48], v[20:21]
	v_fma_f64 v[26:27], v[22:23], v[49:50], v[20:21]
	v_cvt_f64_f32_e32 v[20:21], v43
	v_cvt_f64_f32_e32 v[22:23], v44
	v_fma_f64 v[20:21], v[20:21], v[51:52], v[55:56]
	v_fma_f64 v[20:21], v[22:23], v[53:54], v[20:21]
	v_cvt_f64_f32_e32 v[22:23], v45
	v_fma_f64 v[20:21], v[22:23], v[47:48], v[20:21]
	v_cvt_f64_f32_e32 v[22:23], v46
	;; [unrolled: 2-line block ×3, first 2 shown]
	v_cvt_f64_f32_e32 v[22:23], v40
	v_fma_f64 v[20:21], v[20:21], v[51:52], v[57:58]
	v_fma_f64 v[20:21], v[22:23], v[53:54], v[20:21]
	v_cvt_f64_f32_e32 v[22:23], v41
	v_fma_f64 v[20:21], v[22:23], v[47:48], v[20:21]
	v_cvt_f64_f32_e32 v[22:23], v42
	;; [unrolled: 2-line block ×3, first 2 shown]
	v_fma_f64 v[20:21], v[20:21], v[51:52], v[59:60]
	v_fma_f64 v[20:21], v[31:32], v[53:54], v[20:21]
	v_cvt_f64_f32_e32 v[31:32], v37
	v_fma_f64 v[20:21], v[31:32], v[47:48], v[20:21]
	v_cvt_f64_f32_e32 v[31:32], v38
	v_fma_f64 v[20:21], v[31:32], v[49:50], v[20:21]
	s_andn2_b64 exec, exec, s[14:15]
	s_cbranch_execnz .LBB164_23
; %bb.24:
	s_or_b64 exec, exec, s[14:15]
.LBB164_25:
	s_or_b64 exec, exec, s[6:7]
.LBB164_26:
	s_or_b64 exec, exec, s[10:11]
	s_cbranch_execz .LBB164_28
	s_branch .LBB164_39
.LBB164_27:
                                        ; implicit-def: $vgpr20_vgpr21
                                        ; implicit-def: $vgpr22_vgpr23
                                        ; implicit-def: $vgpr24_vgpr25
                                        ; implicit-def: $vgpr26_vgpr27
.LBB164_28:
	v_mov_b32_e32 v20, 0
	v_mov_b32_e32 v22, 0
	;; [unrolled: 1-line block ×8, first 2 shown]
	s_and_saveexec_b64 s[2:3], s[0:1]
	s_cbranch_execz .LBB164_38
; %bb.29:
	v_or_b32_e32 v16, 64, v34
	v_sub_co_u32_e32 v16, vcc, v16, v4
	v_subb_co_u32_e32 v17, vcc, 0, v5, vcc
	v_add_co_u32_e32 v16, vcc, v16, v14
	v_addc_co_u32_e32 v17, vcc, v17, v15, vcc
	v_cmp_gt_i64_e32 vcc, v[16:17], v[6:7]
	v_not_b32_e32 v14, v14
	v_cndmask_b32_e32 v17, v7, v17, vcc
	v_cndmask_b32_e32 v16, v6, v16, vcc
	v_sub_co_u32_e32 v18, vcc, v4, v34
	v_subbrev_co_u32_e32 v19, vcc, 0, v5, vcc
	v_not_b32_e32 v15, v15
	v_add_co_u32_e32 v14, vcc, v18, v14
	v_addc_co_u32_e32 v15, vcc, v19, v15, vcc
	v_add_co_u32_e32 v14, vcc, v14, v16
	v_addc_co_u32_e32 v15, vcc, v15, v17, vcc
	v_and_b32_e32 v16, 0xc0, v14
	v_mov_b32_e32 v17, 0
	s_mov_b64 s[0:1], 0xc0
	v_cmp_ne_u64_e32 vcc, s[0:1], v[16:17]
	v_mov_b32_e32 v26, 0
	v_mov_b32_e32 v24, 0
	;; [unrolled: 1-line block ×8, first 2 shown]
	s_and_saveexec_b64 s[6:7], vcc
	s_cbranch_execz .LBB164_33
; %bb.30:
	v_lshrrev_b32_e32 v16, 6, v14
	v_add_u32_e32 v16, 1, v16
	v_and_b32_e32 v18, 3, v16
	v_lshlrev_b64 v[16:17], 3, v[0:1]
	v_mov_b32_e32 v19, s13
	v_add_co_u32_e32 v16, vcc, s12, v16
	v_addc_co_u32_e32 v17, vcc, v19, v17, vcc
	v_sub_co_u32_e32 v18, vcc, 0, v18
	v_mov_b32_e32 v20, 0
	v_mov_b32_e32 v22, 0
	;; [unrolled: 1-line block ×4, first 2 shown]
	s_mov_b64 s[10:11], 0
	v_subb_co_u32_e64 v19, s[0:1], 0, 0, vcc
	v_mov_b32_e32 v21, 0
	v_mov_b32_e32 v23, 0
	;; [unrolled: 1-line block ×4, first 2 shown]
	s_movk_i32 s14, 0x1000
.LBB164_31:                             ; =>This Inner Loop Header: Depth=1
	global_load_dwordx2 v[32:33], v[16:17], off
	global_load_dwordx4 v[28:31], v[12:13], off offset:16
	global_load_dwordx4 v[35:38], v[12:13], off
	v_mov_b32_e32 v39, s9
	v_add_co_u32_e64 v0, s[0:1], 64, v0
	v_addc_co_u32_e64 v1, s[0:1], 0, v1, s[0:1]
	v_add_co_u32_e64 v18, s[0:1], 1, v18
	v_addc_co_u32_e64 v19, s[0:1], 0, v19, s[0:1]
	v_cmp_eq_u64_e64 s[0:1], 0, v[18:19]
	s_or_b64 s[10:11], s[0:1], s[10:11]
	s_waitcnt vmcnt(2)
	v_sub_co_u32_e32 v32, vcc, v32, v4
	v_subb_co_u32_e32 v33, vcc, v33, v5, vcc
	v_lshlrev_b64 v[32:33], 5, v[32:33]
	s_waitcnt vmcnt(0)
	v_cvt_f64_f32_e32 v[55:56], v37
	v_add_co_u32_e32 v32, vcc, s8, v32
	v_addc_co_u32_e32 v33, vcc, v39, v33, vcc
	global_load_dwordx4 v[39:42], v[32:33], off
	global_load_dwordx4 v[43:46], v[32:33], off offset:16
	global_load_dwordx4 v[47:50], v[12:13], off offset:32
	;; [unrolled: 1-line block ×3, first 2 shown]
	v_cvt_f64_f32_e32 v[32:33], v35
	v_cvt_f64_f32_e32 v[35:36], v36
	;; [unrolled: 1-line block ×3, first 2 shown]
	v_add_co_u32_e32 v12, vcc, s14, v12
	v_addc_co_u32_e32 v13, vcc, 0, v13, vcc
	v_add_co_u32_e32 v16, vcc, 0x200, v16
	v_addc_co_u32_e32 v17, vcc, 0, v17, vcc
	s_waitcnt vmcnt(3)
	v_fma_f64 v[26:27], v[32:33], v[39:40], v[26:27]
	v_fma_f64 v[24:25], v[35:36], v[39:40], v[24:25]
	v_fma_f64 v[22:23], v[55:56], v[39:40], v[22:23]
	v_fma_f64 v[20:21], v[37:38], v[39:40], v[20:21]
	v_cvt_f64_f32_e32 v[32:33], v28
	v_cvt_f64_f32_e32 v[28:29], v29
	;; [unrolled: 1-line block ×4, first 2 shown]
	v_fma_f64 v[26:27], v[32:33], v[41:42], v[26:27]
	v_fma_f64 v[24:25], v[28:29], v[41:42], v[24:25]
	v_fma_f64 v[22:23], v[35:36], v[41:42], v[22:23]
	v_fma_f64 v[20:21], v[30:31], v[41:42], v[20:21]
	s_waitcnt vmcnt(1)
	v_cvt_f64_f32_e32 v[28:29], v47
	v_cvt_f64_f32_e32 v[30:31], v48
	;; [unrolled: 1-line block ×4, first 2 shown]
	v_fma_f64 v[26:27], v[28:29], v[43:44], v[26:27]
	v_fma_f64 v[24:25], v[30:31], v[43:44], v[24:25]
	;; [unrolled: 1-line block ×4, first 2 shown]
	s_waitcnt vmcnt(0)
	v_cvt_f64_f32_e32 v[28:29], v51
	v_cvt_f64_f32_e32 v[30:31], v52
	;; [unrolled: 1-line block ×4, first 2 shown]
	v_fma_f64 v[26:27], v[28:29], v[45:46], v[26:27]
	v_fma_f64 v[24:25], v[30:31], v[45:46], v[24:25]
	;; [unrolled: 1-line block ×4, first 2 shown]
	s_andn2_b64 exec, exec, s[10:11]
	s_cbranch_execnz .LBB164_31
; %bb.32:
	s_or_b64 exec, exec, s[10:11]
.LBB164_33:
	s_or_b64 exec, exec, s[6:7]
	s_mov_b64 s[0:1], 0xbf
	v_cmp_lt_u64_e32 vcc, s[0:1], v[14:15]
	s_and_saveexec_b64 s[6:7], vcc
	s_cbranch_execz .LBB164_37
; %bb.34:
	v_lshlrev_b64 v[14:15], 3, v[0:1]
	v_mov_b32_e32 v16, s13
	v_add_co_u32_e32 v14, vcc, s12, v14
	v_addc_co_u32_e32 v15, vcc, v16, v15, vcc
	v_add_co_u32_e32 v14, vcc, 0x400, v14
	v_addc_co_u32_e32 v15, vcc, 0, v15, vcc
	s_mov_b64 s[10:11], 0
	v_mov_b32_e32 v16, s9
	s_movk_i32 s9, 0x1000
	s_movk_i32 s12, 0x2000
	;; [unrolled: 1-line block ×3, first 2 shown]
.LBB164_35:                             ; =>This Inner Loop Header: Depth=1
	global_load_dwordx2 v[17:18], v[14:15], off offset:-1024
	global_load_dwordx4 v[28:31], v[12:13], off offset:48
	global_load_dwordx4 v[35:38], v[12:13], off offset:32
	;; [unrolled: 1-line block ×3, first 2 shown]
	global_load_dwordx4 v[43:46], v[12:13], off
	s_waitcnt vmcnt(4)
	v_sub_co_u32_e32 v17, vcc, v17, v4
	v_subb_co_u32_e32 v18, vcc, v18, v5, vcc
	v_lshlrev_b64 v[17:18], 5, v[17:18]
	s_waitcnt vmcnt(0)
	v_cvt_f64_f32_e32 v[32:33], v43
	v_add_co_u32_e32 v17, vcc, s8, v17
	v_addc_co_u32_e32 v18, vcc, v16, v18, vcc
	global_load_dwordx4 v[47:50], v[17:18], off offset:16
	global_load_dwordx4 v[51:54], v[17:18], off
	s_waitcnt vmcnt(0)
	v_fma_f64 v[17:18], v[32:33], v[51:52], v[26:27]
	v_cvt_f64_f32_e32 v[26:27], v44
	v_fma_f64 v[24:25], v[26:27], v[51:52], v[24:25]
	v_cvt_f64_f32_e32 v[26:27], v45
	;; [unrolled: 2-line block ×8, first 2 shown]
	v_add_co_u32_e32 v35, vcc, s9, v12
	v_fma_f64 v[17:18], v[26:27], v[47:48], v[17:18]
	v_cvt_f64_f32_e32 v[26:27], v36
	v_addc_co_u32_e32 v36, vcc, 0, v13, vcc
	v_fma_f64 v[23:24], v[26:27], v[47:48], v[24:25]
	v_cvt_f64_f32_e32 v[25:26], v37
	v_fma_f64 v[21:22], v[25:26], v[47:48], v[21:22]
	v_cvt_f64_f32_e32 v[25:26], v38
	;; [unrolled: 2-line block ×6, first 2 shown]
	v_fma_f64 v[49:50], v[17:18], v[49:50], v[19:20]
	global_load_dwordx2 v[17:18], v[14:15], off offset:-512
	s_waitcnt vmcnt(0)
	v_sub_co_u32_e32 v37, vcc, v17, v4
	v_subb_co_u32_e32 v38, vcc, v18, v5, vcc
	v_add_co_u32_e32 v51, vcc, s12, v12
	v_addc_co_u32_e32 v52, vcc, 0, v13, vcc
	global_load_dwordx4 v[17:20], v[51:52], off offset:-4096
	global_load_dwordx4 v[21:24], v[35:36], off offset:48
	global_load_dwordx4 v[25:28], v[35:36], off offset:32
	;; [unrolled: 1-line block ×3, first 2 shown]
	v_lshlrev_b64 v[35:36], 5, v[37:38]
	v_add_co_u32_e32 v55, vcc, s8, v35
	v_addc_co_u32_e32 v56, vcc, v16, v36, vcc
	global_load_dwordx4 v[35:38], v[55:56], off offset:16
	global_load_dwordx4 v[39:42], v[55:56], off
	s_waitcnt vmcnt(5)
	v_cvt_f64_f32_e32 v[53:54], v17
	v_cvt_f64_f32_e32 v[17:18], v18
	s_waitcnt vmcnt(0)
	v_fma_f64 v[17:18], v[17:18], v[39:40], v[45:46]
	v_cvt_f64_f32_e32 v[45:46], v19
	v_cvt_f64_f32_e32 v[19:20], v20
	v_fma_f64 v[43:44], v[53:54], v[39:40], v[43:44]
	v_fma_f64 v[45:46], v[45:46], v[39:40], v[47:48]
	;; [unrolled: 1-line block ×3, first 2 shown]
	v_cvt_f64_f32_e32 v[39:40], v29
	v_cvt_f64_f32_e32 v[29:30], v30
	v_fma_f64 v[39:40], v[39:40], v[41:42], v[43:44]
	v_fma_f64 v[17:18], v[29:30], v[41:42], v[17:18]
	v_cvt_f64_f32_e32 v[29:30], v31
	v_cvt_f64_f32_e32 v[31:32], v32
	v_fma_f64 v[29:30], v[29:30], v[41:42], v[45:46]
	v_fma_f64 v[19:20], v[31:32], v[41:42], v[19:20]
	;; [unrolled: 4-line block ×5, first 2 shown]
	v_cvt_f64_f32_e32 v[17:18], v23
	v_fma_f64 v[47:48], v[17:18], v[37:38], v[25:26]
	v_cvt_f64_f32_e32 v[17:18], v24
	v_fma_f64 v[49:50], v[17:18], v[37:38], v[19:20]
	global_load_dwordx2 v[17:18], v[14:15], off
	s_waitcnt vmcnt(0)
	v_sub_co_u32_e32 v35, vcc, v17, v4
	v_subb_co_u32_e32 v36, vcc, v18, v5, vcc
	v_lshlrev_b64 v[35:36], 5, v[35:36]
	global_load_dwordx4 v[17:20], v[51:52], off
	global_load_dwordx4 v[21:24], v[51:52], off offset:48
	global_load_dwordx4 v[25:28], v[51:52], off offset:32
	;; [unrolled: 1-line block ×3, first 2 shown]
	v_add_co_u32_e32 v53, vcc, s8, v35
	v_addc_co_u32_e32 v54, vcc, v16, v36, vcc
	global_load_dwordx4 v[35:38], v[53:54], off offset:16
	global_load_dwordx4 v[39:42], v[53:54], off
	s_waitcnt vmcnt(5)
	v_cvt_f64_f32_e32 v[51:52], v17
	v_cvt_f64_f32_e32 v[17:18], v18
	s_waitcnt vmcnt(0)
	v_fma_f64 v[17:18], v[17:18], v[39:40], v[45:46]
	v_cvt_f64_f32_e32 v[45:46], v19
	v_cvt_f64_f32_e32 v[19:20], v20
	v_fma_f64 v[43:44], v[51:52], v[39:40], v[43:44]
	v_fma_f64 v[45:46], v[45:46], v[39:40], v[47:48]
	;; [unrolled: 1-line block ×3, first 2 shown]
	v_cvt_f64_f32_e32 v[39:40], v29
	v_cvt_f64_f32_e32 v[29:30], v30
	v_fma_f64 v[39:40], v[39:40], v[41:42], v[43:44]
	v_fma_f64 v[17:18], v[29:30], v[41:42], v[17:18]
	v_cvt_f64_f32_e32 v[29:30], v31
	v_cvt_f64_f32_e32 v[31:32], v32
	v_fma_f64 v[29:30], v[29:30], v[41:42], v[45:46]
	v_fma_f64 v[19:20], v[31:32], v[41:42], v[19:20]
	;; [unrolled: 4-line block ×5, first 2 shown]
	v_cvt_f64_f32_e32 v[17:18], v23
	v_fma_f64 v[25:26], v[17:18], v[37:38], v[25:26]
	v_cvt_f64_f32_e32 v[17:18], v24
	v_fma_f64 v[49:50], v[17:18], v[37:38], v[19:20]
	global_load_dwordx2 v[17:18], v[14:15], off offset:512
	s_waitcnt vmcnt(0)
	v_sub_co_u32_e32 v39, vcc, v17, v4
	v_subb_co_u32_e32 v40, vcc, v18, v5, vcc
	v_add_co_u32_e32 v41, vcc, s13, v12
	v_lshlrev_b64 v[39:40], 5, v[39:40]
	v_addc_co_u32_e32 v42, vcc, 0, v13, vcc
	v_add_co_u32_e32 v53, vcc, s8, v39
	global_load_dwordx4 v[17:20], v[41:42], off
	global_load_dwordx4 v[27:30], v[41:42], off offset:48
	global_load_dwordx4 v[21:24], v[41:42], off offset:32
	;; [unrolled: 1-line block ×3, first 2 shown]
	v_addc_co_u32_e32 v54, vcc, v16, v40, vcc
	global_load_dwordx4 v[39:42], v[53:54], off offset:16
	global_load_dwordx4 v[43:46], v[53:54], off
	v_add_co_u32_e32 v0, vcc, 0x100, v0
	v_addc_co_u32_e32 v1, vcc, 0, v1, vcc
	v_add_co_u32_e32 v14, vcc, 0x800, v14
	v_addc_co_u32_e32 v15, vcc, 0, v15, vcc
	v_cmp_ge_i64_e64 s[0:1], v[0:1], v[6:7]
	v_add_co_u32_e32 v12, vcc, 0x4000, v12
	v_addc_co_u32_e32 v13, vcc, 0, v13, vcc
	s_or_b64 s[10:11], s[0:1], s[10:11]
	s_waitcnt vmcnt(5)
	v_cvt_f64_f32_e32 v[51:52], v17
	v_cvt_f64_f32_e32 v[17:18], v18
	s_waitcnt vmcnt(0)
	v_fma_f64 v[17:18], v[17:18], v[43:44], v[47:48]
	v_cvt_f64_f32_e32 v[47:48], v19
	v_cvt_f64_f32_e32 v[19:20], v20
	v_fma_f64 v[31:32], v[51:52], v[43:44], v[31:32]
	v_fma_f64 v[25:26], v[47:48], v[43:44], v[25:26]
	;; [unrolled: 1-line block ×3, first 2 shown]
	v_cvt_f64_f32_e32 v[43:44], v35
	v_cvt_f64_f32_e32 v[35:36], v36
	v_fma_f64 v[31:32], v[43:44], v[45:46], v[31:32]
	v_fma_f64 v[17:18], v[35:36], v[45:46], v[17:18]
	v_cvt_f64_f32_e32 v[35:36], v37
	v_fma_f64 v[25:26], v[35:36], v[45:46], v[25:26]
	v_cvt_f64_f32_e32 v[35:36], v38
	;; [unrolled: 2-line block ×3, first 2 shown]
	v_cvt_f64_f32_e32 v[21:22], v22
	v_fma_f64 v[31:32], v[35:36], v[39:40], v[31:32]
	v_fma_f64 v[17:18], v[21:22], v[39:40], v[17:18]
	v_cvt_f64_f32_e32 v[21:22], v23
	v_cvt_f64_f32_e32 v[23:24], v24
	v_fma_f64 v[21:22], v[21:22], v[39:40], v[25:26]
	v_fma_f64 v[19:20], v[23:24], v[39:40], v[19:20]
	v_cvt_f64_f32_e32 v[23:24], v27
	v_fma_f64 v[26:27], v[23:24], v[41:42], v[31:32]
	v_cvt_f64_f32_e32 v[23:24], v28
	;; [unrolled: 2-line block ×4, first 2 shown]
	v_fma_f64 v[20:21], v[17:18], v[41:42], v[19:20]
	s_andn2_b64 exec, exec, s[10:11]
	s_cbranch_execnz .LBB164_35
; %bb.36:
	s_or_b64 exec, exec, s[10:11]
.LBB164_37:
	s_or_b64 exec, exec, s[6:7]
.LBB164_38:
	s_or_b64 exec, exec, s[2:3]
.LBB164_39:
	v_mov_b32_dpp v0, v26 row_shr:1 row_mask:0xf bank_mask:0xf
	v_mov_b32_dpp v1, v27 row_shr:1 row_mask:0xf bank_mask:0xf
	v_add_f64 v[0:1], v[26:27], v[0:1]
	v_mov_b32_dpp v4, v24 row_shr:1 row_mask:0xf bank_mask:0xf
	v_mov_b32_dpp v5, v25 row_shr:1 row_mask:0xf bank_mask:0xf
	v_add_f64 v[4:5], v[24:25], v[4:5]
	;; [unrolled: 3-line block ×3, first 2 shown]
	v_cmp_eq_u32_e32 vcc, 63, v34
	v_mov_b32_dpp v6, v0 row_shr:2 row_mask:0xf bank_mask:0xf
	v_mov_b32_dpp v7, v1 row_shr:2 row_mask:0xf bank_mask:0xf
	v_add_f64 v[0:1], v[0:1], v[6:7]
	v_mov_b32_dpp v6, v22 row_shr:1 row_mask:0xf bank_mask:0xf
	v_mov_b32_dpp v7, v23 row_shr:1 row_mask:0xf bank_mask:0xf
	v_add_f64 v[6:7], v[22:23], v[6:7]
	v_mov_b32_dpp v14, v4 row_shr:2 row_mask:0xf bank_mask:0xf
	v_mov_b32_dpp v15, v0 row_shr:4 row_mask:0xf bank_mask:0xe
	v_mov_b32_dpp v16, v1 row_shr:4 row_mask:0xf bank_mask:0xe
	v_add_f64 v[0:1], v[0:1], v[15:16]
	v_mov_b32_dpp v15, v5 row_shr:2 row_mask:0xf bank_mask:0xf
	;; [unrolled: 4-line block ×3, first 2 shown]
	v_add_f64 v[6:7], v[6:7], v[16:17]
	v_mov_b32_dpp v15, v13 row_shr:2 row_mask:0xf bank_mask:0xf
	v_add_f64 v[12:13], v[12:13], v[14:15]
	v_mov_b32_dpp v16, v0 row_shr:8 row_mask:0xf bank_mask:0xc
	v_mov_b32_dpp v17, v1 row_shr:8 row_mask:0xf bank_mask:0xc
	v_add_f64 v[0:1], v[0:1], v[16:17]
	v_mov_b32_dpp v14, v4 row_shr:4 row_mask:0xf bank_mask:0xe
	v_mov_b32_dpp v15, v5 row_shr:4 row_mask:0xf bank_mask:0xe
	;; [unrolled: 1-line block ×3, first 2 shown]
	v_add_f64 v[4:5], v[4:5], v[14:15]
	v_mov_b32_dpp v17, v7 row_shr:4 row_mask:0xf bank_mask:0xe
	v_add_f64 v[6:7], v[6:7], v[16:17]
	v_mov_b32_dpp v15, v12 row_shr:4 row_mask:0xf bank_mask:0xe
	v_mov_b32_dpp v16, v13 row_shr:4 row_mask:0xf bank_mask:0xe
	v_add_f64 v[12:13], v[12:13], v[15:16]
	v_mov_b32_dpp v14, v0 row_bcast:15 row_mask:0xa bank_mask:0xf
	v_mov_b32_dpp v15, v1 row_bcast:15 row_mask:0xa bank_mask:0xf
	v_mov_b32_dpp v16, v4 row_shr:8 row_mask:0xf bank_mask:0xc
	v_mov_b32_dpp v17, v5 row_shr:8 row_mask:0xf bank_mask:0xc
	v_add_f64 v[4:5], v[4:5], v[16:17]
	v_mov_b32_dpp v16, v6 row_shr:8 row_mask:0xf bank_mask:0xc
	v_mov_b32_dpp v17, v7 row_shr:8 row_mask:0xf bank_mask:0xc
	v_add_f64 v[6:7], v[6:7], v[16:17]
	;; [unrolled: 3-line block ×3, first 2 shown]
	v_add_f64 v[0:1], v[0:1], v[14:15]
	v_mov_b32_dpp v14, v4 row_bcast:15 row_mask:0xa bank_mask:0xf
	v_mov_b32_dpp v15, v5 row_bcast:15 row_mask:0xa bank_mask:0xf
	v_add_f64 v[4:5], v[4:5], v[14:15]
	v_mov_b32_dpp v14, v6 row_bcast:15 row_mask:0xa bank_mask:0xf
	v_mov_b32_dpp v15, v7 row_bcast:15 row_mask:0xa bank_mask:0xf
	v_add_f64 v[6:7], v[6:7], v[14:15]
	v_mov_b32_dpp v14, v12 row_bcast:15 row_mask:0xa bank_mask:0xf
	v_mov_b32_dpp v15, v13 row_bcast:15 row_mask:0xa bank_mask:0xf
	v_add_f64 v[12:13], v[12:13], v[14:15]
	v_mov_b32_dpp v20, v0 row_bcast:31 row_mask:0xc bank_mask:0xf
	v_mov_b32_dpp v21, v1 row_bcast:31 row_mask:0xc bank_mask:0xf
	v_mov_b32_dpp v18, v4 row_bcast:31 row_mask:0xc bank_mask:0xf
	v_mov_b32_dpp v19, v5 row_bcast:31 row_mask:0xc bank_mask:0xf
	;; [unrolled: 1-line block ×6, first 2 shown]
	s_and_b64 exec, exec, vcc
	s_cbranch_execz .LBB164_10
; %bb.40:
	v_add_f64 v[0:1], v[0:1], v[20:21]
	v_add_f64 v[18:19], v[4:5], v[18:19]
	;; [unrolled: 1-line block ×4, first 2 shown]
	v_cmp_eq_f64_e32 vcc, 0, v[8:9]
	s_load_dwordx2 s[0:1], s[4:5], 0x58
	v_lshlrev_b64 v[10:11], 5, v[10:11]
	v_mul_f64 v[4:5], v[2:3], v[0:1]
	v_mul_f64 v[6:7], v[2:3], v[18:19]
	;; [unrolled: 1-line block ×4, first 2 shown]
	s_and_saveexec_b64 s[2:3], vcc
	s_xor_b64 s[2:3], exec, s[2:3]
	s_cbranch_execz .LBB164_42
; %bb.41:
	s_waitcnt lgkmcnt(0)
	v_mov_b32_e32 v9, s1
	v_add_co_u32_e32 v8, vcc, s0, v10
	v_addc_co_u32_e32 v9, vcc, v9, v11, vcc
	global_store_dwordx4 v[8:9], v[4:7], off
	global_store_dwordx4 v[8:9], v[0:3], off offset:16
                                        ; implicit-def: $vgpr10_vgpr11
                                        ; implicit-def: $vgpr8_vgpr9
                                        ; implicit-def: $vgpr4_vgpr5
                                        ; implicit-def: $vgpr0_vgpr1
.LBB164_42:
	s_andn2_saveexec_b64 s[2:3], s[2:3]
	s_cbranch_execz .LBB164_10
; %bb.43:
	s_waitcnt lgkmcnt(0)
	v_mov_b32_e32 v12, s1
	v_add_co_u32_e32 v18, vcc, s0, v10
	v_addc_co_u32_e32 v19, vcc, v12, v11, vcc
	global_load_dwordx4 v[10:13], v[18:19], off
	global_load_dwordx4 v[14:17], v[18:19], off offset:16
	s_waitcnt vmcnt(1)
	v_fma_f64 v[4:5], v[8:9], v[10:11], v[4:5]
	v_fma_f64 v[6:7], v[8:9], v[12:13], v[6:7]
	s_waitcnt vmcnt(0)
	v_fma_f64 v[0:1], v[8:9], v[14:15], v[0:1]
	v_fma_f64 v[2:3], v[8:9], v[16:17], v[2:3]
	global_store_dwordx4 v[18:19], v[4:7], off
	global_store_dwordx4 v[18:19], v[0:3], off offset:16
	s_endpgm
	.section	.rodata,"a",@progbits
	.p2align	6, 0x0
	.amdhsa_kernel _ZN9rocsparseL18bsrxmvn_4x4_kernelILj128ELj64EdllfddEEvT3_20rocsparse_direction_NS_24const_host_device_scalarIT1_EES1_PKS1_PKT2_SA_S7_PKT4_PKT5_S5_PT6_21rocsparse_index_base_b
		.amdhsa_group_segment_fixed_size 0
		.amdhsa_private_segment_fixed_size 0
		.amdhsa_kernarg_size 104
		.amdhsa_user_sgpr_count 6
		.amdhsa_user_sgpr_private_segment_buffer 1
		.amdhsa_user_sgpr_dispatch_ptr 0
		.amdhsa_user_sgpr_queue_ptr 0
		.amdhsa_user_sgpr_kernarg_segment_ptr 1
		.amdhsa_user_sgpr_dispatch_id 0
		.amdhsa_user_sgpr_flat_scratch_init 0
		.amdhsa_user_sgpr_private_segment_size 0
		.amdhsa_uses_dynamic_stack 0
		.amdhsa_system_sgpr_private_segment_wavefront_offset 0
		.amdhsa_system_sgpr_workgroup_id_x 1
		.amdhsa_system_sgpr_workgroup_id_y 0
		.amdhsa_system_sgpr_workgroup_id_z 0
		.amdhsa_system_sgpr_workgroup_info 0
		.amdhsa_system_vgpr_workitem_id 0
		.amdhsa_next_free_vgpr 63
		.amdhsa_next_free_sgpr 19
		.amdhsa_reserve_vcc 1
		.amdhsa_reserve_flat_scratch 0
		.amdhsa_float_round_mode_32 0
		.amdhsa_float_round_mode_16_64 0
		.amdhsa_float_denorm_mode_32 3
		.amdhsa_float_denorm_mode_16_64 3
		.amdhsa_dx10_clamp 1
		.amdhsa_ieee_mode 1
		.amdhsa_fp16_overflow 0
		.amdhsa_exception_fp_ieee_invalid_op 0
		.amdhsa_exception_fp_denorm_src 0
		.amdhsa_exception_fp_ieee_div_zero 0
		.amdhsa_exception_fp_ieee_overflow 0
		.amdhsa_exception_fp_ieee_underflow 0
		.amdhsa_exception_fp_ieee_inexact 0
		.amdhsa_exception_int_div_zero 0
	.end_amdhsa_kernel
	.section	.text._ZN9rocsparseL18bsrxmvn_4x4_kernelILj128ELj64EdllfddEEvT3_20rocsparse_direction_NS_24const_host_device_scalarIT1_EES1_PKS1_PKT2_SA_S7_PKT4_PKT5_S5_PT6_21rocsparse_index_base_b,"axG",@progbits,_ZN9rocsparseL18bsrxmvn_4x4_kernelILj128ELj64EdllfddEEvT3_20rocsparse_direction_NS_24const_host_device_scalarIT1_EES1_PKS1_PKT2_SA_S7_PKT4_PKT5_S5_PT6_21rocsparse_index_base_b,comdat
.Lfunc_end164:
	.size	_ZN9rocsparseL18bsrxmvn_4x4_kernelILj128ELj64EdllfddEEvT3_20rocsparse_direction_NS_24const_host_device_scalarIT1_EES1_PKS1_PKT2_SA_S7_PKT4_PKT5_S5_PT6_21rocsparse_index_base_b, .Lfunc_end164-_ZN9rocsparseL18bsrxmvn_4x4_kernelILj128ELj64EdllfddEEvT3_20rocsparse_direction_NS_24const_host_device_scalarIT1_EES1_PKS1_PKT2_SA_S7_PKT4_PKT5_S5_PT6_21rocsparse_index_base_b
                                        ; -- End function
	.set _ZN9rocsparseL18bsrxmvn_4x4_kernelILj128ELj64EdllfddEEvT3_20rocsparse_direction_NS_24const_host_device_scalarIT1_EES1_PKS1_PKT2_SA_S7_PKT4_PKT5_S5_PT6_21rocsparse_index_base_b.num_vgpr, 63
	.set _ZN9rocsparseL18bsrxmvn_4x4_kernelILj128ELj64EdllfddEEvT3_20rocsparse_direction_NS_24const_host_device_scalarIT1_EES1_PKS1_PKT2_SA_S7_PKT4_PKT5_S5_PT6_21rocsparse_index_base_b.num_agpr, 0
	.set _ZN9rocsparseL18bsrxmvn_4x4_kernelILj128ELj64EdllfddEEvT3_20rocsparse_direction_NS_24const_host_device_scalarIT1_EES1_PKS1_PKT2_SA_S7_PKT4_PKT5_S5_PT6_21rocsparse_index_base_b.numbered_sgpr, 19
	.set _ZN9rocsparseL18bsrxmvn_4x4_kernelILj128ELj64EdllfddEEvT3_20rocsparse_direction_NS_24const_host_device_scalarIT1_EES1_PKS1_PKT2_SA_S7_PKT4_PKT5_S5_PT6_21rocsparse_index_base_b.num_named_barrier, 0
	.set _ZN9rocsparseL18bsrxmvn_4x4_kernelILj128ELj64EdllfddEEvT3_20rocsparse_direction_NS_24const_host_device_scalarIT1_EES1_PKS1_PKT2_SA_S7_PKT4_PKT5_S5_PT6_21rocsparse_index_base_b.private_seg_size, 0
	.set _ZN9rocsparseL18bsrxmvn_4x4_kernelILj128ELj64EdllfddEEvT3_20rocsparse_direction_NS_24const_host_device_scalarIT1_EES1_PKS1_PKT2_SA_S7_PKT4_PKT5_S5_PT6_21rocsparse_index_base_b.uses_vcc, 1
	.set _ZN9rocsparseL18bsrxmvn_4x4_kernelILj128ELj64EdllfddEEvT3_20rocsparse_direction_NS_24const_host_device_scalarIT1_EES1_PKS1_PKT2_SA_S7_PKT4_PKT5_S5_PT6_21rocsparse_index_base_b.uses_flat_scratch, 0
	.set _ZN9rocsparseL18bsrxmvn_4x4_kernelILj128ELj64EdllfddEEvT3_20rocsparse_direction_NS_24const_host_device_scalarIT1_EES1_PKS1_PKT2_SA_S7_PKT4_PKT5_S5_PT6_21rocsparse_index_base_b.has_dyn_sized_stack, 0
	.set _ZN9rocsparseL18bsrxmvn_4x4_kernelILj128ELj64EdllfddEEvT3_20rocsparse_direction_NS_24const_host_device_scalarIT1_EES1_PKS1_PKT2_SA_S7_PKT4_PKT5_S5_PT6_21rocsparse_index_base_b.has_recursion, 0
	.set _ZN9rocsparseL18bsrxmvn_4x4_kernelILj128ELj64EdllfddEEvT3_20rocsparse_direction_NS_24const_host_device_scalarIT1_EES1_PKS1_PKT2_SA_S7_PKT4_PKT5_S5_PT6_21rocsparse_index_base_b.has_indirect_call, 0
	.section	.AMDGPU.csdata,"",@progbits
; Kernel info:
; codeLenInByte = 5192
; TotalNumSgprs: 23
; NumVgprs: 63
; ScratchSize: 0
; MemoryBound: 0
; FloatMode: 240
; IeeeMode: 1
; LDSByteSize: 0 bytes/workgroup (compile time only)
; SGPRBlocks: 2
; VGPRBlocks: 15
; NumSGPRsForWavesPerEU: 23
; NumVGPRsForWavesPerEU: 63
; Occupancy: 4
; WaveLimiterHint : 1
; COMPUTE_PGM_RSRC2:SCRATCH_EN: 0
; COMPUTE_PGM_RSRC2:USER_SGPR: 6
; COMPUTE_PGM_RSRC2:TRAP_HANDLER: 0
; COMPUTE_PGM_RSRC2:TGID_X_EN: 1
; COMPUTE_PGM_RSRC2:TGID_Y_EN: 0
; COMPUTE_PGM_RSRC2:TGID_Z_EN: 0
; COMPUTE_PGM_RSRC2:TIDIG_COMP_CNT: 0
	.section	.text._ZN9rocsparseL18bsrxmvn_4x4_kernelILj128ELj4E21rocsparse_complex_numIdEiiS1_IfES2_S2_EEvT3_20rocsparse_direction_NS_24const_host_device_scalarIT1_EES4_PKS4_PKT2_SD_SA_PKT4_PKT5_S8_PT6_21rocsparse_index_base_b,"axG",@progbits,_ZN9rocsparseL18bsrxmvn_4x4_kernelILj128ELj4E21rocsparse_complex_numIdEiiS1_IfES2_S2_EEvT3_20rocsparse_direction_NS_24const_host_device_scalarIT1_EES4_PKS4_PKT2_SD_SA_PKT4_PKT5_S8_PT6_21rocsparse_index_base_b,comdat
	.globl	_ZN9rocsparseL18bsrxmvn_4x4_kernelILj128ELj4E21rocsparse_complex_numIdEiiS1_IfES2_S2_EEvT3_20rocsparse_direction_NS_24const_host_device_scalarIT1_EES4_PKS4_PKT2_SD_SA_PKT4_PKT5_S8_PT6_21rocsparse_index_base_b ; -- Begin function _ZN9rocsparseL18bsrxmvn_4x4_kernelILj128ELj4E21rocsparse_complex_numIdEiiS1_IfES2_S2_EEvT3_20rocsparse_direction_NS_24const_host_device_scalarIT1_EES4_PKS4_PKT2_SD_SA_PKT4_PKT5_S8_PT6_21rocsparse_index_base_b
	.p2align	8
	.type	_ZN9rocsparseL18bsrxmvn_4x4_kernelILj128ELj4E21rocsparse_complex_numIdEiiS1_IfES2_S2_EEvT3_20rocsparse_direction_NS_24const_host_device_scalarIT1_EES4_PKS4_PKT2_SD_SA_PKT4_PKT5_S8_PT6_21rocsparse_index_base_b,@function
_ZN9rocsparseL18bsrxmvn_4x4_kernelILj128ELj4E21rocsparse_complex_numIdEiiS1_IfES2_S2_EEvT3_20rocsparse_direction_NS_24const_host_device_scalarIT1_EES4_PKS4_PKT2_SD_SA_PKT4_PKT5_S8_PT6_21rocsparse_index_base_b: ; @_ZN9rocsparseL18bsrxmvn_4x4_kernelILj128ELj4E21rocsparse_complex_numIdEiiS1_IfES2_S2_EEvT3_20rocsparse_direction_NS_24const_host_device_scalarIT1_EES4_PKS4_PKT2_SD_SA_PKT4_PKT5_S8_PT6_21rocsparse_index_base_b
; %bb.0:
	s_load_dwordx2 s[0:1], s[4:5], 0x8
	s_load_dwordx2 s[16:17], s[4:5], 0x68
	s_add_u32 s7, s4, 8
	s_addc_u32 s8, s5, 0
	s_add_u32 s9, s4, 0x50
	s_addc_u32 s10, s5, 0
	s_waitcnt lgkmcnt(0)
	s_bitcmp1_b32 s17, 0
	s_cselect_b32 s1, s8, s1
	s_cselect_b32 s0, s7, s0
	v_mov_b32_e32 v1, s0
	v_mov_b32_e32 v2, s1
	flat_load_dwordx4 v[5:8], v[1:2]
	s_load_dwordx2 s[2:3], s[4:5], 0x50
	s_waitcnt lgkmcnt(0)
	s_cselect_b32 s0, s10, s3
	s_cselect_b32 s1, s9, s2
	v_mov_b32_e32 v1, s1
	v_mov_b32_e32 v2, s0
	flat_load_dwordx4 v[1:4], v[1:2]
	s_waitcnt vmcnt(0)
	v_cmp_eq_f64_e32 vcc, 0, v[5:6]
	v_cmp_eq_f64_e64 s[0:1], 0, v[7:8]
	s_and_b64 s[8:9], vcc, s[0:1]
	s_mov_b64 s[0:1], -1
	s_and_saveexec_b64 s[2:3], s[8:9]
	s_cbranch_execz .LBB165_2
; %bb.1:
	s_waitcnt lgkmcnt(0)
	v_cmp_neq_f64_e32 vcc, 1.0, v[1:2]
	v_cmp_neq_f64_e64 s[0:1], 0, v[3:4]
	s_or_b64 s[0:1], vcc, s[0:1]
	s_orn2_b64 s[0:1], s[0:1], exec
.LBB165_2:
	s_or_b64 exec, exec, s[2:3]
	s_and_saveexec_b64 s[2:3], s[0:1]
	s_cbranch_execz .LBB165_8
; %bb.3:
	s_load_dwordx2 s[8:9], s[4:5], 0x20
	s_load_dwordx2 s[0:1], s[4:5], 0x0
	v_lshrrev_b32_e32 v9, 2, v0
	v_lshl_or_b32 v25, s6, 5, v9
	s_mov_b64 s[2:3], 0
	s_waitcnt lgkmcnt(0)
	s_cmp_lg_u64 s[8:9], 0
	s_cbranch_scc0 .LBB165_9
; %bb.4:
	s_load_dword s6, s[4:5], 0x18
                                        ; implicit-def: $vgpr9
	s_waitcnt lgkmcnt(0)
	v_cmp_gt_i32_e32 vcc, s6, v25
	s_and_saveexec_b64 s[6:7], vcc
	s_xor_b64 s[6:7], exec, s[6:7]
	s_cbranch_execz .LBB165_6
; %bb.5:
	v_ashrrev_i32_e32 v26, 31, v25
	v_lshlrev_b64 v[9:10], 2, v[25:26]
	v_mov_b32_e32 v11, s9
	v_add_co_u32_e32 v9, vcc, s8, v9
	v_addc_co_u32_e32 v10, vcc, v11, v10, vcc
	global_load_dword v9, v[9:10], off
	s_mov_b64 s[2:3], exec
	s_waitcnt vmcnt(0)
	v_subrev_u32_e32 v9, s16, v9
.LBB165_6:
	s_or_b64 exec, exec, s[6:7]
	s_branch .LBB165_10
.LBB165_7:
	v_cmp_gt_i32_e32 vcc, s0, v25
	s_andn2_b64 s[2:3], s[2:3], exec
	s_and_b64 s[6:7], vcc, exec
	s_or_b64 s[2:3], s[2:3], s[6:7]
	s_and_b64 exec, exec, s[2:3]
	s_cbranch_execnz .LBB165_11
.LBB165_8:
	s_endpgm
.LBB165_9:
                                        ; implicit-def: $vgpr9
	s_cbranch_execnz .LBB165_7
.LBB165_10:
	v_mov_b32_e32 v25, v9
	s_and_b64 exec, exec, s[2:3]
	s_cbranch_execz .LBB165_8
.LBB165_11:
	s_load_dwordx8 s[8:15], s[4:5], 0x28
	v_ashrrev_i32_e32 v26, 31, v25
	v_lshlrev_b64 v[9:10], 2, v[25:26]
	v_and_b32_e32 v0, 3, v0
	s_load_dwordx2 s[6:7], s[4:5], 0x48
	s_waitcnt lgkmcnt(0)
	v_mov_b32_e32 v12, s9
	v_add_co_u32_e32 v11, vcc, s8, v9
	v_addc_co_u32_e32 v12, vcc, v12, v10, vcc
	global_load_dword v51, v[11:12], off
	v_add_co_u32_e32 v11, vcc, 4, v11
	v_addc_co_u32_e32 v12, vcc, 0, v12, vcc
	v_mov_b32_e32 v13, s11
	v_add_co_u32_e32 v9, vcc, s10, v9
	s_cmp_eq_u64 s[10:11], 0
	v_addc_co_u32_e32 v10, vcc, v13, v10, vcc
	s_cselect_b64 vcc, -1, 0
	v_cndmask_b32_e32 v10, v10, v12, vcc
	v_cndmask_b32_e32 v9, v9, v11, vcc
	global_load_dword v9, v[9:10], off
	v_mov_b32_e32 v11, s15
	s_cmp_eq_u32 s1, 1
	s_waitcnt vmcnt(1)
	v_subrev_u32_e32 v10, s16, v51
	v_add_u32_e32 v26, v10, v0
	v_ashrrev_i32_e32 v27, 31, v26
	s_waitcnt vmcnt(0)
	v_subrev_u32_e32 v50, s16, v9
	v_lshlrev_b64 v[9:10], 7, v[26:27]
	v_cmp_lt_i32_e64 s[0:1], v26, v50
	v_add_co_u32_e32 v28, vcc, s14, v9
	v_addc_co_u32_e32 v29, vcc, v11, v10, vcc
	s_cbranch_scc1 .LBB165_23
; %bb.12:
	v_mov_b32_e32 v17, 0
	v_mov_b32_e32 v19, 0
	;; [unrolled: 1-line block ×16, first 2 shown]
	s_and_saveexec_b64 s[8:9], s[0:1]
	s_cbranch_execz .LBB165_22
; %bb.13:
	v_add_u32_e32 v9, v51, v0
	v_subrev_u32_e32 v9, s16, v9
	v_add_u32_e32 v9, 4, v9
	v_max_i32_e32 v9, v9, v50
	v_not_b32_e32 v10, v51
	v_add3_u32 v9, s16, v9, v10
	v_sub_u32_e32 v23, v9, v0
	v_and_b32_e32 v9, 12, v23
	v_cmp_ne_u32_e32 vcc, 12, v9
	v_mov_b32_e32 v34, 0
	v_mov_b32_e32 v21, 0
	;; [unrolled: 1-line block ×19, first 2 shown]
	s_and_saveexec_b64 s[10:11], vcc
	s_cbranch_execz .LBB165_17
; %bb.14:
	v_lshrrev_b32_e32 v9, 2, v23
	v_add_u32_e32 v9, 1, v9
	v_and_b32_e32 v9, 3, v9
	v_sub_u32_e32 v24, 0, v9
	v_mov_b32_e32 v17, 0
	v_mov_b32_e32 v19, 0
	;; [unrolled: 1-line block ×10, first 2 shown]
	s_mov_b64 s[14:15], 0
	v_mov_b32_e32 v27, s13
	v_mov_b32_e32 v36, s7
	;; [unrolled: 1-line block ×11, first 2 shown]
.LBB165_15:                             ; =>This Inner Loop Header: Depth=1
	v_ashrrev_i32_e32 v31, 31, v30
	v_lshlrev_b64 v[41:42], 2, v[30:31]
	global_load_dwordx4 v[37:40], v[32:33], off
	v_add_co_u32_e32 v41, vcc, s12, v41
	v_addc_co_u32_e32 v42, vcc, v27, v42, vcc
	global_load_dword v31, v[41:42], off
	v_add_co_u32_e64 v24, s[2:3], 1, v24
	s_or_b64 s[14:15], s[2:3], s[14:15]
	v_add_u32_e32 v30, 4, v30
	s_waitcnt vmcnt(1)
	v_cvt_f64_f32_e32 v[45:46], v37
	v_cvt_f64_f32_e32 v[37:38], v38
	s_waitcnt vmcnt(0)
	v_subrev_u32_e32 v31, s16, v31
	v_lshlrev_b32_e32 v41, 2, v31
	v_ashrrev_i32_e32 v42, 31, v41
	v_lshlrev_b64 v[41:42], 4, v[41:42]
	v_add_co_u32_e32 v52, vcc, s6, v41
	v_addc_co_u32_e32 v53, vcc, v36, v42, vcc
	global_load_dwordx4 v[41:44], v[52:53], off
	s_waitcnt vmcnt(0)
	v_fma_f64 v[19:20], v[45:46], v[41:42], v[19:20]
	v_fma_f64 v[17:18], v[37:38], v[41:42], v[17:18]
	v_fma_f64 v[37:38], -v[37:38], v[43:44], v[19:20]
	v_fma_f64 v[54:55], v[45:46], v[43:44], v[17:18]
	global_load_dwordx4 v[17:20], v[32:33], off offset:32
	s_waitcnt vmcnt(0)
	v_cvt_f64_f32_e32 v[45:46], v17
	v_cvt_f64_f32_e32 v[17:18], v18
	v_fma_f64 v[13:14], v[45:46], v[41:42], v[13:14]
	v_fma_f64 v[9:10], v[17:18], v[41:42], v[9:10]
	v_fma_f64 v[13:14], -v[17:18], v[43:44], v[13:14]
	v_fma_f64 v[17:18], v[45:46], v[43:44], v[9:10]
	global_load_dwordx4 v[45:48], v[32:33], off offset:64
	s_waitcnt vmcnt(0)
	v_cvt_f64_f32_e32 v[9:10], v45
	v_cvt_f64_f32_e32 v[45:46], v46
	;; [unrolled: 8-line block ×3, first 2 shown]
	v_cvt_f64_f32_e32 v[58:59], v11
	v_cvt_f64_f32_e32 v[60:61], v12
	v_fma_f64 v[34:35], v[56:57], v[41:42], v[34:35]
	v_fma_f64 v[21:22], v[9:10], v[41:42], v[21:22]
	v_cvt_f64_f32_e32 v[41:42], v39
	v_cvt_f64_f32_e32 v[39:40], v40
	v_fma_f64 v[34:35], -v[9:10], v[43:44], v[34:35]
	global_load_dwordx4 v[9:12], v[52:53], off offset:16
	v_fma_f64 v[21:22], v[56:57], v[43:44], v[21:22]
	v_cvt_f64_f32_e32 v[43:44], v19
	v_cvt_f64_f32_e32 v[19:20], v20
	;; [unrolled: 1-line block ×4, first 2 shown]
	s_waitcnt vmcnt(0)
	v_fma_f64 v[37:38], v[41:42], v[9:10], v[37:38]
	v_fma_f64 v[54:55], v[39:40], v[9:10], v[54:55]
	;; [unrolled: 1-line block ×4, first 2 shown]
	v_fma_f64 v[37:38], -v[39:40], v[11:12], v[37:38]
	v_fma_f64 v[39:40], v[41:42], v[11:12], v[54:55]
	v_fma_f64 v[41:42], -v[19:20], v[11:12], v[13:14]
	v_fma_f64 v[13:14], v[56:57], v[9:10], v[15:16]
	v_fma_f64 v[15:16], v[47:48], v[9:10], v[45:46]
	;; [unrolled: 1-line block ×3, first 2 shown]
	v_fma_f64 v[45:46], -v[47:48], v[11:12], v[13:14]
	v_fma_f64 v[13:14], v[58:59], v[9:10], v[34:35]
	v_fma_f64 v[9:10], v[60:61], v[9:10], v[21:22]
	v_fma_f64 v[21:22], v[56:57], v[11:12], v[15:16]
	v_fma_f64 v[34:35], -v[60:61], v[11:12], v[13:14]
	global_load_dwordx4 v[13:16], v[32:33], off offset:16
	v_fma_f64 v[47:48], v[58:59], v[11:12], v[9:10]
	global_load_dwordx4 v[9:12], v[52:53], off offset:32
	s_waitcnt vmcnt(1)
	v_cvt_f64_f32_e32 v[17:18], v13
	v_cvt_f64_f32_e32 v[13:14], v14
	s_waitcnt vmcnt(0)
	v_fma_f64 v[19:20], v[17:18], v[9:10], v[37:38]
	v_fma_f64 v[37:38], v[13:14], v[9:10], v[39:40]
	v_fma_f64 v[13:14], -v[13:14], v[11:12], v[19:20]
	v_fma_f64 v[54:55], v[17:18], v[11:12], v[37:38]
	global_load_dwordx4 v[17:20], v[32:33], off offset:48
	s_waitcnt vmcnt(0)
	v_cvt_f64_f32_e32 v[37:38], v17
	v_cvt_f64_f32_e32 v[17:18], v18
	v_fma_f64 v[39:40], v[37:38], v[9:10], v[41:42]
	v_fma_f64 v[41:42], v[17:18], v[9:10], v[43:44]
	v_fma_f64 v[56:57], -v[17:18], v[11:12], v[39:40]
	v_fma_f64 v[58:59], v[37:38], v[11:12], v[41:42]
	global_load_dwordx4 v[37:40], v[32:33], off offset:80
	s_waitcnt vmcnt(0)
	v_cvt_f64_f32_e32 v[17:18], v37
	v_cvt_f64_f32_e32 v[37:38], v38
	;; [unrolled: 1-line block ×4, first 2 shown]
	v_fma_f64 v[41:42], v[17:18], v[9:10], v[45:46]
	v_fma_f64 v[21:22], v[37:38], v[9:10], v[21:22]
	v_fma_f64 v[45:46], -v[37:38], v[11:12], v[41:42]
	global_load_dwordx4 v[41:44], v[32:33], off offset:112
	v_fma_f64 v[21:22], v[17:18], v[11:12], v[21:22]
	v_add_co_u32_e32 v32, vcc, 0x200, v32
	v_addc_co_u32_e32 v33, vcc, 0, v33, vcc
	s_waitcnt vmcnt(0)
	v_cvt_f64_f32_e32 v[17:18], v41
	v_cvt_f64_f32_e32 v[37:38], v42
	;; [unrolled: 1-line block ×4, first 2 shown]
	v_fma_f64 v[34:35], v[17:18], v[9:10], v[34:35]
	v_fma_f64 v[9:10], v[37:38], v[9:10], v[47:48]
	v_cvt_f64_f32_e32 v[47:48], v20
	v_cvt_f64_f32_e32 v[43:44], v44
	v_fma_f64 v[34:35], -v[37:38], v[11:12], v[34:35]
	global_load_dwordx4 v[37:40], v[52:53], off offset:48
	v_fma_f64 v[11:12], v[17:18], v[11:12], v[9:10]
	v_cvt_f64_f32_e32 v[9:10], v15
	v_cvt_f64_f32_e32 v[15:16], v16
	s_waitcnt vmcnt(0)
	v_fma_f64 v[13:14], v[9:10], v[37:38], v[13:14]
	v_fma_f64 v[17:18], v[15:16], v[37:38], v[54:55]
	;; [unrolled: 1-line block ×4, first 2 shown]
	v_fma_f64 v[19:20], -v[15:16], v[39:40], v[13:14]
	v_fma_f64 v[17:18], v[9:10], v[39:40], v[17:18]
	v_fma_f64 v[9:10], v[41:42], v[37:38], v[56:57]
	;; [unrolled: 1-line block ×3, first 2 shown]
	v_fma_f64 v[34:35], -v[43:44], v[39:40], v[34:35]
	v_fma_f64 v[13:14], -v[47:48], v[39:40], v[9:10]
	v_fma_f64 v[9:10], v[41:42], v[39:40], v[15:16]
	v_fma_f64 v[15:16], v[60:61], v[37:38], v[45:46]
	;; [unrolled: 1-line block ×4, first 2 shown]
	v_fma_f64 v[15:16], -v[62:63], v[39:40], v[15:16]
	v_fma_f64 v[21:22], v[64:65], v[39:40], v[37:38]
	s_andn2_b64 exec, exec, s[14:15]
	s_cbranch_execnz .LBB165_15
; %bb.16:
	s_or_b64 exec, exec, s[14:15]
.LBB165_17:
	s_or_b64 exec, exec, s[10:11]
	v_cmp_lt_u32_e32 vcc, 11, v23
	s_and_saveexec_b64 s[2:3], vcc
	s_cbranch_execz .LBB165_21
; %bb.18:
	s_mov_b64 s[10:11], 0
	v_mov_b32_e32 v27, s13
	v_mov_b32_e32 v52, s7
.LBB165_19:                             ; =>This Inner Loop Header: Depth=1
	v_ashrrev_i32_e32 v31, 31, v30
	v_lshlrev_b64 v[23:24], 2, v[30:31]
	v_add_u32_e32 v30, 16, v30
	v_add_co_u32_e32 v23, vcc, s12, v23
	v_addc_co_u32_e32 v24, vcc, v27, v24, vcc
	global_load_dword v31, v[23:24], off
	global_load_dwordx4 v[36:39], v[32:33], off offset:48
	global_load_dwordx4 v[40:43], v[32:33], off offset:32
	;; [unrolled: 1-line block ×3, first 2 shown]
	global_load_dwordx4 v[53:56], v[32:33], off
	s_waitcnt vmcnt(4)
	v_subrev_u32_e32 v31, s16, v31
	v_lshlrev_b32_e32 v48, 2, v31
	v_ashrrev_i32_e32 v49, 31, v48
	v_lshlrev_b64 v[48:49], 4, v[48:49]
	s_waitcnt vmcnt(0)
	v_cvt_f64_f32_e32 v[73:74], v53
	v_add_co_u32_e32 v48, vcc, s6, v48
	v_addc_co_u32_e32 v49, vcc, v52, v49, vcc
	global_load_dwordx4 v[57:60], v[48:49], off offset:48
	global_load_dwordx4 v[61:64], v[48:49], off offset:32
	;; [unrolled: 1-line block ×3, first 2 shown]
	global_load_dwordx4 v[69:72], v[48:49], off
	v_cvt_f64_f32_e32 v[53:54], v54
	v_cvt_f64_f32_e32 v[48:49], v55
	s_waitcnt vmcnt(0)
	v_fma_f64 v[19:20], v[73:74], v[69:70], v[19:20]
	v_fma_f64 v[17:18], v[53:54], v[69:70], v[17:18]
	v_fma_f64 v[19:20], -v[53:54], v[71:72], v[19:20]
	v_fma_f64 v[17:18], v[73:74], v[71:72], v[17:18]
	v_cvt_f64_f32_e32 v[53:54], v56
	v_fma_f64 v[19:20], v[48:49], v[65:66], v[19:20]
	v_fma_f64 v[17:18], v[53:54], v[65:66], v[17:18]
	v_fma_f64 v[19:20], -v[53:54], v[67:68], v[19:20]
	v_fma_f64 v[17:18], v[48:49], v[67:68], v[17:18]
	v_cvt_f64_f32_e32 v[48:49], v44
	v_cvt_f64_f32_e32 v[44:45], v45
	v_fma_f64 v[19:20], v[48:49], v[61:62], v[19:20]
	v_fma_f64 v[17:18], v[44:45], v[61:62], v[17:18]
	v_fma_f64 v[19:20], -v[44:45], v[63:64], v[19:20]
	v_fma_f64 v[17:18], v[48:49], v[63:64], v[17:18]
	v_cvt_f64_f32_e32 v[44:45], v46
	;; [unrolled: 6-line block ×6, first 2 shown]
	v_cvt_f64_f32_e32 v[19:20], v39
	v_fma_f64 v[13:14], v[17:18], v[57:58], v[13:14]
	v_fma_f64 v[9:10], v[19:20], v[57:58], v[9:10]
	v_fma_f64 v[77:78], -v[19:20], v[59:60], v[13:14]
	v_fma_f64 v[79:80], v[17:18], v[59:60], v[9:10]
	global_load_dwordx4 v[17:20], v[32:33], off offset:112
	global_load_dwordx4 v[36:39], v[32:33], off offset:96
	;; [unrolled: 1-line block ×4, first 2 shown]
	s_waitcnt vmcnt(0)
	v_cvt_f64_f32_e32 v[13:14], v45
	v_cvt_f64_f32_e32 v[9:10], v44
	v_fma_f64 v[11:12], v[13:14], v[69:70], v[11:12]
	v_fma_f64 v[15:16], v[9:10], v[69:70], v[15:16]
	v_fma_f64 v[9:10], v[9:10], v[71:72], v[11:12]
	v_fma_f64 v[15:16], -v[13:14], v[71:72], v[15:16]
	v_cvt_f64_f32_e32 v[13:14], v47
	v_cvt_f64_f32_e32 v[11:12], v46
	v_fma_f64 v[9:10], v[13:14], v[65:66], v[9:10]
	v_fma_f64 v[15:16], v[11:12], v[65:66], v[15:16]
	v_fma_f64 v[9:10], v[11:12], v[67:68], v[9:10]
	v_fma_f64 v[15:16], -v[13:14], v[67:68], v[15:16]
	;; [unrolled: 6-line block ×3, first 2 shown]
	v_cvt_f64_f32_e32 v[13:14], v43
	v_cvt_f64_f32_e32 v[11:12], v42
	v_fma_f64 v[9:10], v[13:14], v[57:58], v[9:10]
	v_fma_f64 v[15:16], v[11:12], v[57:58], v[15:16]
	v_fma_f64 v[83:84], v[11:12], v[59:60], v[9:10]
	v_cvt_f64_f32_e32 v[9:10], v36
	v_fma_f64 v[81:82], -v[13:14], v[59:60], v[15:16]
	v_cvt_f64_f32_e32 v[11:12], v37
	v_cvt_f64_f32_e32 v[15:16], v39
	v_fma_f64 v[13:14], v[9:10], v[69:70], v[34:35]
	v_fma_f64 v[13:14], -v[11:12], v[71:72], v[13:14]
	v_fma_f64 v[11:12], v[11:12], v[69:70], v[21:22]
	v_fma_f64 v[9:10], v[9:10], v[71:72], v[11:12]
	v_cvt_f64_f32_e32 v[11:12], v38
	v_fma_f64 v[13:14], v[11:12], v[65:66], v[13:14]
	v_fma_f64 v[9:10], v[15:16], v[65:66], v[9:10]
	v_fma_f64 v[13:14], -v[15:16], v[67:68], v[13:14]
	v_cvt_f64_f32_e32 v[15:16], v18
	v_fma_f64 v[9:10], v[11:12], v[67:68], v[9:10]
	v_cvt_f64_f32_e32 v[11:12], v17
	v_fma_f64 v[13:14], v[11:12], v[61:62], v[13:14]
	v_fma_f64 v[9:10], v[15:16], v[61:62], v[9:10]
	v_fma_f64 v[13:14], -v[15:16], v[63:64], v[13:14]
	v_cvt_f64_f32_e32 v[15:16], v20
	v_fma_f64 v[9:10], v[11:12], v[63:64], v[9:10]
	v_cvt_f64_f32_e32 v[11:12], v19
	v_fma_f64 v[13:14], v[11:12], v[57:58], v[13:14]
	v_fma_f64 v[9:10], v[15:16], v[57:58], v[9:10]
	v_fma_f64 v[21:22], -v[15:16], v[59:60], v[13:14]
	v_fma_f64 v[57:58], v[11:12], v[59:60], v[9:10]
	global_load_dword v9, v[23:24], off offset:16
	s_waitcnt vmcnt(0)
	v_subrev_u32_e32 v9, s16, v9
	v_lshlrev_b32_e32 v38, 2, v9
	v_ashrrev_i32_e32 v39, 31, v38
	global_load_dwordx4 v[9:12], v[32:33], off offset:560
	global_load_dwordx4 v[13:16], v[32:33], off offset:544
	;; [unrolled: 1-line block ×4, first 2 shown]
	v_lshlrev_b64 v[38:39], 4, v[38:39]
	v_add_co_u32_e32 v61, vcc, s6, v38
	v_addc_co_u32_e32 v62, vcc, v52, v39, vcc
	global_load_dwordx4 v[38:41], v[61:62], off offset:48
	global_load_dwordx4 v[42:45], v[61:62], off offset:32
	global_load_dwordx4 v[46:49], v[61:62], off offset:16
	global_load_dwordx4 v[53:56], v[61:62], off
	s_waitcnt vmcnt(4)
	v_cvt_f64_f32_e32 v[59:60], v34
	v_cvt_f64_f32_e32 v[34:35], v35
	s_waitcnt vmcnt(0)
	v_fma_f64 v[61:62], v[59:60], v[53:54], v[73:74]
	v_fma_f64 v[61:62], -v[34:35], v[55:56], v[61:62]
	v_fma_f64 v[34:35], v[34:35], v[53:54], v[75:76]
	v_fma_f64 v[34:35], v[59:60], v[55:56], v[34:35]
	v_cvt_f64_f32_e32 v[59:60], v36
	v_cvt_f64_f32_e32 v[36:37], v37
	v_fma_f64 v[61:62], v[59:60], v[46:47], v[61:62]
	v_fma_f64 v[34:35], v[36:37], v[46:47], v[34:35]
	v_fma_f64 v[61:62], -v[36:37], v[48:49], v[61:62]
	v_cvt_f64_f32_e32 v[36:37], v17
	v_cvt_f64_f32_e32 v[17:18], v18
	v_fma_f64 v[34:35], v[59:60], v[48:49], v[34:35]
	v_fma_f64 v[59:60], v[36:37], v[42:43], v[61:62]
	v_fma_f64 v[59:60], -v[17:18], v[44:45], v[59:60]
	v_fma_f64 v[17:18], v[17:18], v[42:43], v[34:35]
	v_cvt_f64_f32_e32 v[34:35], v19
	v_cvt_f64_f32_e32 v[19:20], v20
	v_fma_f64 v[17:18], v[36:37], v[44:45], v[17:18]
	v_fma_f64 v[36:37], v[34:35], v[38:39], v[59:60]
	;; [unrolled: 1-line block ×3, first 2 shown]
	v_fma_f64 v[69:70], -v[19:20], v[40:41], v[36:37]
	v_fma_f64 v[71:72], v[34:35], v[40:41], v[17:18]
	v_cvt_f64_f32_e32 v[17:18], v13
	v_cvt_f64_f32_e32 v[13:14], v14
	v_fma_f64 v[19:20], v[17:18], v[53:54], v[77:78]
	v_fma_f64 v[19:20], -v[13:14], v[55:56], v[19:20]
	v_fma_f64 v[13:14], v[13:14], v[53:54], v[79:80]
	v_fma_f64 v[13:14], v[17:18], v[55:56], v[13:14]
	v_cvt_f64_f32_e32 v[17:18], v15
	v_cvt_f64_f32_e32 v[15:16], v16
	v_fma_f64 v[19:20], v[17:18], v[46:47], v[19:20]
	v_fma_f64 v[13:14], v[15:16], v[46:47], v[13:14]
	v_fma_f64 v[19:20], -v[15:16], v[48:49], v[19:20]
	v_cvt_f64_f32_e32 v[15:16], v9
	v_cvt_f64_f32_e32 v[9:10], v10
	v_fma_f64 v[13:14], v[17:18], v[48:49], v[13:14]
	v_fma_f64 v[17:18], v[15:16], v[42:43], v[19:20]
	v_fma_f64 v[17:18], -v[9:10], v[44:45], v[17:18]
	v_fma_f64 v[9:10], v[9:10], v[42:43], v[13:14]
	v_cvt_f64_f32_e32 v[13:14], v11
	v_cvt_f64_f32_e32 v[11:12], v12
	v_fma_f64 v[9:10], v[15:16], v[44:45], v[9:10]
	v_fma_f64 v[15:16], v[13:14], v[38:39], v[17:18]
	;; [unrolled: 1-line block ×3, first 2 shown]
	v_fma_f64 v[73:74], -v[11:12], v[40:41], v[15:16]
	v_fma_f64 v[75:76], v[13:14], v[40:41], v[9:10]
	global_load_dwordx4 v[9:12], v[32:33], off offset:624
	global_load_dwordx4 v[13:16], v[32:33], off offset:608
	;; [unrolled: 1-line block ×4, first 2 shown]
	s_waitcnt vmcnt(0)
	v_cvt_f64_f32_e32 v[59:60], v34
	v_cvt_f64_f32_e32 v[34:35], v35
	v_fma_f64 v[61:62], v[59:60], v[53:54], v[81:82]
	v_fma_f64 v[61:62], -v[34:35], v[55:56], v[61:62]
	v_fma_f64 v[34:35], v[34:35], v[53:54], v[83:84]
	v_fma_f64 v[34:35], v[59:60], v[55:56], v[34:35]
	v_cvt_f64_f32_e32 v[59:60], v36
	v_cvt_f64_f32_e32 v[36:37], v37
	v_fma_f64 v[61:62], v[59:60], v[46:47], v[61:62]
	v_fma_f64 v[34:35], v[36:37], v[46:47], v[34:35]
	v_fma_f64 v[61:62], -v[36:37], v[48:49], v[61:62]
	v_cvt_f64_f32_e32 v[36:37], v17
	v_cvt_f64_f32_e32 v[17:18], v18
	v_fma_f64 v[34:35], v[59:60], v[48:49], v[34:35]
	v_fma_f64 v[59:60], v[36:37], v[42:43], v[61:62]
	v_fma_f64 v[59:60], -v[17:18], v[44:45], v[59:60]
	v_fma_f64 v[17:18], v[17:18], v[42:43], v[34:35]
	v_cvt_f64_f32_e32 v[34:35], v19
	v_cvt_f64_f32_e32 v[19:20], v20
	v_fma_f64 v[17:18], v[36:37], v[44:45], v[17:18]
	v_fma_f64 v[36:37], v[34:35], v[38:39], v[59:60]
	;; [unrolled: 1-line block ×3, first 2 shown]
	v_fma_f64 v[77:78], -v[19:20], v[40:41], v[36:37]
	v_fma_f64 v[79:80], v[34:35], v[40:41], v[17:18]
	v_cvt_f64_f32_e32 v[17:18], v13
	v_cvt_f64_f32_e32 v[13:14], v14
	v_fma_f64 v[19:20], v[17:18], v[53:54], v[21:22]
	v_fma_f64 v[19:20], -v[13:14], v[55:56], v[19:20]
	v_fma_f64 v[13:14], v[13:14], v[53:54], v[57:58]
	v_fma_f64 v[13:14], v[17:18], v[55:56], v[13:14]
	v_cvt_f64_f32_e32 v[17:18], v15
	v_cvt_f64_f32_e32 v[15:16], v16
	v_fma_f64 v[19:20], v[17:18], v[46:47], v[19:20]
	v_fma_f64 v[13:14], v[15:16], v[46:47], v[13:14]
	v_fma_f64 v[19:20], -v[15:16], v[48:49], v[19:20]
	v_cvt_f64_f32_e32 v[15:16], v9
	v_cvt_f64_f32_e32 v[9:10], v10
	v_fma_f64 v[13:14], v[17:18], v[48:49], v[13:14]
	v_fma_f64 v[17:18], v[15:16], v[42:43], v[19:20]
	v_fma_f64 v[17:18], -v[9:10], v[44:45], v[17:18]
	v_fma_f64 v[9:10], v[9:10], v[42:43], v[13:14]
	v_cvt_f64_f32_e32 v[13:14], v11
	v_cvt_f64_f32_e32 v[11:12], v12
	v_fma_f64 v[9:10], v[15:16], v[44:45], v[9:10]
	v_fma_f64 v[15:16], v[13:14], v[38:39], v[17:18]
	;; [unrolled: 1-line block ×3, first 2 shown]
	v_fma_f64 v[21:22], -v[11:12], v[40:41], v[15:16]
	v_fma_f64 v[81:82], v[13:14], v[40:41], v[9:10]
	global_load_dword v9, v[23:24], off offset:32
	s_waitcnt vmcnt(0)
	v_subrev_u32_e32 v9, s16, v9
	v_lshlrev_b32_e32 v38, 2, v9
	v_ashrrev_i32_e32 v39, 31, v38
	global_load_dwordx4 v[9:12], v[32:33], off offset:1072
	global_load_dwordx4 v[13:16], v[32:33], off offset:1056
	;; [unrolled: 1-line block ×4, first 2 shown]
	v_lshlrev_b64 v[38:39], 4, v[38:39]
	v_add_co_u32_e32 v38, vcc, s6, v38
	v_addc_co_u32_e32 v39, vcc, v52, v39, vcc
	global_load_dwordx4 v[53:56], v[38:39], off offset:48
	global_load_dwordx4 v[57:60], v[38:39], off offset:32
	;; [unrolled: 1-line block ×3, first 2 shown]
	global_load_dwordx4 v[65:68], v[38:39], off
	s_waitcnt vmcnt(4)
	v_cvt_f64_f32_e32 v[40:41], v34
	v_cvt_f64_f32_e32 v[34:35], v35
	s_waitcnt vmcnt(0)
	v_fma_f64 v[38:39], v[40:41], v[65:66], v[69:70]
	v_fma_f64 v[38:39], -v[34:35], v[67:68], v[38:39]
	v_fma_f64 v[34:35], v[34:35], v[65:66], v[71:72]
	v_fma_f64 v[34:35], v[40:41], v[67:68], v[34:35]
	v_cvt_f64_f32_e32 v[40:41], v36
	v_cvt_f64_f32_e32 v[36:37], v37
	v_fma_f64 v[38:39], v[40:41], v[61:62], v[38:39]
	v_fma_f64 v[34:35], v[36:37], v[61:62], v[34:35]
	v_fma_f64 v[38:39], -v[36:37], v[63:64], v[38:39]
	v_cvt_f64_f32_e32 v[36:37], v17
	v_cvt_f64_f32_e32 v[17:18], v18
	v_fma_f64 v[34:35], v[40:41], v[63:64], v[34:35]
	v_fma_f64 v[38:39], v[36:37], v[57:58], v[38:39]
	v_fma_f64 v[38:39], -v[17:18], v[59:60], v[38:39]
	v_fma_f64 v[17:18], v[17:18], v[57:58], v[34:35]
	v_cvt_f64_f32_e32 v[34:35], v19
	v_cvt_f64_f32_e32 v[19:20], v20
	v_fma_f64 v[17:18], v[36:37], v[59:60], v[17:18]
	v_fma_f64 v[36:37], v[34:35], v[53:54], v[38:39]
	;; [unrolled: 1-line block ×3, first 2 shown]
	v_fma_f64 v[46:47], -v[19:20], v[55:56], v[36:37]
	v_fma_f64 v[48:49], v[34:35], v[55:56], v[17:18]
	v_cvt_f64_f32_e32 v[17:18], v13
	v_cvt_f64_f32_e32 v[13:14], v14
	v_fma_f64 v[19:20], v[17:18], v[65:66], v[73:74]
	v_fma_f64 v[19:20], -v[13:14], v[67:68], v[19:20]
	v_fma_f64 v[13:14], v[13:14], v[65:66], v[75:76]
	v_fma_f64 v[13:14], v[17:18], v[67:68], v[13:14]
	v_cvt_f64_f32_e32 v[17:18], v15
	v_cvt_f64_f32_e32 v[15:16], v16
	v_fma_f64 v[19:20], v[17:18], v[61:62], v[19:20]
	v_fma_f64 v[13:14], v[15:16], v[61:62], v[13:14]
	v_fma_f64 v[19:20], -v[15:16], v[63:64], v[19:20]
	v_cvt_f64_f32_e32 v[15:16], v9
	v_cvt_f64_f32_e32 v[9:10], v10
	v_fma_f64 v[13:14], v[17:18], v[63:64], v[13:14]
	v_fma_f64 v[17:18], v[15:16], v[57:58], v[19:20]
	v_fma_f64 v[17:18], -v[9:10], v[59:60], v[17:18]
	v_fma_f64 v[9:10], v[9:10], v[57:58], v[13:14]
	v_cvt_f64_f32_e32 v[13:14], v11
	v_cvt_f64_f32_e32 v[11:12], v12
	v_fma_f64 v[9:10], v[15:16], v[59:60], v[9:10]
	v_fma_f64 v[15:16], v[13:14], v[53:54], v[17:18]
	;; [unrolled: 1-line block ×3, first 2 shown]
	v_fma_f64 v[42:43], -v[11:12], v[55:56], v[15:16]
	v_fma_f64 v[44:45], v[13:14], v[55:56], v[9:10]
	global_load_dwordx4 v[9:12], v[32:33], off offset:1136
	global_load_dwordx4 v[13:16], v[32:33], off offset:1120
	;; [unrolled: 1-line block ×4, first 2 shown]
	s_waitcnt vmcnt(0)
	v_cvt_f64_f32_e32 v[38:39], v34
	v_cvt_f64_f32_e32 v[34:35], v35
	v_fma_f64 v[40:41], v[38:39], v[65:66], v[77:78]
	v_fma_f64 v[40:41], -v[34:35], v[67:68], v[40:41]
	v_fma_f64 v[34:35], v[34:35], v[65:66], v[79:80]
	v_fma_f64 v[34:35], v[38:39], v[67:68], v[34:35]
	v_cvt_f64_f32_e32 v[38:39], v36
	v_cvt_f64_f32_e32 v[36:37], v37
	v_fma_f64 v[40:41], v[38:39], v[61:62], v[40:41]
	v_fma_f64 v[34:35], v[36:37], v[61:62], v[34:35]
	v_fma_f64 v[40:41], -v[36:37], v[63:64], v[40:41]
	v_cvt_f64_f32_e32 v[36:37], v17
	v_cvt_f64_f32_e32 v[17:18], v18
	v_fma_f64 v[34:35], v[38:39], v[63:64], v[34:35]
	v_fma_f64 v[38:39], v[36:37], v[57:58], v[40:41]
	v_fma_f64 v[38:39], -v[17:18], v[59:60], v[38:39]
	v_fma_f64 v[17:18], v[17:18], v[57:58], v[34:35]
	v_cvt_f64_f32_e32 v[34:35], v19
	v_cvt_f64_f32_e32 v[19:20], v20
	v_fma_f64 v[17:18], v[36:37], v[59:60], v[17:18]
	v_fma_f64 v[36:37], v[34:35], v[53:54], v[38:39]
	v_fma_f64 v[17:18], v[19:20], v[53:54], v[17:18]
	v_fma_f64 v[38:39], -v[19:20], v[55:56], v[36:37]
	v_fma_f64 v[40:41], v[34:35], v[55:56], v[17:18]
	v_cvt_f64_f32_e32 v[17:18], v13
	v_cvt_f64_f32_e32 v[13:14], v14
	v_fma_f64 v[19:20], v[17:18], v[65:66], v[21:22]
	v_fma_f64 v[19:20], -v[13:14], v[67:68], v[19:20]
	v_fma_f64 v[13:14], v[13:14], v[65:66], v[81:82]
	v_fma_f64 v[13:14], v[17:18], v[67:68], v[13:14]
	v_cvt_f64_f32_e32 v[17:18], v15
	v_cvt_f64_f32_e32 v[15:16], v16
	v_fma_f64 v[19:20], v[17:18], v[61:62], v[19:20]
	v_fma_f64 v[13:14], v[15:16], v[61:62], v[13:14]
	v_fma_f64 v[19:20], -v[15:16], v[63:64], v[19:20]
	v_cvt_f64_f32_e32 v[15:16], v9
	v_cvt_f64_f32_e32 v[9:10], v10
	v_fma_f64 v[13:14], v[17:18], v[63:64], v[13:14]
	v_fma_f64 v[17:18], v[15:16], v[57:58], v[19:20]
	v_fma_f64 v[17:18], -v[9:10], v[59:60], v[17:18]
	v_fma_f64 v[9:10], v[9:10], v[57:58], v[13:14]
	v_cvt_f64_f32_e32 v[13:14], v11
	v_cvt_f64_f32_e32 v[11:12], v12
	v_fma_f64 v[9:10], v[15:16], v[59:60], v[9:10]
	v_fma_f64 v[15:16], v[13:14], v[53:54], v[17:18]
	;; [unrolled: 1-line block ×3, first 2 shown]
	v_fma_f64 v[34:35], -v[11:12], v[55:56], v[15:16]
	v_fma_f64 v[36:37], v[13:14], v[55:56], v[9:10]
	global_load_dword v9, v[23:24], off offset:48
	s_waitcnt vmcnt(0)
	v_subrev_u32_e32 v9, s16, v9
	v_lshlrev_b32_e32 v21, 2, v9
	v_ashrrev_i32_e32 v22, 31, v21
	global_load_dwordx4 v[9:12], v[32:33], off offset:1584
	global_load_dwordx4 v[13:16], v[32:33], off offset:1568
	;; [unrolled: 1-line block ×4, first 2 shown]
	v_lshlrev_b64 v[21:22], 4, v[21:22]
	v_add_co_u32_e32 v71, vcc, s6, v21
	v_addc_co_u32_e32 v72, vcc, v52, v22, vcc
	global_load_dwordx4 v[21:24], v[71:72], off offset:48
	global_load_dwordx4 v[57:60], v[71:72], off offset:32
	;; [unrolled: 1-line block ×3, first 2 shown]
	global_load_dwordx4 v[65:68], v[71:72], off
	s_waitcnt vmcnt(4)
	v_cvt_f64_f32_e32 v[69:70], v53
	v_cvt_f64_f32_e32 v[53:54], v54
	s_waitcnt vmcnt(0)
	v_fma_f64 v[46:47], v[69:70], v[65:66], v[46:47]
	v_fma_f64 v[48:49], v[53:54], v[65:66], v[48:49]
	v_fma_f64 v[46:47], -v[53:54], v[67:68], v[46:47]
	v_fma_f64 v[48:49], v[69:70], v[67:68], v[48:49]
	v_cvt_f64_f32_e32 v[53:54], v55
	v_cvt_f64_f32_e32 v[55:56], v56
	v_fma_f64 v[46:47], v[53:54], v[61:62], v[46:47]
	v_fma_f64 v[48:49], v[55:56], v[61:62], v[48:49]
	v_fma_f64 v[46:47], -v[55:56], v[63:64], v[46:47]
	v_fma_f64 v[48:49], v[53:54], v[63:64], v[48:49]
	v_cvt_f64_f32_e32 v[53:54], v17
	v_cvt_f64_f32_e32 v[17:18], v18
	v_fma_f64 v[46:47], v[53:54], v[57:58], v[46:47]
	v_fma_f64 v[46:47], -v[17:18], v[59:60], v[46:47]
	v_fma_f64 v[17:18], v[17:18], v[57:58], v[48:49]
	v_cvt_f64_f32_e32 v[48:49], v19
	v_fma_f64 v[17:18], v[53:54], v[59:60], v[17:18]
	v_cvt_f64_f32_e32 v[53:54], v20
	;; [unrolled: 2-line block ×3, first 2 shown]
	v_cvt_f64_f32_e32 v[13:14], v14
	v_fma_f64 v[42:43], v[46:47], v[65:66], v[42:43]
	v_fma_f64 v[17:18], v[53:54], v[21:22], v[17:18]
	v_fma_f64 v[19:20], -v[53:54], v[23:24], v[19:20]
	v_fma_f64 v[42:43], -v[13:14], v[67:68], v[42:43]
	v_fma_f64 v[13:14], v[13:14], v[65:66], v[44:45]
	v_cvt_f64_f32_e32 v[44:45], v15
	v_cvt_f64_f32_e32 v[15:16], v16
	v_fma_f64 v[17:18], v[48:49], v[23:24], v[17:18]
	v_fma_f64 v[42:43], v[44:45], v[61:62], v[42:43]
	;; [unrolled: 1-line block ×3, first 2 shown]
	v_fma_f64 v[42:43], -v[15:16], v[63:64], v[42:43]
	v_fma_f64 v[13:14], v[15:16], v[61:62], v[13:14]
	v_cvt_f64_f32_e32 v[15:16], v9
	v_cvt_f64_f32_e32 v[9:10], v10
	v_fma_f64 v[42:43], v[15:16], v[57:58], v[42:43]
	v_fma_f64 v[13:14], v[44:45], v[63:64], v[13:14]
	v_fma_f64 v[42:43], -v[9:10], v[59:60], v[42:43]
	v_fma_f64 v[9:10], v[9:10], v[57:58], v[13:14]
	v_fma_f64 v[9:10], v[15:16], v[59:60], v[9:10]
	v_cvt_f64_f32_e32 v[15:16], v11
	v_cvt_f64_f32_e32 v[11:12], v12
	v_fma_f64 v[13:14], v[15:16], v[21:22], v[42:43]
	global_load_dwordx4 v[42:45], v[32:33], off offset:1648
	global_load_dwordx4 v[46:49], v[32:33], off offset:1632
	;; [unrolled: 1-line block ×4, first 2 shown]
	v_add_co_u32_e32 v32, vcc, 0x800, v32
	v_fma_f64 v[9:10], v[11:12], v[21:22], v[9:10]
	v_addc_co_u32_e32 v33, vcc, 0, v33, vcc
	v_cmp_ge_i32_e32 vcc, v30, v50
	v_fma_f64 v[13:14], -v[11:12], v[23:24], v[13:14]
	s_or_b64 s[10:11], vcc, s[10:11]
	v_fma_f64 v[9:10], v[15:16], v[23:24], v[9:10]
	s_waitcnt vmcnt(0)
	v_cvt_f64_f32_e32 v[11:12], v69
	v_cvt_f64_f32_e32 v[15:16], v70
	v_fma_f64 v[38:39], v[11:12], v[65:66], v[38:39]
	v_fma_f64 v[38:39], -v[15:16], v[67:68], v[38:39]
	v_fma_f64 v[15:16], v[15:16], v[65:66], v[40:41]
	v_cvt_f64_f32_e32 v[40:41], v72
	v_fma_f64 v[11:12], v[11:12], v[67:68], v[15:16]
	v_cvt_f64_f32_e32 v[15:16], v71
	v_fma_f64 v[38:39], v[15:16], v[61:62], v[38:39]
	v_fma_f64 v[11:12], v[40:41], v[61:62], v[11:12]
	v_fma_f64 v[38:39], -v[40:41], v[63:64], v[38:39]
	v_cvt_f64_f32_e32 v[40:41], v54
	v_fma_f64 v[11:12], v[15:16], v[63:64], v[11:12]
	v_cvt_f64_f32_e32 v[15:16], v53
	v_cvt_f64_f32_e32 v[53:54], v56
	v_fma_f64 v[38:39], v[15:16], v[57:58], v[38:39]
	v_fma_f64 v[11:12], v[40:41], v[57:58], v[11:12]
	v_fma_f64 v[38:39], -v[40:41], v[59:60], v[38:39]
	v_cvt_f64_f32_e32 v[40:41], v55
	v_fma_f64 v[11:12], v[15:16], v[59:60], v[11:12]
	v_fma_f64 v[15:16], v[40:41], v[21:22], v[38:39]
	v_cvt_f64_f32_e32 v[38:39], v46
	v_fma_f64 v[11:12], v[53:54], v[21:22], v[11:12]
	v_fma_f64 v[34:35], v[38:39], v[65:66], v[34:35]
	v_fma_f64 v[15:16], -v[53:54], v[23:24], v[15:16]
	v_fma_f64 v[11:12], v[40:41], v[23:24], v[11:12]
	v_cvt_f64_f32_e32 v[40:41], v47
	v_fma_f64 v[36:37], v[40:41], v[65:66], v[36:37]
	v_fma_f64 v[34:35], -v[40:41], v[67:68], v[34:35]
	v_cvt_f64_f32_e32 v[40:41], v49
	v_fma_f64 v[36:37], v[38:39], v[67:68], v[36:37]
	v_cvt_f64_f32_e32 v[38:39], v48
	v_fma_f64 v[34:35], v[38:39], v[61:62], v[34:35]
	v_fma_f64 v[36:37], v[40:41], v[61:62], v[36:37]
	v_fma_f64 v[34:35], -v[40:41], v[63:64], v[34:35]
	v_cvt_f64_f32_e32 v[40:41], v43
	v_fma_f64 v[36:37], v[38:39], v[63:64], v[36:37]
	v_cvt_f64_f32_e32 v[38:39], v42
	v_fma_f64 v[34:35], v[38:39], v[57:58], v[34:35]
	;; [unrolled: 6-line block ×3, first 2 shown]
	v_fma_f64 v[21:22], v[40:41], v[21:22], v[36:37]
	v_fma_f64 v[34:35], -v[40:41], v[23:24], v[34:35]
	v_fma_f64 v[21:22], v[38:39], v[23:24], v[21:22]
	s_andn2_b64 exec, exec, s[10:11]
	s_cbranch_execnz .LBB165_19
; %bb.20:
	s_or_b64 exec, exec, s[10:11]
.LBB165_21:
	s_or_b64 exec, exec, s[2:3]
.LBB165_22:
	s_or_b64 exec, exec, s[8:9]
	s_cbranch_execz .LBB165_24
	s_branch .LBB165_35
.LBB165_23:
                                        ; implicit-def: $vgpr17_vgpr18
                                        ; implicit-def: $vgpr19_vgpr20
                                        ; implicit-def: $vgpr9_vgpr10
                                        ; implicit-def: $vgpr13_vgpr14
                                        ; implicit-def: $vgpr11_vgpr12
                                        ; implicit-def: $vgpr15_vgpr16
                                        ; implicit-def: $vgpr21_vgpr22
                                        ; implicit-def: $vgpr34_vgpr35
.LBB165_24:
	v_mov_b32_e32 v17, 0
	v_mov_b32_e32 v19, 0
	;; [unrolled: 1-line block ×16, first 2 shown]
	s_and_saveexec_b64 s[2:3], s[0:1]
	s_cbranch_execz .LBB165_34
; %bb.25:
	v_add_u32_e32 v9, v51, v0
	v_subrev_u32_e32 v9, s16, v9
	v_add_u32_e32 v9, 4, v9
	v_max_i32_e32 v9, v9, v50
	v_not_b32_e32 v10, v51
	v_add3_u32 v9, s16, v9, v10
	v_sub_u32_e32 v23, v9, v0
	v_and_b32_e32 v24, 12, v23
	v_mov_b32_e32 v34, 0
	v_mov_b32_e32 v21, 0
	;; [unrolled: 1-line block ×16, first 2 shown]
	v_cmp_ne_u32_e32 vcc, 12, v24
	s_and_saveexec_b64 s[8:9], vcc
	s_cbranch_execz .LBB165_29
; %bb.26:
	v_lshrrev_b32_e32 v9, 2, v23
	v_add_u32_e32 v9, 1, v9
	v_and_b32_e32 v9, 3, v9
	v_sub_u32_e32 v24, 0, v9
	v_mov_b32_e32 v17, 0
	v_mov_b32_e32 v19, 0
	;; [unrolled: 1-line block ×9, first 2 shown]
	s_mov_b64 s[10:11], 0
	v_mov_b32_e32 v30, s13
	v_mov_b32_e32 v20, 0
	;; [unrolled: 1-line block ×9, first 2 shown]
.LBB165_27:                             ; =>This Inner Loop Header: Depth=1
	global_load_dwordx4 v[36:39], v[28:29], off
	global_load_dwordx4 v[40:43], v[28:29], off offset:16
	global_load_dwordx4 v[44:47], v[28:29], off offset:32
	v_ashrrev_i32_e32 v27, 31, v26
	v_lshlrev_b64 v[32:33], 2, v[26:27]
	v_add_co_u32_e64 v24, s[0:1], 1, v24
	v_add_co_u32_e32 v32, vcc, s12, v32
	v_addc_co_u32_e32 v33, vcc, v30, v33, vcc
	global_load_dword v27, v[32:33], off
	s_or_b64 s[10:11], s[0:1], s[10:11]
	v_add_u32_e32 v26, 4, v26
	s_waitcnt vmcnt(3)
	v_cvt_f64_f32_e32 v[48:49], v36
	v_cvt_f64_f32_e32 v[51:52], v37
	;; [unrolled: 1-line block ×4, first 2 shown]
	global_load_dwordx4 v[36:39], v[28:29], off offset:48
	s_waitcnt vmcnt(3)
	v_cvt_f64_f32_e32 v[57:58], v40
	v_cvt_f64_f32_e32 v[40:41], v41
	;; [unrolled: 1-line block ×4, first 2 shown]
	s_waitcnt vmcnt(2)
	v_cvt_f64_f32_e32 v[61:62], v44
	v_cvt_f64_f32_e32 v[63:64], v46
	s_waitcnt vmcnt(1)
	v_subrev_u32_e32 v27, s16, v27
	v_lshlrev_b32_e32 v32, 2, v27
	v_ashrrev_i32_e32 v33, 31, v32
	v_lshlrev_b64 v[32:33], 4, v[32:33]
	v_cvt_f64_f32_e32 v[44:45], v45
	v_add_co_u32_e32 v32, vcc, s6, v32
	v_addc_co_u32_e32 v33, vcc, v31, v33, vcc
	v_cvt_f64_f32_e32 v[46:47], v47
	s_waitcnt vmcnt(0)
	v_cvt_f64_f32_e32 v[65:66], v36
	v_cvt_f64_f32_e32 v[67:68], v37
	;; [unrolled: 1-line block ×4, first 2 shown]
	global_load_dwordx4 v[36:39], v[32:33], off
	s_waitcnt vmcnt(0)
	v_fma_f64 v[17:18], v[51:52], v[36:37], v[17:18]
	v_fma_f64 v[9:10], v[55:56], v[36:37], v[9:10]
	v_fma_f64 v[19:20], v[48:49], v[36:37], v[19:20]
	v_fma_f64 v[11:12], v[40:41], v[36:37], v[11:12]
	v_fma_f64 v[13:14], v[53:54], v[36:37], v[13:14]
	v_fma_f64 v[34:35], v[59:60], v[36:37], v[34:35]
	v_fma_f64 v[21:22], v[42:43], v[36:37], v[21:22]
	v_fma_f64 v[17:18], v[48:49], v[38:39], v[17:18]
	v_fma_f64 v[48:49], v[53:54], v[38:39], v[9:10]
	v_fma_f64 v[9:10], v[57:58], v[36:37], v[15:16]
	v_fma_f64 v[19:20], -v[51:52], v[38:39], v[19:20]
	v_fma_f64 v[13:14], -v[55:56], v[38:39], v[13:14]
	;; [unrolled: 1-line block ×3, first 2 shown]
	v_fma_f64 v[21:22], v[59:60], v[38:39], v[21:22]
	v_fma_f64 v[15:16], -v[40:41], v[38:39], v[9:10]
	v_fma_f64 v[40:41], v[57:58], v[38:39], v[11:12]
	global_load_dwordx4 v[9:12], v[28:29], off offset:64
	s_waitcnt vmcnt(0)
	v_cvt_f64_f32_e32 v[36:37], v9
	v_cvt_f64_f32_e32 v[38:39], v10
	v_cvt_f64_f32_e32 v[42:43], v11
	v_cvt_f64_f32_e32 v[51:52], v12
	global_load_dwordx4 v[9:12], v[28:29], off offset:80
	s_waitcnt vmcnt(0)
	v_cvt_f64_f32_e32 v[53:54], v9
	v_cvt_f64_f32_e32 v[55:56], v10
	;; [unrolled: 1-line block ×4, first 2 shown]
	global_load_dwordx4 v[9:12], v[32:33], off offset:16
	s_waitcnt vmcnt(0)
	v_fma_f64 v[19:20], v[61:62], v[9:10], v[19:20]
	v_fma_f64 v[13:14], v[63:64], v[9:10], v[13:14]
	;; [unrolled: 1-line block ×4, first 2 shown]
	v_fma_f64 v[19:20], -v[44:45], v[11:12], v[19:20]
	v_fma_f64 v[44:45], v[46:47], v[9:10], v[48:49]
	v_fma_f64 v[46:47], -v[46:47], v[11:12], v[13:14]
	v_fma_f64 v[13:14], v[65:66], v[9:10], v[15:16]
	v_fma_f64 v[15:16], v[67:68], v[9:10], v[40:41]
	;; [unrolled: 1-line block ×4, first 2 shown]
	v_fma_f64 v[34:35], -v[71:72], v[11:12], v[34:35]
	v_fma_f64 v[44:45], v[63:64], v[11:12], v[44:45]
	v_fma_f64 v[40:41], -v[67:68], v[11:12], v[13:14]
	v_fma_f64 v[48:49], v[65:66], v[11:12], v[15:16]
	global_load_dwordx4 v[13:16], v[28:29], off offset:96
	v_fma_f64 v[63:64], v[69:70], v[11:12], v[9:10]
	global_load_dwordx4 v[9:12], v[28:29], off offset:112
	v_add_co_u32_e32 v28, vcc, 0x200, v28
	v_addc_co_u32_e32 v29, vcc, 0, v29, vcc
	s_waitcnt vmcnt(1)
	v_cvt_f64_f32_e32 v[61:62], v13
	v_cvt_f64_f32_e32 v[13:14], v14
	s_waitcnt vmcnt(0)
	v_cvt_f64_f32_e32 v[67:68], v9
	v_cvt_f64_f32_e32 v[69:70], v10
	;; [unrolled: 1-line block ×4, first 2 shown]
	global_load_dwordx4 v[9:12], v[32:33], off offset:32
	v_cvt_f64_f32_e32 v[65:66], v15
	v_cvt_f64_f32_e32 v[15:16], v16
	s_waitcnt vmcnt(0)
	v_fma_f64 v[19:20], v[36:37], v[9:10], v[19:20]
	v_fma_f64 v[17:18], v[38:39], v[9:10], v[17:18]
	;; [unrolled: 1-line block ×3, first 2 shown]
	v_fma_f64 v[38:39], -v[38:39], v[11:12], v[19:20]
	v_fma_f64 v[19:20], v[42:43], v[9:10], v[46:47]
	v_fma_f64 v[17:18], v[36:37], v[11:12], v[17:18]
	;; [unrolled: 1-line block ×3, first 2 shown]
	v_fma_f64 v[36:37], -v[51:52], v[11:12], v[19:20]
	v_fma_f64 v[19:20], v[53:54], v[9:10], v[40:41]
	v_fma_f64 v[40:41], v[55:56], v[9:10], v[48:49]
	v_fma_f64 v[44:45], -v[55:56], v[11:12], v[19:20]
	global_load_dwordx4 v[19:22], v[32:33], off offset:48
	v_fma_f64 v[32:33], v[57:58], v[9:10], v[34:35]
	v_fma_f64 v[9:10], v[59:60], v[9:10], v[63:64]
	;; [unrolled: 1-line block ×3, first 2 shown]
	v_fma_f64 v[32:33], -v[59:60], v[11:12], v[32:33]
	v_fma_f64 v[9:10], v[57:58], v[11:12], v[9:10]
	s_waitcnt vmcnt(0)
	v_fma_f64 v[11:12], v[61:62], v[19:20], v[38:39]
	v_fma_f64 v[17:18], v[13:14], v[19:20], v[17:18]
	;; [unrolled: 1-line block ×8, first 2 shown]
	v_fma_f64 v[19:20], -v[13:14], v[21:22], v[11:12]
	v_fma_f64 v[17:18], v[61:62], v[21:22], v[17:18]
	v_fma_f64 v[13:14], -v[15:16], v[21:22], v[36:37]
	v_fma_f64 v[9:10], v[65:66], v[21:22], v[38:39]
	;; [unrolled: 2-line block ×4, first 2 shown]
	s_andn2_b64 exec, exec, s[10:11]
	s_cbranch_execnz .LBB165_27
; %bb.28:
	s_or_b64 exec, exec, s[10:11]
.LBB165_29:
	s_or_b64 exec, exec, s[8:9]
	v_cmp_lt_u32_e32 vcc, 11, v23
	s_and_saveexec_b64 s[0:1], vcc
	s_cbranch_execz .LBB165_33
; %bb.30:
	s_mov_b64 s[8:9], 0
	v_mov_b32_e32 v46, s13
	v_mov_b32_e32 v47, s7
.LBB165_31:                             ; =>This Inner Loop Header: Depth=1
	v_ashrrev_i32_e32 v27, 31, v26
	v_lshlrev_b64 v[23:24], 2, v[26:27]
	v_add_u32_e32 v26, 16, v26
	v_add_co_u32_e32 v23, vcc, s12, v23
	v_addc_co_u32_e32 v24, vcc, v46, v24, vcc
	global_load_dword v27, v[23:24], off
	global_load_dwordx4 v[30:33], v[28:29], off offset:48
	global_load_dwordx4 v[36:39], v[28:29], off offset:32
	;; [unrolled: 1-line block ×3, first 2 shown]
	global_load_dwordx4 v[51:54], v[28:29], off
	s_waitcnt vmcnt(4)
	v_subrev_u32_e32 v27, s16, v27
	v_lshlrev_b32_e32 v44, 2, v27
	v_ashrrev_i32_e32 v45, 31, v44
	v_lshlrev_b64 v[44:45], 4, v[44:45]
	s_waitcnt vmcnt(0)
	v_cvt_f64_f32_e32 v[48:49], v51
	v_add_co_u32_e32 v44, vcc, s6, v44
	v_addc_co_u32_e32 v45, vcc, v47, v45, vcc
	global_load_dwordx4 v[55:58], v[44:45], off offset:48
	global_load_dwordx4 v[59:62], v[44:45], off offset:32
	;; [unrolled: 1-line block ×3, first 2 shown]
	global_load_dwordx4 v[67:70], v[44:45], off
	v_cvt_f64_f32_e32 v[51:52], v52
	v_cvt_f64_f32_e32 v[44:45], v53
	s_waitcnt vmcnt(0)
	v_fma_f64 v[17:18], v[51:52], v[67:68], v[17:18]
	v_fma_f64 v[19:20], v[48:49], v[67:68], v[19:20]
	;; [unrolled: 1-line block ×4, first 2 shown]
	v_cvt_f64_f32_e32 v[48:49], v54
	v_fma_f64 v[19:20], -v[51:52], v[69:70], v[19:20]
	v_fma_f64 v[9:10], v[48:49], v[67:68], v[9:10]
	v_fma_f64 v[13:14], -v[48:49], v[69:70], v[13:14]
	v_fma_f64 v[9:10], v[44:45], v[69:70], v[9:10]
	v_cvt_f64_f32_e32 v[44:45], v40
	v_cvt_f64_f32_e32 v[40:41], v41
	v_fma_f64 v[15:16], v[44:45], v[67:68], v[15:16]
	v_fma_f64 v[11:12], v[40:41], v[67:68], v[11:12]
	v_fma_f64 v[15:16], -v[40:41], v[69:70], v[15:16]
	v_cvt_f64_f32_e32 v[40:41], v42
	v_cvt_f64_f32_e32 v[42:43], v43
	v_fma_f64 v[11:12], v[44:45], v[69:70], v[11:12]
	v_fma_f64 v[34:35], v[40:41], v[67:68], v[34:35]
	;; [unrolled: 1-line block ×3, first 2 shown]
	v_fma_f64 v[34:35], -v[42:43], v[69:70], v[34:35]
	v_fma_f64 v[21:22], v[40:41], v[69:70], v[21:22]
	v_cvt_f64_f32_e32 v[40:41], v36
	v_cvt_f64_f32_e32 v[36:37], v37
	v_fma_f64 v[19:20], v[40:41], v[63:64], v[19:20]
	v_fma_f64 v[17:18], v[36:37], v[63:64], v[17:18]
	v_fma_f64 v[42:43], -v[36:37], v[65:66], v[19:20]
	v_fma_f64 v[36:37], v[40:41], v[65:66], v[17:18]
	v_cvt_f64_f32_e32 v[17:18], v38
	v_cvt_f64_f32_e32 v[19:20], v39
	v_fma_f64 v[13:14], v[17:18], v[63:64], v[13:14]
	v_fma_f64 v[9:10], v[19:20], v[63:64], v[9:10]
	v_fma_f64 v[38:39], -v[19:20], v[65:66], v[13:14]
	v_cvt_f64_f32_e32 v[13:14], v31
	v_fma_f64 v[40:41], v[17:18], v[65:66], v[9:10]
	v_cvt_f64_f32_e32 v[9:10], v30
	v_fma_f64 v[11:12], v[13:14], v[63:64], v[11:12]
	v_fma_f64 v[15:16], v[9:10], v[63:64], v[15:16]
	;; [unrolled: 1-line block ×3, first 2 shown]
	v_cvt_f64_f32_e32 v[9:10], v32
	v_fma_f64 v[44:45], -v[13:14], v[65:66], v[15:16]
	v_cvt_f64_f32_e32 v[11:12], v33
	v_fma_f64 v[13:14], v[9:10], v[63:64], v[34:35]
	v_fma_f64 v[34:35], -v[11:12], v[65:66], v[13:14]
	v_fma_f64 v[11:12], v[11:12], v[63:64], v[21:22]
	v_fma_f64 v[21:22], v[9:10], v[65:66], v[11:12]
	global_load_dwordx4 v[9:12], v[28:29], off offset:112
	global_load_dwordx4 v[13:16], v[28:29], off offset:96
	;; [unrolled: 1-line block ×4, first 2 shown]
	s_waitcnt vmcnt(0)
	v_cvt_f64_f32_e32 v[51:52], v30
	v_cvt_f64_f32_e32 v[30:31], v31
	v_fma_f64 v[42:43], v[51:52], v[59:60], v[42:43]
	v_fma_f64 v[42:43], -v[30:31], v[61:62], v[42:43]
	v_fma_f64 v[30:31], v[30:31], v[59:60], v[36:37]
	v_cvt_f64_f32_e32 v[36:37], v32
	v_cvt_f64_f32_e32 v[32:33], v33
	v_fma_f64 v[38:39], v[36:37], v[59:60], v[38:39]
	v_fma_f64 v[30:31], v[51:52], v[61:62], v[30:31]
	v_fma_f64 v[38:39], -v[32:33], v[61:62], v[38:39]
	v_fma_f64 v[32:33], v[32:33], v[59:60], v[40:41]
	v_fma_f64 v[32:33], v[36:37], v[61:62], v[32:33]
	v_cvt_f64_f32_e32 v[36:37], v17
	v_cvt_f64_f32_e32 v[17:18], v18
	v_fma_f64 v[40:41], v[36:37], v[59:60], v[44:45]
	v_fma_f64 v[40:41], -v[17:18], v[61:62], v[40:41]
	v_fma_f64 v[17:18], v[17:18], v[59:60], v[48:49]
	v_fma_f64 v[17:18], v[36:37], v[61:62], v[17:18]
	v_cvt_f64_f32_e32 v[36:37], v19
	v_cvt_f64_f32_e32 v[19:20], v20
	v_fma_f64 v[34:35], v[36:37], v[59:60], v[34:35]
	v_fma_f64 v[34:35], -v[19:20], v[61:62], v[34:35]
	v_fma_f64 v[19:20], v[19:20], v[59:60], v[21:22]
	v_cvt_f64_f32_e32 v[21:22], v13
	v_cvt_f64_f32_e32 v[13:14], v14
	v_fma_f64 v[19:20], v[36:37], v[61:62], v[19:20]
	v_fma_f64 v[36:37], v[21:22], v[55:56], v[42:43]
	v_fma_f64 v[48:49], -v[13:14], v[57:58], v[36:37]
	v_fma_f64 v[13:14], v[13:14], v[55:56], v[30:31]
	v_fma_f64 v[21:22], v[21:22], v[57:58], v[13:14]
	v_cvt_f64_f32_e32 v[13:14], v15
	v_cvt_f64_f32_e32 v[15:16], v16
	v_fma_f64 v[30:31], v[13:14], v[55:56], v[38:39]
	v_fma_f64 v[59:60], -v[15:16], v[57:58], v[30:31]
	v_fma_f64 v[15:16], v[15:16], v[55:56], v[32:33]
	v_fma_f64 v[61:62], v[13:14], v[57:58], v[15:16]
	v_cvt_f64_f32_e32 v[13:14], v9
	v_cvt_f64_f32_e32 v[9:10], v10
	;; [unrolled: 6-line block ×3, first 2 shown]
	v_fma_f64 v[13:14], v[9:10], v[55:56], v[34:35]
	v_fma_f64 v[67:68], -v[11:12], v[57:58], v[13:14]
	v_fma_f64 v[11:12], v[11:12], v[55:56], v[19:20]
	v_fma_f64 v[55:56], v[9:10], v[57:58], v[11:12]
	global_load_dword v9, v[23:24], off offset:16
	s_waitcnt vmcnt(0)
	v_subrev_u32_e32 v9, s16, v9
	v_lshlrev_b32_e32 v34, 2, v9
	v_ashrrev_i32_e32 v35, 31, v34
	global_load_dwordx4 v[9:12], v[28:29], off offset:560
	global_load_dwordx4 v[13:16], v[28:29], off offset:544
	;; [unrolled: 1-line block ×4, first 2 shown]
	v_lshlrev_b64 v[34:35], 4, v[34:35]
	v_add_co_u32_e32 v69, vcc, s6, v34
	v_addc_co_u32_e32 v70, vcc, v47, v35, vcc
	global_load_dwordx4 v[34:37], v[69:70], off offset:48
	global_load_dwordx4 v[38:41], v[69:70], off offset:32
	;; [unrolled: 1-line block ×3, first 2 shown]
	global_load_dwordx4 v[51:54], v[69:70], off
	s_waitcnt vmcnt(4)
	v_cvt_f64_f32_e32 v[57:58], v30
	v_cvt_f64_f32_e32 v[30:31], v31
	s_waitcnt vmcnt(0)
	v_fma_f64 v[48:49], v[57:58], v[51:52], v[48:49]
	v_fma_f64 v[21:22], v[30:31], v[51:52], v[21:22]
	v_fma_f64 v[48:49], -v[30:31], v[53:54], v[48:49]
	v_cvt_f64_f32_e32 v[30:31], v32
	v_fma_f64 v[21:22], v[57:58], v[53:54], v[21:22]
	v_cvt_f64_f32_e32 v[32:33], v33
	v_fma_f64 v[57:58], v[30:31], v[51:52], v[59:60]
	v_fma_f64 v[57:58], -v[32:33], v[53:54], v[57:58]
	v_fma_f64 v[32:33], v[32:33], v[51:52], v[61:62]
	v_fma_f64 v[30:31], v[30:31], v[53:54], v[32:33]
	v_cvt_f64_f32_e32 v[32:33], v17
	v_cvt_f64_f32_e32 v[17:18], v18
	v_fma_f64 v[59:60], v[32:33], v[51:52], v[63:64]
	v_fma_f64 v[59:60], -v[17:18], v[53:54], v[59:60]
	v_fma_f64 v[17:18], v[17:18], v[51:52], v[65:66]
	v_fma_f64 v[17:18], v[32:33], v[53:54], v[17:18]
	v_cvt_f64_f32_e32 v[32:33], v19
	;; [unrolled: 6-line block ×6, first 2 shown]
	v_cvt_f64_f32_e32 v[11:12], v12
	v_fma_f64 v[13:14], v[9:10], v[42:43], v[61:62]
	v_fma_f64 v[59:60], -v[11:12], v[44:45], v[13:14]
	v_fma_f64 v[11:12], v[11:12], v[42:43], v[19:20]
	v_fma_f64 v[42:43], v[9:10], v[44:45], v[11:12]
	global_load_dwordx4 v[9:12], v[28:29], off offset:624
	global_load_dwordx4 v[13:16], v[28:29], off offset:608
	;; [unrolled: 1-line block ×4, first 2 shown]
	s_waitcnt vmcnt(0)
	v_cvt_f64_f32_e32 v[44:45], v30
	v_cvt_f64_f32_e32 v[30:31], v31
	v_fma_f64 v[48:49], v[44:45], v[38:39], v[48:49]
	v_fma_f64 v[21:22], v[30:31], v[38:39], v[21:22]
	v_fma_f64 v[48:49], -v[30:31], v[40:41], v[48:49]
	v_cvt_f64_f32_e32 v[30:31], v32
	v_fma_f64 v[21:22], v[44:45], v[40:41], v[21:22]
	v_cvt_f64_f32_e32 v[32:33], v33
	v_fma_f64 v[44:45], v[30:31], v[38:39], v[51:52]
	v_fma_f64 v[44:45], -v[32:33], v[40:41], v[44:45]
	v_fma_f64 v[32:33], v[32:33], v[38:39], v[53:54]
	v_fma_f64 v[30:31], v[30:31], v[40:41], v[32:33]
	v_cvt_f64_f32_e32 v[32:33], v17
	v_cvt_f64_f32_e32 v[17:18], v18
	v_fma_f64 v[51:52], v[32:33], v[38:39], v[55:56]
	v_fma_f64 v[51:52], -v[17:18], v[40:41], v[51:52]
	v_fma_f64 v[17:18], v[17:18], v[38:39], v[57:58]
	v_fma_f64 v[17:18], v[32:33], v[40:41], v[17:18]
	v_cvt_f64_f32_e32 v[32:33], v19
	;; [unrolled: 6-line block ×6, first 2 shown]
	v_cvt_f64_f32_e32 v[11:12], v12
	v_fma_f64 v[13:14], v[9:10], v[34:35], v[53:54]
	v_fma_f64 v[63:64], -v[11:12], v[36:37], v[13:14]
	v_fma_f64 v[11:12], v[11:12], v[34:35], v[19:20]
	v_fma_f64 v[65:66], v[9:10], v[36:37], v[11:12]
	global_load_dword v9, v[23:24], off offset:32
	s_waitcnt vmcnt(0)
	v_subrev_u32_e32 v9, s16, v9
	v_lshlrev_b32_e32 v34, 2, v9
	v_ashrrev_i32_e32 v35, 31, v34
	global_load_dwordx4 v[9:12], v[28:29], off offset:1072
	global_load_dwordx4 v[13:16], v[28:29], off offset:1056
	;; [unrolled: 1-line block ×4, first 2 shown]
	v_lshlrev_b64 v[34:35], 4, v[34:35]
	v_add_co_u32_e32 v69, vcc, s6, v34
	v_addc_co_u32_e32 v70, vcc, v47, v35, vcc
	global_load_dwordx4 v[51:54], v[69:70], off offset:48
	global_load_dwordx4 v[34:37], v[69:70], off offset:32
	global_load_dwordx4 v[38:41], v[69:70], off offset:16
	global_load_dwordx4 v[42:45], v[69:70], off
	s_waitcnt vmcnt(4)
	v_cvt_f64_f32_e32 v[67:68], v30
	v_cvt_f64_f32_e32 v[30:31], v31
	s_waitcnt vmcnt(0)
	v_fma_f64 v[48:49], v[67:68], v[42:43], v[48:49]
	v_fma_f64 v[21:22], v[30:31], v[42:43], v[21:22]
	v_fma_f64 v[48:49], -v[30:31], v[44:45], v[48:49]
	v_cvt_f64_f32_e32 v[30:31], v32
	v_cvt_f64_f32_e32 v[32:33], v33
	v_fma_f64 v[21:22], v[67:68], v[44:45], v[21:22]
	v_fma_f64 v[55:56], v[30:31], v[42:43], v[55:56]
	v_fma_f64 v[55:56], -v[32:33], v[44:45], v[55:56]
	v_fma_f64 v[32:33], v[32:33], v[42:43], v[57:58]
	v_fma_f64 v[30:31], v[30:31], v[44:45], v[32:33]
	v_cvt_f64_f32_e32 v[32:33], v17
	v_cvt_f64_f32_e32 v[17:18], v18
	v_fma_f64 v[57:58], v[32:33], v[42:43], v[59:60]
	v_fma_f64 v[57:58], -v[17:18], v[44:45], v[57:58]
	v_fma_f64 v[17:18], v[17:18], v[42:43], v[61:62]
	v_fma_f64 v[17:18], v[32:33], v[44:45], v[17:18]
	v_cvt_f64_f32_e32 v[32:33], v19
	v_cvt_f64_f32_e32 v[19:20], v20
	;; [unrolled: 6-line block ×6, first 2 shown]
	v_fma_f64 v[13:14], v[9:10], v[38:39], v[59:60]
	v_fma_f64 v[59:60], -v[11:12], v[40:41], v[13:14]
	v_fma_f64 v[11:12], v[11:12], v[38:39], v[19:20]
	v_fma_f64 v[38:39], v[9:10], v[40:41], v[11:12]
	global_load_dwordx4 v[9:12], v[28:29], off offset:1136
	global_load_dwordx4 v[13:16], v[28:29], off offset:1120
	global_load_dwordx4 v[17:20], v[28:29], off offset:1104
	global_load_dwordx4 v[30:33], v[28:29], off offset:1088
	s_waitcnt vmcnt(0)
	v_cvt_f64_f32_e32 v[40:41], v30
	v_cvt_f64_f32_e32 v[30:31], v31
	v_fma_f64 v[42:43], v[40:41], v[34:35], v[42:43]
	v_fma_f64 v[21:22], v[30:31], v[34:35], v[21:22]
	v_fma_f64 v[42:43], -v[30:31], v[36:37], v[42:43]
	v_cvt_f64_f32_e32 v[30:31], v32
	v_fma_f64 v[21:22], v[40:41], v[36:37], v[21:22]
	v_cvt_f64_f32_e32 v[32:33], v33
	v_fma_f64 v[40:41], v[30:31], v[34:35], v[44:45]
	v_fma_f64 v[40:41], -v[32:33], v[36:37], v[40:41]
	v_fma_f64 v[32:33], v[32:33], v[34:35], v[48:49]
	v_fma_f64 v[30:31], v[30:31], v[36:37], v[32:33]
	v_cvt_f64_f32_e32 v[32:33], v17
	v_cvt_f64_f32_e32 v[17:18], v18
	v_fma_f64 v[44:45], v[32:33], v[34:35], v[55:56]
	v_fma_f64 v[48:49], -v[17:18], v[36:37], v[44:45]
	v_fma_f64 v[17:18], v[17:18], v[34:35], v[57:58]
	v_fma_f64 v[17:18], v[32:33], v[36:37], v[17:18]
	v_cvt_f64_f32_e32 v[32:33], v19
	;; [unrolled: 6-line block ×6, first 2 shown]
	v_cvt_f64_f32_e32 v[11:12], v12
	v_fma_f64 v[13:14], v[9:10], v[51:52], v[55:56]
	v_fma_f64 v[30:31], -v[11:12], v[53:54], v[13:14]
	v_fma_f64 v[11:12], v[11:12], v[51:52], v[19:20]
	v_fma_f64 v[32:33], v[9:10], v[53:54], v[11:12]
	global_load_dword v9, v[23:24], off offset:48
	s_waitcnt vmcnt(0)
	v_subrev_u32_e32 v9, s16, v9
	v_lshlrev_b32_e32 v21, 2, v9
	v_ashrrev_i32_e32 v22, 31, v21
	global_load_dwordx4 v[9:12], v[28:29], off offset:1584
	global_load_dwordx4 v[13:16], v[28:29], off offset:1568
	global_load_dwordx4 v[17:20], v[28:29], off offset:1552
	global_load_dwordx4 v[51:54], v[28:29], off offset:1536
	v_lshlrev_b64 v[21:22], 4, v[21:22]
	v_add_co_u32_e32 v67, vcc, s6, v21
	v_addc_co_u32_e32 v68, vcc, v47, v22, vcc
	global_load_dwordx4 v[21:24], v[67:68], off offset:48
	global_load_dwordx4 v[55:58], v[67:68], off offset:32
	;; [unrolled: 1-line block ×3, first 2 shown]
	global_load_dwordx4 v[63:66], v[67:68], off
	s_waitcnt vmcnt(4)
	v_cvt_f64_f32_e32 v[48:49], v51
	v_cvt_f64_f32_e32 v[51:52], v52
	s_waitcnt vmcnt(0)
	v_fma_f64 v[42:43], v[48:49], v[63:64], v[42:43]
	v_fma_f64 v[44:45], v[51:52], v[63:64], v[44:45]
	v_fma_f64 v[42:43], -v[51:52], v[65:66], v[42:43]
	v_cvt_f64_f32_e32 v[51:52], v54
	v_fma_f64 v[44:45], v[48:49], v[65:66], v[44:45]
	v_cvt_f64_f32_e32 v[48:49], v53
	v_fma_f64 v[40:41], v[51:52], v[63:64], v[40:41]
	v_fma_f64 v[38:39], v[48:49], v[63:64], v[38:39]
	;; [unrolled: 1-line block ×3, first 2 shown]
	v_cvt_f64_f32_e32 v[48:49], v17
	v_cvt_f64_f32_e32 v[17:18], v18
	v_fma_f64 v[38:39], -v[51:52], v[65:66], v[38:39]
	v_fma_f64 v[34:35], v[48:49], v[63:64], v[34:35]
	v_fma_f64 v[34:35], -v[17:18], v[65:66], v[34:35]
	v_fma_f64 v[17:18], v[17:18], v[63:64], v[36:37]
	v_cvt_f64_f32_e32 v[36:37], v19
	v_cvt_f64_f32_e32 v[19:20], v20
	v_fma_f64 v[30:31], v[36:37], v[63:64], v[30:31]
	v_fma_f64 v[17:18], v[48:49], v[65:66], v[17:18]
	v_fma_f64 v[30:31], -v[19:20], v[65:66], v[30:31]
	v_fma_f64 v[19:20], v[19:20], v[63:64], v[32:33]
	v_cvt_f64_f32_e32 v[32:33], v13
	v_cvt_f64_f32_e32 v[13:14], v14
	v_fma_f64 v[19:20], v[36:37], v[65:66], v[19:20]
	v_fma_f64 v[36:37], v[32:33], v[59:60], v[42:43]
	v_fma_f64 v[36:37], -v[13:14], v[61:62], v[36:37]
	v_fma_f64 v[13:14], v[13:14], v[59:60], v[44:45]
	v_fma_f64 v[42:43], v[32:33], v[61:62], v[13:14]
	v_cvt_f64_f32_e32 v[13:14], v15
	v_cvt_f64_f32_e32 v[15:16], v16
	v_fma_f64 v[32:33], v[13:14], v[59:60], v[38:39]
	v_fma_f64 v[38:39], -v[15:16], v[61:62], v[32:33]
	v_fma_f64 v[15:16], v[15:16], v[59:60], v[40:41]
	v_fma_f64 v[40:41], v[13:14], v[61:62], v[15:16]
	v_cvt_f64_f32_e32 v[13:14], v9
	v_cvt_f64_f32_e32 v[9:10], v10
	v_fma_f64 v[15:16], v[13:14], v[59:60], v[34:35]
	v_fma_f64 v[34:35], -v[9:10], v[61:62], v[15:16]
	v_fma_f64 v[9:10], v[9:10], v[59:60], v[17:18]
	v_fma_f64 v[44:45], v[13:14], v[61:62], v[9:10]
	v_cvt_f64_f32_e32 v[9:10], v11
	v_cvt_f64_f32_e32 v[11:12], v12
	v_fma_f64 v[13:14], v[9:10], v[59:60], v[30:31]
	v_fma_f64 v[48:49], -v[11:12], v[61:62], v[13:14]
	v_fma_f64 v[11:12], v[11:12], v[59:60], v[19:20]
	v_fma_f64 v[51:52], v[9:10], v[61:62], v[11:12]
	global_load_dwordx4 v[30:33], v[28:29], off offset:1648
	global_load_dwordx4 v[9:12], v[28:29], off offset:1632
	;; [unrolled: 1-line block ×4, first 2 shown]
	v_add_co_u32_e32 v28, vcc, 0x800, v28
	v_addc_co_u32_e32 v29, vcc, 0, v29, vcc
	v_cmp_ge_i32_e32 vcc, v26, v50
	s_or_b64 s[8:9], vcc, s[8:9]
	s_waitcnt vmcnt(0)
	v_cvt_f64_f32_e32 v[53:54], v17
	v_cvt_f64_f32_e32 v[17:18], v18
	v_fma_f64 v[36:37], v[53:54], v[55:56], v[36:37]
	v_fma_f64 v[36:37], -v[17:18], v[57:58], v[36:37]
	v_fma_f64 v[17:18], v[17:18], v[55:56], v[42:43]
	v_cvt_f64_f32_e32 v[42:43], v19
	v_cvt_f64_f32_e32 v[19:20], v20
	v_fma_f64 v[38:39], v[42:43], v[55:56], v[38:39]
	v_fma_f64 v[17:18], v[53:54], v[57:58], v[17:18]
	v_fma_f64 v[38:39], -v[19:20], v[57:58], v[38:39]
	v_fma_f64 v[19:20], v[19:20], v[55:56], v[40:41]
	v_fma_f64 v[40:41], v[42:43], v[57:58], v[19:20]
	v_cvt_f64_f32_e32 v[19:20], v13
	v_cvt_f64_f32_e32 v[13:14], v14
	v_fma_f64 v[34:35], v[19:20], v[55:56], v[34:35]
	v_fma_f64 v[34:35], -v[13:14], v[57:58], v[34:35]
	v_fma_f64 v[13:14], v[13:14], v[55:56], v[44:45]
	v_fma_f64 v[42:43], v[19:20], v[57:58], v[13:14]
	v_cvt_f64_f32_e32 v[13:14], v15
	v_cvt_f64_f32_e32 v[15:16], v16
	;; [unrolled: 6-line block ×6, first 2 shown]
	v_fma_f64 v[34:35], v[30:31], v[21:22], v[44:45]
	v_fma_f64 v[21:22], v[32:33], v[21:22], v[48:49]
	v_fma_f64 v[34:35], -v[32:33], v[23:24], v[34:35]
	v_fma_f64 v[21:22], v[30:31], v[23:24], v[21:22]
	s_andn2_b64 exec, exec, s[8:9]
	s_cbranch_execnz .LBB165_31
; %bb.32:
	s_or_b64 exec, exec, s[8:9]
.LBB165_33:
	s_or_b64 exec, exec, s[0:1]
.LBB165_34:
	s_or_b64 exec, exec, s[2:3]
.LBB165_35:
	v_mov_b32_dpp v23, v19 row_shr:1 row_mask:0xf bank_mask:0xf
	v_mov_b32_dpp v24, v20 row_shr:1 row_mask:0xf bank_mask:0xf
	;; [unrolled: 1-line block ×4, first 2 shown]
	v_add_f64 v[19:20], v[19:20], v[23:24]
	v_mov_b32_dpp v23, v17 row_shr:1 row_mask:0xf bank_mask:0xf
	v_mov_b32_dpp v24, v18 row_shr:1 row_mask:0xf bank_mask:0xf
	v_add_f64 v[15:16], v[15:16], v[32:33]
	v_mov_b32_dpp v32, v11 row_shr:1 row_mask:0xf bank_mask:0xf
	v_mov_b32_dpp v33, v12 row_shr:1 row_mask:0xf bank_mask:0xf
	;; [unrolled: 3-line block ×6, first 2 shown]
	v_add_f64 v[9:10], v[9:10], v[23:24]
	v_add_f64 v[21:22], v[21:22], v[34:35]
	v_mov_b32_dpp v30, v19 row_shr:2 row_mask:0xf bank_mask:0xf
	v_mov_b32_dpp v31, v20 row_shr:2 row_mask:0xf bank_mask:0xf
	;; [unrolled: 1-line block ×16, first 2 shown]
	v_cmp_eq_u32_e32 vcc, 3, v0
	s_and_b64 exec, exec, vcc
	s_cbranch_execz .LBB165_8
; %bb.36:
	v_add_f64 v[17:18], v[17:18], v[28:29]
	v_add_f64 v[26:27], v[13:14], v[26:27]
	;; [unrolled: 1-line block ×8, first 2 shown]
	v_mul_f64 v[15:16], v[17:18], -v[7:8]
	v_mul_f64 v[21:22], v[5:6], v[17:18]
	v_mul_f64 v[30:31], v[9:10], -v[7:8]
	v_mul_f64 v[9:10], v[5:6], v[9:10]
	;; [unrolled: 2-line block ×4, first 2 shown]
	v_cmp_eq_f64_e32 vcc, 0, v[1:2]
	v_cmp_eq_f64_e64 s[0:1], 0, v[3:4]
	v_fma_f64 v[17:18], v[5:6], v[19:20], v[15:16]
	v_fma_f64 v[19:20], v[7:8], v[19:20], v[21:22]
	;; [unrolled: 1-line block ×8, first 2 shown]
	s_load_dwordx2 s[2:3], s[4:5], 0x60
	s_and_b64 s[0:1], vcc, s[0:1]
	v_lshlrev_b32_e32 v21, 2, v25
	s_and_saveexec_b64 s[4:5], s[0:1]
	s_xor_b64 s[0:1], exec, s[4:5]
	s_cbranch_execz .LBB165_38
; %bb.37:
	v_ashrrev_i32_e32 v22, 31, v21
	v_lshlrev_b64 v[0:1], 4, v[21:22]
	s_waitcnt lgkmcnt(0)
	v_mov_b32_e32 v2, s3
	v_add_co_u32_e32 v0, vcc, s2, v0
	v_addc_co_u32_e32 v1, vcc, v2, v1, vcc
	global_store_dwordx4 v[0:1], v[17:20], off
	global_store_dwordx4 v[0:1], v[13:16], off offset:16
	global_store_dwordx4 v[0:1], v[9:12], off offset:32
	;; [unrolled: 1-line block ×3, first 2 shown]
                                        ; implicit-def: $vgpr3_vgpr4
                                        ; implicit-def: $vgpr17_vgpr18
                                        ; implicit-def: $vgpr21
                                        ; implicit-def: $vgpr13_vgpr14
                                        ; implicit-def: $vgpr9_vgpr10
                                        ; implicit-def: $vgpr5_vgpr6
.LBB165_38:
	s_andn2_saveexec_b64 s[0:1], s[0:1]
	s_cbranch_execz .LBB165_8
; %bb.39:
	v_ashrrev_i32_e32 v22, 31, v21
	v_lshlrev_b64 v[21:22], 4, v[21:22]
	s_waitcnt lgkmcnt(0)
	v_mov_b32_e32 v0, s3
	v_add_co_u32_e32 v37, vcc, s2, v21
	v_addc_co_u32_e32 v38, vcc, v0, v22, vcc
	global_load_dwordx4 v[21:24], v[37:38], off
	global_load_dwordx4 v[25:28], v[37:38], off offset:16
	global_load_dwordx4 v[29:32], v[37:38], off offset:32
	global_load_dwordx4 v[33:36], v[37:38], off offset:48
	s_waitcnt vmcnt(3)
	v_fma_f64 v[17:18], v[1:2], v[21:22], v[17:18]
	v_fma_f64 v[19:20], v[3:4], v[21:22], v[19:20]
	s_waitcnt vmcnt(2)
	v_fma_f64 v[13:14], v[1:2], v[25:26], v[13:14]
	v_fma_f64 v[15:16], v[3:4], v[25:26], v[15:16]
	;; [unrolled: 3-line block ×4, first 2 shown]
	v_fma_f64 v[5:6], -v[3:4], v[23:24], v[17:18]
	v_fma_f64 v[7:8], v[1:2], v[23:24], v[19:20]
	v_fma_f64 v[9:10], -v[3:4], v[27:28], v[13:14]
	v_fma_f64 v[11:12], v[1:2], v[27:28], v[15:16]
	;; [unrolled: 2-line block ×4, first 2 shown]
	global_store_dwordx4 v[37:38], v[5:8], off
	global_store_dwordx4 v[37:38], v[9:12], off offset:16
	global_store_dwordx4 v[37:38], v[13:16], off offset:32
	;; [unrolled: 1-line block ×3, first 2 shown]
	s_endpgm
	.section	.rodata,"a",@progbits
	.p2align	6, 0x0
	.amdhsa_kernel _ZN9rocsparseL18bsrxmvn_4x4_kernelILj128ELj4E21rocsparse_complex_numIdEiiS1_IfES2_S2_EEvT3_20rocsparse_direction_NS_24const_host_device_scalarIT1_EES4_PKS4_PKT2_SD_SA_PKT4_PKT5_S8_PT6_21rocsparse_index_base_b
		.amdhsa_group_segment_fixed_size 0
		.amdhsa_private_segment_fixed_size 0
		.amdhsa_kernarg_size 112
		.amdhsa_user_sgpr_count 6
		.amdhsa_user_sgpr_private_segment_buffer 1
		.amdhsa_user_sgpr_dispatch_ptr 0
		.amdhsa_user_sgpr_queue_ptr 0
		.amdhsa_user_sgpr_kernarg_segment_ptr 1
		.amdhsa_user_sgpr_dispatch_id 0
		.amdhsa_user_sgpr_flat_scratch_init 0
		.amdhsa_user_sgpr_private_segment_size 0
		.amdhsa_uses_dynamic_stack 0
		.amdhsa_system_sgpr_private_segment_wavefront_offset 0
		.amdhsa_system_sgpr_workgroup_id_x 1
		.amdhsa_system_sgpr_workgroup_id_y 0
		.amdhsa_system_sgpr_workgroup_id_z 0
		.amdhsa_system_sgpr_workgroup_info 0
		.amdhsa_system_vgpr_workitem_id 0
		.amdhsa_next_free_vgpr 85
		.amdhsa_next_free_sgpr 18
		.amdhsa_reserve_vcc 1
		.amdhsa_reserve_flat_scratch 0
		.amdhsa_float_round_mode_32 0
		.amdhsa_float_round_mode_16_64 0
		.amdhsa_float_denorm_mode_32 3
		.amdhsa_float_denorm_mode_16_64 3
		.amdhsa_dx10_clamp 1
		.amdhsa_ieee_mode 1
		.amdhsa_fp16_overflow 0
		.amdhsa_exception_fp_ieee_invalid_op 0
		.amdhsa_exception_fp_denorm_src 0
		.amdhsa_exception_fp_ieee_div_zero 0
		.amdhsa_exception_fp_ieee_overflow 0
		.amdhsa_exception_fp_ieee_underflow 0
		.amdhsa_exception_fp_ieee_inexact 0
		.amdhsa_exception_int_div_zero 0
	.end_amdhsa_kernel
	.section	.text._ZN9rocsparseL18bsrxmvn_4x4_kernelILj128ELj4E21rocsparse_complex_numIdEiiS1_IfES2_S2_EEvT3_20rocsparse_direction_NS_24const_host_device_scalarIT1_EES4_PKS4_PKT2_SD_SA_PKT4_PKT5_S8_PT6_21rocsparse_index_base_b,"axG",@progbits,_ZN9rocsparseL18bsrxmvn_4x4_kernelILj128ELj4E21rocsparse_complex_numIdEiiS1_IfES2_S2_EEvT3_20rocsparse_direction_NS_24const_host_device_scalarIT1_EES4_PKS4_PKT2_SD_SA_PKT4_PKT5_S8_PT6_21rocsparse_index_base_b,comdat
.Lfunc_end165:
	.size	_ZN9rocsparseL18bsrxmvn_4x4_kernelILj128ELj4E21rocsparse_complex_numIdEiiS1_IfES2_S2_EEvT3_20rocsparse_direction_NS_24const_host_device_scalarIT1_EES4_PKS4_PKT2_SD_SA_PKT4_PKT5_S8_PT6_21rocsparse_index_base_b, .Lfunc_end165-_ZN9rocsparseL18bsrxmvn_4x4_kernelILj128ELj4E21rocsparse_complex_numIdEiiS1_IfES2_S2_EEvT3_20rocsparse_direction_NS_24const_host_device_scalarIT1_EES4_PKS4_PKT2_SD_SA_PKT4_PKT5_S8_PT6_21rocsparse_index_base_b
                                        ; -- End function
	.set _ZN9rocsparseL18bsrxmvn_4x4_kernelILj128ELj4E21rocsparse_complex_numIdEiiS1_IfES2_S2_EEvT3_20rocsparse_direction_NS_24const_host_device_scalarIT1_EES4_PKS4_PKT2_SD_SA_PKT4_PKT5_S8_PT6_21rocsparse_index_base_b.num_vgpr, 85
	.set _ZN9rocsparseL18bsrxmvn_4x4_kernelILj128ELj4E21rocsparse_complex_numIdEiiS1_IfES2_S2_EEvT3_20rocsparse_direction_NS_24const_host_device_scalarIT1_EES4_PKS4_PKT2_SD_SA_PKT4_PKT5_S8_PT6_21rocsparse_index_base_b.num_agpr, 0
	.set _ZN9rocsparseL18bsrxmvn_4x4_kernelILj128ELj4E21rocsparse_complex_numIdEiiS1_IfES2_S2_EEvT3_20rocsparse_direction_NS_24const_host_device_scalarIT1_EES4_PKS4_PKT2_SD_SA_PKT4_PKT5_S8_PT6_21rocsparse_index_base_b.numbered_sgpr, 18
	.set _ZN9rocsparseL18bsrxmvn_4x4_kernelILj128ELj4E21rocsparse_complex_numIdEiiS1_IfES2_S2_EEvT3_20rocsparse_direction_NS_24const_host_device_scalarIT1_EES4_PKS4_PKT2_SD_SA_PKT4_PKT5_S8_PT6_21rocsparse_index_base_b.num_named_barrier, 0
	.set _ZN9rocsparseL18bsrxmvn_4x4_kernelILj128ELj4E21rocsparse_complex_numIdEiiS1_IfES2_S2_EEvT3_20rocsparse_direction_NS_24const_host_device_scalarIT1_EES4_PKS4_PKT2_SD_SA_PKT4_PKT5_S8_PT6_21rocsparse_index_base_b.private_seg_size, 0
	.set _ZN9rocsparseL18bsrxmvn_4x4_kernelILj128ELj4E21rocsparse_complex_numIdEiiS1_IfES2_S2_EEvT3_20rocsparse_direction_NS_24const_host_device_scalarIT1_EES4_PKS4_PKT2_SD_SA_PKT4_PKT5_S8_PT6_21rocsparse_index_base_b.uses_vcc, 1
	.set _ZN9rocsparseL18bsrxmvn_4x4_kernelILj128ELj4E21rocsparse_complex_numIdEiiS1_IfES2_S2_EEvT3_20rocsparse_direction_NS_24const_host_device_scalarIT1_EES4_PKS4_PKT2_SD_SA_PKT4_PKT5_S8_PT6_21rocsparse_index_base_b.uses_flat_scratch, 0
	.set _ZN9rocsparseL18bsrxmvn_4x4_kernelILj128ELj4E21rocsparse_complex_numIdEiiS1_IfES2_S2_EEvT3_20rocsparse_direction_NS_24const_host_device_scalarIT1_EES4_PKS4_PKT2_SD_SA_PKT4_PKT5_S8_PT6_21rocsparse_index_base_b.has_dyn_sized_stack, 0
	.set _ZN9rocsparseL18bsrxmvn_4x4_kernelILj128ELj4E21rocsparse_complex_numIdEiiS1_IfES2_S2_EEvT3_20rocsparse_direction_NS_24const_host_device_scalarIT1_EES4_PKS4_PKT2_SD_SA_PKT4_PKT5_S8_PT6_21rocsparse_index_base_b.has_recursion, 0
	.set _ZN9rocsparseL18bsrxmvn_4x4_kernelILj128ELj4E21rocsparse_complex_numIdEiiS1_IfES2_S2_EEvT3_20rocsparse_direction_NS_24const_host_device_scalarIT1_EES4_PKS4_PKT2_SD_SA_PKT4_PKT5_S8_PT6_21rocsparse_index_base_b.has_indirect_call, 0
	.section	.AMDGPU.csdata,"",@progbits
; Kernel info:
; codeLenInByte = 10212
; TotalNumSgprs: 22
; NumVgprs: 85
; ScratchSize: 0
; MemoryBound: 0
; FloatMode: 240
; IeeeMode: 1
; LDSByteSize: 0 bytes/workgroup (compile time only)
; SGPRBlocks: 2
; VGPRBlocks: 21
; NumSGPRsForWavesPerEU: 22
; NumVGPRsForWavesPerEU: 85
; Occupancy: 2
; WaveLimiterHint : 1
; COMPUTE_PGM_RSRC2:SCRATCH_EN: 0
; COMPUTE_PGM_RSRC2:USER_SGPR: 6
; COMPUTE_PGM_RSRC2:TRAP_HANDLER: 0
; COMPUTE_PGM_RSRC2:TGID_X_EN: 1
; COMPUTE_PGM_RSRC2:TGID_Y_EN: 0
; COMPUTE_PGM_RSRC2:TGID_Z_EN: 0
; COMPUTE_PGM_RSRC2:TIDIG_COMP_CNT: 0
	.section	.text._ZN9rocsparseL18bsrxmvn_4x4_kernelILj128ELj8E21rocsparse_complex_numIdEiiS1_IfES2_S2_EEvT3_20rocsparse_direction_NS_24const_host_device_scalarIT1_EES4_PKS4_PKT2_SD_SA_PKT4_PKT5_S8_PT6_21rocsparse_index_base_b,"axG",@progbits,_ZN9rocsparseL18bsrxmvn_4x4_kernelILj128ELj8E21rocsparse_complex_numIdEiiS1_IfES2_S2_EEvT3_20rocsparse_direction_NS_24const_host_device_scalarIT1_EES4_PKS4_PKT2_SD_SA_PKT4_PKT5_S8_PT6_21rocsparse_index_base_b,comdat
	.globl	_ZN9rocsparseL18bsrxmvn_4x4_kernelILj128ELj8E21rocsparse_complex_numIdEiiS1_IfES2_S2_EEvT3_20rocsparse_direction_NS_24const_host_device_scalarIT1_EES4_PKS4_PKT2_SD_SA_PKT4_PKT5_S8_PT6_21rocsparse_index_base_b ; -- Begin function _ZN9rocsparseL18bsrxmvn_4x4_kernelILj128ELj8E21rocsparse_complex_numIdEiiS1_IfES2_S2_EEvT3_20rocsparse_direction_NS_24const_host_device_scalarIT1_EES4_PKS4_PKT2_SD_SA_PKT4_PKT5_S8_PT6_21rocsparse_index_base_b
	.p2align	8
	.type	_ZN9rocsparseL18bsrxmvn_4x4_kernelILj128ELj8E21rocsparse_complex_numIdEiiS1_IfES2_S2_EEvT3_20rocsparse_direction_NS_24const_host_device_scalarIT1_EES4_PKS4_PKT2_SD_SA_PKT4_PKT5_S8_PT6_21rocsparse_index_base_b,@function
_ZN9rocsparseL18bsrxmvn_4x4_kernelILj128ELj8E21rocsparse_complex_numIdEiiS1_IfES2_S2_EEvT3_20rocsparse_direction_NS_24const_host_device_scalarIT1_EES4_PKS4_PKT2_SD_SA_PKT4_PKT5_S8_PT6_21rocsparse_index_base_b: ; @_ZN9rocsparseL18bsrxmvn_4x4_kernelILj128ELj8E21rocsparse_complex_numIdEiiS1_IfES2_S2_EEvT3_20rocsparse_direction_NS_24const_host_device_scalarIT1_EES4_PKS4_PKT2_SD_SA_PKT4_PKT5_S8_PT6_21rocsparse_index_base_b
; %bb.0:
	s_load_dwordx2 s[0:1], s[4:5], 0x8
	s_load_dwordx2 s[16:17], s[4:5], 0x68
	s_add_u32 s7, s4, 8
	s_addc_u32 s8, s5, 0
	s_add_u32 s9, s4, 0x50
	s_addc_u32 s10, s5, 0
	s_waitcnt lgkmcnt(0)
	s_bitcmp1_b32 s17, 0
	s_cselect_b32 s1, s8, s1
	s_cselect_b32 s0, s7, s0
	v_mov_b32_e32 v1, s0
	v_mov_b32_e32 v2, s1
	flat_load_dwordx4 v[5:8], v[1:2]
	s_load_dwordx2 s[2:3], s[4:5], 0x50
	s_waitcnt lgkmcnt(0)
	s_cselect_b32 s0, s10, s3
	s_cselect_b32 s1, s9, s2
	v_mov_b32_e32 v1, s1
	v_mov_b32_e32 v2, s0
	flat_load_dwordx4 v[1:4], v[1:2]
	s_waitcnt vmcnt(0)
	v_cmp_eq_f64_e32 vcc, 0, v[5:6]
	v_cmp_eq_f64_e64 s[0:1], 0, v[7:8]
	s_and_b64 s[8:9], vcc, s[0:1]
	s_mov_b64 s[0:1], -1
	s_and_saveexec_b64 s[2:3], s[8:9]
	s_cbranch_execz .LBB166_2
; %bb.1:
	s_waitcnt lgkmcnt(0)
	v_cmp_neq_f64_e32 vcc, 1.0, v[1:2]
	v_cmp_neq_f64_e64 s[0:1], 0, v[3:4]
	s_or_b64 s[0:1], vcc, s[0:1]
	s_orn2_b64 s[0:1], s[0:1], exec
.LBB166_2:
	s_or_b64 exec, exec, s[2:3]
	s_and_saveexec_b64 s[2:3], s[0:1]
	s_cbranch_execz .LBB166_8
; %bb.3:
	s_load_dwordx2 s[8:9], s[4:5], 0x20
	s_load_dwordx2 s[0:1], s[4:5], 0x0
	v_lshrrev_b32_e32 v9, 3, v0
	v_lshl_or_b32 v25, s6, 4, v9
	s_mov_b64 s[2:3], 0
	s_waitcnt lgkmcnt(0)
	s_cmp_lg_u64 s[8:9], 0
	s_cbranch_scc0 .LBB166_9
; %bb.4:
	s_load_dword s6, s[4:5], 0x18
                                        ; implicit-def: $vgpr9
	s_waitcnt lgkmcnt(0)
	v_cmp_gt_i32_e32 vcc, s6, v25
	s_and_saveexec_b64 s[6:7], vcc
	s_xor_b64 s[6:7], exec, s[6:7]
	s_cbranch_execz .LBB166_6
; %bb.5:
	v_ashrrev_i32_e32 v26, 31, v25
	v_lshlrev_b64 v[9:10], 2, v[25:26]
	v_mov_b32_e32 v11, s9
	v_add_co_u32_e32 v9, vcc, s8, v9
	v_addc_co_u32_e32 v10, vcc, v11, v10, vcc
	global_load_dword v9, v[9:10], off
	s_mov_b64 s[2:3], exec
	s_waitcnt vmcnt(0)
	v_subrev_u32_e32 v9, s16, v9
.LBB166_6:
	s_or_b64 exec, exec, s[6:7]
	s_branch .LBB166_10
.LBB166_7:
	v_cmp_gt_i32_e32 vcc, s0, v25
	s_andn2_b64 s[2:3], s[2:3], exec
	s_and_b64 s[6:7], vcc, exec
	s_or_b64 s[2:3], s[2:3], s[6:7]
	s_and_b64 exec, exec, s[2:3]
	s_cbranch_execnz .LBB166_11
.LBB166_8:
	s_endpgm
.LBB166_9:
                                        ; implicit-def: $vgpr9
	s_cbranch_execnz .LBB166_7
.LBB166_10:
	v_mov_b32_e32 v25, v9
	s_and_b64 exec, exec, s[2:3]
	s_cbranch_execz .LBB166_8
.LBB166_11:
	s_load_dwordx8 s[8:15], s[4:5], 0x28
	v_ashrrev_i32_e32 v26, 31, v25
	v_lshlrev_b64 v[9:10], 2, v[25:26]
	v_and_b32_e32 v0, 7, v0
	s_load_dwordx2 s[6:7], s[4:5], 0x48
	s_waitcnt lgkmcnt(0)
	v_mov_b32_e32 v12, s9
	v_add_co_u32_e32 v11, vcc, s8, v9
	v_addc_co_u32_e32 v12, vcc, v12, v10, vcc
	global_load_dword v51, v[11:12], off
	v_add_co_u32_e32 v11, vcc, 4, v11
	v_addc_co_u32_e32 v12, vcc, 0, v12, vcc
	v_mov_b32_e32 v13, s11
	v_add_co_u32_e32 v9, vcc, s10, v9
	s_cmp_eq_u64 s[10:11], 0
	v_addc_co_u32_e32 v10, vcc, v13, v10, vcc
	s_cselect_b64 vcc, -1, 0
	v_cndmask_b32_e32 v10, v10, v12, vcc
	v_cndmask_b32_e32 v9, v9, v11, vcc
	global_load_dword v9, v[9:10], off
	v_mov_b32_e32 v11, s15
	s_cmp_eq_u32 s1, 1
	s_waitcnt vmcnt(1)
	v_subrev_u32_e32 v10, s16, v51
	v_add_u32_e32 v26, v10, v0
	v_ashrrev_i32_e32 v27, 31, v26
	s_waitcnt vmcnt(0)
	v_subrev_u32_e32 v50, s16, v9
	v_lshlrev_b64 v[9:10], 7, v[26:27]
	v_cmp_lt_i32_e64 s[0:1], v26, v50
	v_add_co_u32_e32 v28, vcc, s14, v9
	v_addc_co_u32_e32 v29, vcc, v11, v10, vcc
	s_cbranch_scc1 .LBB166_23
; %bb.12:
	v_mov_b32_e32 v17, 0
	v_mov_b32_e32 v19, 0
	;; [unrolled: 1-line block ×16, first 2 shown]
	s_and_saveexec_b64 s[8:9], s[0:1]
	s_cbranch_execz .LBB166_22
; %bb.13:
	v_add_u32_e32 v9, v51, v0
	v_subrev_u32_e32 v9, s16, v9
	v_add_u32_e32 v9, 8, v9
	v_max_i32_e32 v9, v9, v50
	v_not_b32_e32 v10, v51
	v_add3_u32 v9, s16, v9, v10
	v_sub_u32_e32 v23, v9, v0
	v_and_b32_e32 v9, 24, v23
	v_cmp_ne_u32_e32 vcc, 24, v9
	v_mov_b32_e32 v34, 0
	v_mov_b32_e32 v21, 0
	;; [unrolled: 1-line block ×19, first 2 shown]
	s_and_saveexec_b64 s[10:11], vcc
	s_cbranch_execz .LBB166_17
; %bb.14:
	v_lshrrev_b32_e32 v9, 3, v23
	v_add_u32_e32 v9, 1, v9
	v_and_b32_e32 v9, 3, v9
	v_sub_u32_e32 v24, 0, v9
	v_mov_b32_e32 v17, 0
	v_mov_b32_e32 v19, 0
	;; [unrolled: 1-line block ×10, first 2 shown]
	s_mov_b64 s[14:15], 0
	v_mov_b32_e32 v27, s13
	v_mov_b32_e32 v36, s7
	v_mov_b32_e32 v30, v26
	v_mov_b32_e32 v20, 0
	v_mov_b32_e32 v12, 0
	v_mov_b32_e32 v16, 0
	v_mov_b32_e32 v10, 0
	v_mov_b32_e32 v14, 0
	v_mov_b32_e32 v22, 0
	v_mov_b32_e32 v35, 0
	v_mov_b32_e32 v32, v28
.LBB166_15:                             ; =>This Inner Loop Header: Depth=1
	v_ashrrev_i32_e32 v31, 31, v30
	v_lshlrev_b64 v[41:42], 2, v[30:31]
	global_load_dwordx4 v[37:40], v[32:33], off
	v_add_co_u32_e32 v41, vcc, s12, v41
	v_addc_co_u32_e32 v42, vcc, v27, v42, vcc
	global_load_dword v31, v[41:42], off
	v_add_co_u32_e64 v24, s[2:3], 1, v24
	s_or_b64 s[14:15], s[2:3], s[14:15]
	v_add_u32_e32 v30, 8, v30
	s_waitcnt vmcnt(1)
	v_cvt_f64_f32_e32 v[45:46], v37
	v_cvt_f64_f32_e32 v[37:38], v38
	s_waitcnt vmcnt(0)
	v_subrev_u32_e32 v31, s16, v31
	v_lshlrev_b32_e32 v41, 2, v31
	v_ashrrev_i32_e32 v42, 31, v41
	v_lshlrev_b64 v[41:42], 4, v[41:42]
	v_add_co_u32_e32 v47, vcc, s6, v41
	v_addc_co_u32_e32 v48, vcc, v36, v42, vcc
	global_load_dwordx4 v[41:44], v[47:48], off
	s_waitcnt vmcnt(0)
	v_fma_f64 v[19:20], v[45:46], v[41:42], v[19:20]
	v_fma_f64 v[17:18], v[37:38], v[41:42], v[17:18]
	v_fma_f64 v[37:38], -v[37:38], v[43:44], v[19:20]
	v_fma_f64 v[45:46], v[45:46], v[43:44], v[17:18]
	global_load_dwordx4 v[17:20], v[32:33], off offset:32
	s_waitcnt vmcnt(0)
	v_cvt_f64_f32_e32 v[52:53], v17
	v_cvt_f64_f32_e32 v[17:18], v18
	v_fma_f64 v[15:16], v[52:53], v[41:42], v[15:16]
	v_fma_f64 v[11:12], v[17:18], v[41:42], v[11:12]
	v_fma_f64 v[54:55], -v[17:18], v[43:44], v[15:16]
	global_load_dwordx4 v[15:18], v[32:33], off offset:64
	v_fma_f64 v[52:53], v[52:53], v[43:44], v[11:12]
	s_waitcnt vmcnt(0)
	v_cvt_f64_f32_e32 v[11:12], v15
	v_cvt_f64_f32_e32 v[15:16], v16
	v_fma_f64 v[13:14], v[11:12], v[41:42], v[13:14]
	v_fma_f64 v[9:10], v[15:16], v[41:42], v[9:10]
	v_fma_f64 v[13:14], -v[15:16], v[43:44], v[13:14]
	v_fma_f64 v[15:16], v[11:12], v[43:44], v[9:10]
	global_load_dwordx4 v[9:12], v[32:33], off offset:96
	s_waitcnt vmcnt(0)
	v_cvt_f64_f32_e32 v[56:57], v9
	v_cvt_f64_f32_e32 v[9:10], v10
	;; [unrolled: 1-line block ×4, first 2 shown]
	v_fma_f64 v[34:35], v[56:57], v[41:42], v[34:35]
	v_fma_f64 v[21:22], v[9:10], v[41:42], v[21:22]
	v_cvt_f64_f32_e32 v[41:42], v39
	v_cvt_f64_f32_e32 v[39:40], v40
	v_fma_f64 v[34:35], -v[9:10], v[43:44], v[34:35]
	global_load_dwordx4 v[9:12], v[47:48], off offset:16
	v_fma_f64 v[21:22], v[56:57], v[43:44], v[21:22]
	v_cvt_f64_f32_e32 v[43:44], v19
	v_cvt_f64_f32_e32 v[19:20], v20
	;; [unrolled: 1-line block ×4, first 2 shown]
	s_waitcnt vmcnt(0)
	v_fma_f64 v[37:38], v[41:42], v[9:10], v[37:38]
	v_fma_f64 v[45:46], v[39:40], v[9:10], v[45:46]
	;; [unrolled: 1-line block ×4, first 2 shown]
	v_fma_f64 v[37:38], -v[39:40], v[11:12], v[37:38]
	v_fma_f64 v[39:40], v[41:42], v[11:12], v[45:46]
	v_fma_f64 v[45:46], v[19:20], v[9:10], v[52:53]
	;; [unrolled: 1-line block ×4, first 2 shown]
	v_fma_f64 v[45:46], -v[17:18], v[11:12], v[13:14]
	v_fma_f64 v[13:14], v[58:59], v[9:10], v[34:35]
	v_fma_f64 v[9:10], v[60:61], v[9:10], v[21:22]
	;; [unrolled: 1-line block ×3, first 2 shown]
	v_fma_f64 v[41:42], -v[19:20], v[11:12], v[41:42]
	v_fma_f64 v[34:35], -v[60:61], v[11:12], v[13:14]
	global_load_dwordx4 v[13:16], v[32:33], off offset:16
	v_fma_f64 v[52:53], v[58:59], v[11:12], v[9:10]
	global_load_dwordx4 v[9:12], v[47:48], off offset:32
	s_waitcnt vmcnt(1)
	v_cvt_f64_f32_e32 v[17:18], v13
	v_cvt_f64_f32_e32 v[13:14], v14
	s_waitcnt vmcnt(0)
	v_fma_f64 v[19:20], v[17:18], v[9:10], v[37:38]
	v_fma_f64 v[37:38], v[13:14], v[9:10], v[39:40]
	v_fma_f64 v[13:14], -v[13:14], v[11:12], v[19:20]
	v_fma_f64 v[54:55], v[17:18], v[11:12], v[37:38]
	global_load_dwordx4 v[17:20], v[32:33], off offset:48
	s_waitcnt vmcnt(0)
	v_cvt_f64_f32_e32 v[37:38], v17
	v_cvt_f64_f32_e32 v[17:18], v18
	v_fma_f64 v[39:40], v[37:38], v[9:10], v[41:42]
	v_fma_f64 v[41:42], v[17:18], v[9:10], v[43:44]
	v_fma_f64 v[56:57], -v[17:18], v[11:12], v[39:40]
	v_fma_f64 v[58:59], v[37:38], v[11:12], v[41:42]
	global_load_dwordx4 v[37:40], v[32:33], off offset:80
	s_waitcnt vmcnt(0)
	v_cvt_f64_f32_e32 v[17:18], v37
	v_cvt_f64_f32_e32 v[37:38], v38
	;; [unrolled: 1-line block ×4, first 2 shown]
	v_fma_f64 v[41:42], v[17:18], v[9:10], v[45:46]
	v_fma_f64 v[21:22], v[37:38], v[9:10], v[21:22]
	v_fma_f64 v[45:46], -v[37:38], v[11:12], v[41:42]
	global_load_dwordx4 v[41:44], v[32:33], off offset:112
	v_fma_f64 v[21:22], v[17:18], v[11:12], v[21:22]
	v_add_co_u32_e32 v32, vcc, 0x400, v32
	v_addc_co_u32_e32 v33, vcc, 0, v33, vcc
	s_waitcnt vmcnt(0)
	v_cvt_f64_f32_e32 v[17:18], v41
	v_cvt_f64_f32_e32 v[37:38], v42
	v_cvt_f64_f32_e32 v[41:42], v19
	v_cvt_f64_f32_e32 v[64:65], v43
	v_fma_f64 v[34:35], v[17:18], v[9:10], v[34:35]
	v_fma_f64 v[9:10], v[37:38], v[9:10], v[52:53]
	v_cvt_f64_f32_e32 v[52:53], v20
	v_cvt_f64_f32_e32 v[43:44], v44
	v_fma_f64 v[34:35], -v[37:38], v[11:12], v[34:35]
	global_load_dwordx4 v[37:40], v[47:48], off offset:48
	v_fma_f64 v[9:10], v[17:18], v[11:12], v[9:10]
	v_cvt_f64_f32_e32 v[11:12], v15
	v_cvt_f64_f32_e32 v[15:16], v16
	s_waitcnt vmcnt(0)
	v_fma_f64 v[13:14], v[11:12], v[37:38], v[13:14]
	v_fma_f64 v[17:18], v[15:16], v[37:38], v[54:55]
	v_fma_f64 v[21:22], v[62:63], v[37:38], v[21:22]
	v_fma_f64 v[34:35], v[64:65], v[37:38], v[34:35]
	v_fma_f64 v[19:20], -v[15:16], v[39:40], v[13:14]
	v_fma_f64 v[17:18], v[11:12], v[39:40], v[17:18]
	v_fma_f64 v[11:12], v[41:42], v[37:38], v[56:57]
	;; [unrolled: 1-line block ×3, first 2 shown]
	v_fma_f64 v[34:35], -v[43:44], v[39:40], v[34:35]
	v_fma_f64 v[15:16], -v[52:53], v[39:40], v[11:12]
	v_fma_f64 v[11:12], v[41:42], v[39:40], v[13:14]
	v_fma_f64 v[13:14], v[60:61], v[37:38], v[45:46]
	v_fma_f64 v[37:38], v[43:44], v[37:38], v[9:10]
	v_fma_f64 v[9:10], v[60:61], v[39:40], v[21:22]
	v_fma_f64 v[13:14], -v[62:63], v[39:40], v[13:14]
	v_fma_f64 v[21:22], v[64:65], v[39:40], v[37:38]
	s_andn2_b64 exec, exec, s[14:15]
	s_cbranch_execnz .LBB166_15
; %bb.16:
	s_or_b64 exec, exec, s[14:15]
.LBB166_17:
	s_or_b64 exec, exec, s[10:11]
	v_cmp_lt_u32_e32 vcc, 23, v23
	s_and_saveexec_b64 s[2:3], vcc
	s_cbranch_execz .LBB166_21
; %bb.18:
	s_mov_b64 s[10:11], 0
	v_mov_b32_e32 v27, s13
	v_mov_b32_e32 v52, s7
.LBB166_19:                             ; =>This Inner Loop Header: Depth=1
	v_ashrrev_i32_e32 v31, 31, v30
	v_lshlrev_b64 v[23:24], 2, v[30:31]
	v_add_u32_e32 v30, 32, v30
	v_add_co_u32_e32 v23, vcc, s12, v23
	v_addc_co_u32_e32 v24, vcc, v27, v24, vcc
	global_load_dword v31, v[23:24], off
	global_load_dwordx4 v[36:39], v[32:33], off offset:48
	global_load_dwordx4 v[40:43], v[32:33], off offset:32
	;; [unrolled: 1-line block ×3, first 2 shown]
	global_load_dwordx4 v[53:56], v[32:33], off
	s_waitcnt vmcnt(4)
	v_subrev_u32_e32 v31, s16, v31
	v_lshlrev_b32_e32 v48, 2, v31
	v_ashrrev_i32_e32 v49, 31, v48
	v_lshlrev_b64 v[48:49], 4, v[48:49]
	s_waitcnt vmcnt(0)
	v_cvt_f64_f32_e32 v[73:74], v53
	v_add_co_u32_e32 v48, vcc, s6, v48
	v_addc_co_u32_e32 v49, vcc, v52, v49, vcc
	global_load_dwordx4 v[57:60], v[48:49], off offset:48
	global_load_dwordx4 v[61:64], v[48:49], off offset:32
	global_load_dwordx4 v[65:68], v[48:49], off offset:16
	global_load_dwordx4 v[69:72], v[48:49], off
	v_cvt_f64_f32_e32 v[53:54], v54
	v_cvt_f64_f32_e32 v[48:49], v55
	s_waitcnt vmcnt(0)
	v_fma_f64 v[19:20], v[73:74], v[69:70], v[19:20]
	v_fma_f64 v[17:18], v[53:54], v[69:70], v[17:18]
	v_fma_f64 v[19:20], -v[53:54], v[71:72], v[19:20]
	v_fma_f64 v[17:18], v[73:74], v[71:72], v[17:18]
	v_cvt_f64_f32_e32 v[53:54], v56
	v_fma_f64 v[19:20], v[48:49], v[65:66], v[19:20]
	v_fma_f64 v[17:18], v[53:54], v[65:66], v[17:18]
	v_fma_f64 v[19:20], -v[53:54], v[67:68], v[19:20]
	v_fma_f64 v[17:18], v[48:49], v[67:68], v[17:18]
	v_cvt_f64_f32_e32 v[48:49], v44
	v_cvt_f64_f32_e32 v[44:45], v45
	v_fma_f64 v[19:20], v[48:49], v[61:62], v[19:20]
	v_fma_f64 v[17:18], v[44:45], v[61:62], v[17:18]
	v_fma_f64 v[19:20], -v[44:45], v[63:64], v[19:20]
	v_fma_f64 v[17:18], v[48:49], v[63:64], v[17:18]
	v_cvt_f64_f32_e32 v[44:45], v46
	;; [unrolled: 6-line block ×6, first 2 shown]
	v_cvt_f64_f32_e32 v[19:20], v39
	v_fma_f64 v[15:16], v[17:18], v[57:58], v[15:16]
	v_fma_f64 v[11:12], v[19:20], v[57:58], v[11:12]
	v_fma_f64 v[77:78], -v[19:20], v[59:60], v[15:16]
	v_fma_f64 v[79:80], v[17:18], v[59:60], v[11:12]
	global_load_dwordx4 v[15:18], v[32:33], off offset:112
	global_load_dwordx4 v[36:39], v[32:33], off offset:96
	;; [unrolled: 1-line block ×4, first 2 shown]
	s_waitcnt vmcnt(0)
	v_cvt_f64_f32_e32 v[19:20], v45
	v_cvt_f64_f32_e32 v[11:12], v44
	v_fma_f64 v[9:10], v[19:20], v[69:70], v[9:10]
	v_fma_f64 v[13:14], v[11:12], v[69:70], v[13:14]
	v_fma_f64 v[9:10], v[11:12], v[71:72], v[9:10]
	v_fma_f64 v[13:14], -v[19:20], v[71:72], v[13:14]
	v_cvt_f64_f32_e32 v[19:20], v47
	v_cvt_f64_f32_e32 v[11:12], v46
	v_fma_f64 v[9:10], v[19:20], v[65:66], v[9:10]
	v_fma_f64 v[13:14], v[11:12], v[65:66], v[13:14]
	v_fma_f64 v[9:10], v[11:12], v[67:68], v[9:10]
	v_fma_f64 v[13:14], -v[19:20], v[67:68], v[13:14]
	;; [unrolled: 6-line block ×3, first 2 shown]
	v_cvt_f64_f32_e32 v[19:20], v43
	v_cvt_f64_f32_e32 v[11:12], v42
	v_fma_f64 v[9:10], v[19:20], v[57:58], v[9:10]
	v_fma_f64 v[13:14], v[11:12], v[57:58], v[13:14]
	;; [unrolled: 1-line block ×3, first 2 shown]
	v_cvt_f64_f32_e32 v[9:10], v36
	v_fma_f64 v[81:82], -v[19:20], v[59:60], v[13:14]
	v_cvt_f64_f32_e32 v[11:12], v37
	v_cvt_f64_f32_e32 v[19:20], v39
	v_fma_f64 v[13:14], v[9:10], v[69:70], v[34:35]
	v_fma_f64 v[13:14], -v[11:12], v[71:72], v[13:14]
	v_fma_f64 v[11:12], v[11:12], v[69:70], v[21:22]
	v_fma_f64 v[9:10], v[9:10], v[71:72], v[11:12]
	v_cvt_f64_f32_e32 v[11:12], v38
	v_fma_f64 v[13:14], v[11:12], v[65:66], v[13:14]
	v_fma_f64 v[9:10], v[19:20], v[65:66], v[9:10]
	v_fma_f64 v[13:14], -v[19:20], v[67:68], v[13:14]
	v_fma_f64 v[9:10], v[11:12], v[67:68], v[9:10]
	v_cvt_f64_f32_e32 v[11:12], v15
	v_cvt_f64_f32_e32 v[15:16], v16
	v_fma_f64 v[13:14], v[11:12], v[61:62], v[13:14]
	v_fma_f64 v[9:10], v[15:16], v[61:62], v[9:10]
	v_fma_f64 v[13:14], -v[15:16], v[63:64], v[13:14]
	v_cvt_f64_f32_e32 v[15:16], v18
	v_fma_f64 v[9:10], v[11:12], v[63:64], v[9:10]
	v_cvt_f64_f32_e32 v[11:12], v17
	v_fma_f64 v[13:14], v[11:12], v[57:58], v[13:14]
	v_fma_f64 v[9:10], v[15:16], v[57:58], v[9:10]
	v_fma_f64 v[21:22], -v[15:16], v[59:60], v[13:14]
	v_fma_f64 v[57:58], v[11:12], v[59:60], v[9:10]
	global_load_dword v9, v[23:24], off offset:32
	s_waitcnt vmcnt(0)
	v_subrev_u32_e32 v9, s16, v9
	v_lshlrev_b32_e32 v38, 2, v9
	v_ashrrev_i32_e32 v39, 31, v38
	global_load_dwordx4 v[9:12], v[32:33], off offset:1072
	global_load_dwordx4 v[13:16], v[32:33], off offset:1056
	global_load_dwordx4 v[17:20], v[32:33], off offset:1040
	global_load_dwordx4 v[34:37], v[32:33], off offset:1024
	v_lshlrev_b64 v[38:39], 4, v[38:39]
	v_add_co_u32_e32 v61, vcc, s6, v38
	v_addc_co_u32_e32 v62, vcc, v52, v39, vcc
	global_load_dwordx4 v[38:41], v[61:62], off offset:48
	global_load_dwordx4 v[42:45], v[61:62], off offset:32
	;; [unrolled: 1-line block ×3, first 2 shown]
	global_load_dwordx4 v[53:56], v[61:62], off
	s_waitcnt vmcnt(4)
	v_cvt_f64_f32_e32 v[59:60], v34
	v_cvt_f64_f32_e32 v[34:35], v35
	s_waitcnt vmcnt(0)
	v_fma_f64 v[61:62], v[59:60], v[53:54], v[73:74]
	v_fma_f64 v[61:62], -v[34:35], v[55:56], v[61:62]
	v_fma_f64 v[34:35], v[34:35], v[53:54], v[75:76]
	v_fma_f64 v[34:35], v[59:60], v[55:56], v[34:35]
	v_cvt_f64_f32_e32 v[59:60], v36
	v_cvt_f64_f32_e32 v[36:37], v37
	v_fma_f64 v[61:62], v[59:60], v[46:47], v[61:62]
	v_fma_f64 v[34:35], v[36:37], v[46:47], v[34:35]
	v_fma_f64 v[61:62], -v[36:37], v[48:49], v[61:62]
	v_cvt_f64_f32_e32 v[36:37], v17
	v_cvt_f64_f32_e32 v[17:18], v18
	v_fma_f64 v[34:35], v[59:60], v[48:49], v[34:35]
	v_fma_f64 v[59:60], v[36:37], v[42:43], v[61:62]
	v_fma_f64 v[59:60], -v[17:18], v[44:45], v[59:60]
	v_fma_f64 v[17:18], v[17:18], v[42:43], v[34:35]
	v_cvt_f64_f32_e32 v[34:35], v19
	v_cvt_f64_f32_e32 v[19:20], v20
	v_fma_f64 v[17:18], v[36:37], v[44:45], v[17:18]
	v_fma_f64 v[36:37], v[34:35], v[38:39], v[59:60]
	v_fma_f64 v[17:18], v[19:20], v[38:39], v[17:18]
	v_fma_f64 v[69:70], -v[19:20], v[40:41], v[36:37]
	v_fma_f64 v[71:72], v[34:35], v[40:41], v[17:18]
	v_cvt_f64_f32_e32 v[17:18], v13
	v_cvt_f64_f32_e32 v[13:14], v14
	v_fma_f64 v[19:20], v[17:18], v[53:54], v[77:78]
	v_fma_f64 v[19:20], -v[13:14], v[55:56], v[19:20]
	v_fma_f64 v[13:14], v[13:14], v[53:54], v[79:80]
	v_fma_f64 v[13:14], v[17:18], v[55:56], v[13:14]
	v_cvt_f64_f32_e32 v[17:18], v15
	v_cvt_f64_f32_e32 v[15:16], v16
	v_fma_f64 v[19:20], v[17:18], v[46:47], v[19:20]
	v_fma_f64 v[13:14], v[15:16], v[46:47], v[13:14]
	v_fma_f64 v[19:20], -v[15:16], v[48:49], v[19:20]
	v_cvt_f64_f32_e32 v[15:16], v9
	v_cvt_f64_f32_e32 v[9:10], v10
	v_fma_f64 v[13:14], v[17:18], v[48:49], v[13:14]
	v_fma_f64 v[17:18], v[15:16], v[42:43], v[19:20]
	v_fma_f64 v[17:18], -v[9:10], v[44:45], v[17:18]
	v_fma_f64 v[9:10], v[9:10], v[42:43], v[13:14]
	v_cvt_f64_f32_e32 v[13:14], v11
	v_cvt_f64_f32_e32 v[11:12], v12
	v_fma_f64 v[9:10], v[15:16], v[44:45], v[9:10]
	v_fma_f64 v[15:16], v[13:14], v[38:39], v[17:18]
	;; [unrolled: 1-line block ×3, first 2 shown]
	v_fma_f64 v[73:74], -v[11:12], v[40:41], v[15:16]
	v_fma_f64 v[75:76], v[13:14], v[40:41], v[9:10]
	global_load_dwordx4 v[9:12], v[32:33], off offset:1136
	global_load_dwordx4 v[13:16], v[32:33], off offset:1120
	;; [unrolled: 1-line block ×4, first 2 shown]
	s_waitcnt vmcnt(0)
	v_cvt_f64_f32_e32 v[59:60], v34
	v_cvt_f64_f32_e32 v[34:35], v35
	v_fma_f64 v[61:62], v[59:60], v[53:54], v[81:82]
	v_fma_f64 v[61:62], -v[34:35], v[55:56], v[61:62]
	v_fma_f64 v[34:35], v[34:35], v[53:54], v[83:84]
	v_fma_f64 v[34:35], v[59:60], v[55:56], v[34:35]
	v_cvt_f64_f32_e32 v[59:60], v36
	v_cvt_f64_f32_e32 v[36:37], v37
	v_fma_f64 v[61:62], v[59:60], v[46:47], v[61:62]
	v_fma_f64 v[34:35], v[36:37], v[46:47], v[34:35]
	v_fma_f64 v[61:62], -v[36:37], v[48:49], v[61:62]
	v_cvt_f64_f32_e32 v[36:37], v17
	v_cvt_f64_f32_e32 v[17:18], v18
	v_fma_f64 v[34:35], v[59:60], v[48:49], v[34:35]
	v_fma_f64 v[59:60], v[36:37], v[42:43], v[61:62]
	v_fma_f64 v[59:60], -v[17:18], v[44:45], v[59:60]
	v_fma_f64 v[17:18], v[17:18], v[42:43], v[34:35]
	v_cvt_f64_f32_e32 v[34:35], v19
	v_cvt_f64_f32_e32 v[19:20], v20
	v_fma_f64 v[17:18], v[36:37], v[44:45], v[17:18]
	v_fma_f64 v[36:37], v[34:35], v[38:39], v[59:60]
	;; [unrolled: 1-line block ×3, first 2 shown]
	v_fma_f64 v[77:78], -v[19:20], v[40:41], v[36:37]
	v_fma_f64 v[79:80], v[34:35], v[40:41], v[17:18]
	v_cvt_f64_f32_e32 v[17:18], v13
	v_cvt_f64_f32_e32 v[13:14], v14
	v_fma_f64 v[19:20], v[17:18], v[53:54], v[21:22]
	v_fma_f64 v[19:20], -v[13:14], v[55:56], v[19:20]
	v_fma_f64 v[13:14], v[13:14], v[53:54], v[57:58]
	v_fma_f64 v[13:14], v[17:18], v[55:56], v[13:14]
	v_cvt_f64_f32_e32 v[17:18], v15
	v_cvt_f64_f32_e32 v[15:16], v16
	v_fma_f64 v[19:20], v[17:18], v[46:47], v[19:20]
	v_fma_f64 v[13:14], v[15:16], v[46:47], v[13:14]
	v_fma_f64 v[19:20], -v[15:16], v[48:49], v[19:20]
	v_cvt_f64_f32_e32 v[15:16], v9
	v_cvt_f64_f32_e32 v[9:10], v10
	v_fma_f64 v[13:14], v[17:18], v[48:49], v[13:14]
	v_fma_f64 v[17:18], v[15:16], v[42:43], v[19:20]
	v_fma_f64 v[17:18], -v[9:10], v[44:45], v[17:18]
	v_fma_f64 v[9:10], v[9:10], v[42:43], v[13:14]
	v_cvt_f64_f32_e32 v[13:14], v11
	v_cvt_f64_f32_e32 v[11:12], v12
	v_fma_f64 v[9:10], v[15:16], v[44:45], v[9:10]
	v_fma_f64 v[15:16], v[13:14], v[38:39], v[17:18]
	;; [unrolled: 1-line block ×3, first 2 shown]
	v_fma_f64 v[21:22], -v[11:12], v[40:41], v[15:16]
	v_fma_f64 v[81:82], v[13:14], v[40:41], v[9:10]
	global_load_dword v9, v[23:24], off offset:64
	s_waitcnt vmcnt(0)
	v_subrev_u32_e32 v9, s16, v9
	v_lshlrev_b32_e32 v38, 2, v9
	v_ashrrev_i32_e32 v39, 31, v38
	global_load_dwordx4 v[9:12], v[32:33], off offset:2096
	global_load_dwordx4 v[13:16], v[32:33], off offset:2080
	;; [unrolled: 1-line block ×4, first 2 shown]
	v_lshlrev_b64 v[38:39], 4, v[38:39]
	v_add_co_u32_e32 v38, vcc, s6, v38
	v_addc_co_u32_e32 v39, vcc, v52, v39, vcc
	global_load_dwordx4 v[53:56], v[38:39], off offset:48
	global_load_dwordx4 v[57:60], v[38:39], off offset:32
	;; [unrolled: 1-line block ×3, first 2 shown]
	global_load_dwordx4 v[65:68], v[38:39], off
	s_waitcnt vmcnt(4)
	v_cvt_f64_f32_e32 v[40:41], v34
	v_cvt_f64_f32_e32 v[34:35], v35
	s_waitcnt vmcnt(0)
	v_fma_f64 v[38:39], v[40:41], v[65:66], v[69:70]
	v_fma_f64 v[38:39], -v[34:35], v[67:68], v[38:39]
	v_fma_f64 v[34:35], v[34:35], v[65:66], v[71:72]
	v_fma_f64 v[34:35], v[40:41], v[67:68], v[34:35]
	v_cvt_f64_f32_e32 v[40:41], v36
	v_cvt_f64_f32_e32 v[36:37], v37
	v_fma_f64 v[38:39], v[40:41], v[61:62], v[38:39]
	v_fma_f64 v[34:35], v[36:37], v[61:62], v[34:35]
	v_fma_f64 v[38:39], -v[36:37], v[63:64], v[38:39]
	v_cvt_f64_f32_e32 v[36:37], v17
	v_cvt_f64_f32_e32 v[17:18], v18
	v_fma_f64 v[34:35], v[40:41], v[63:64], v[34:35]
	v_fma_f64 v[38:39], v[36:37], v[57:58], v[38:39]
	v_fma_f64 v[38:39], -v[17:18], v[59:60], v[38:39]
	v_fma_f64 v[17:18], v[17:18], v[57:58], v[34:35]
	v_cvt_f64_f32_e32 v[34:35], v19
	v_cvt_f64_f32_e32 v[19:20], v20
	v_fma_f64 v[17:18], v[36:37], v[59:60], v[17:18]
	v_fma_f64 v[36:37], v[34:35], v[53:54], v[38:39]
	;; [unrolled: 1-line block ×3, first 2 shown]
	v_fma_f64 v[46:47], -v[19:20], v[55:56], v[36:37]
	v_fma_f64 v[48:49], v[34:35], v[55:56], v[17:18]
	v_cvt_f64_f32_e32 v[17:18], v13
	v_cvt_f64_f32_e32 v[13:14], v14
	v_fma_f64 v[19:20], v[17:18], v[65:66], v[73:74]
	v_fma_f64 v[19:20], -v[13:14], v[67:68], v[19:20]
	v_fma_f64 v[13:14], v[13:14], v[65:66], v[75:76]
	v_fma_f64 v[13:14], v[17:18], v[67:68], v[13:14]
	v_cvt_f64_f32_e32 v[17:18], v15
	v_cvt_f64_f32_e32 v[15:16], v16
	v_fma_f64 v[19:20], v[17:18], v[61:62], v[19:20]
	v_fma_f64 v[13:14], v[15:16], v[61:62], v[13:14]
	v_fma_f64 v[19:20], -v[15:16], v[63:64], v[19:20]
	v_cvt_f64_f32_e32 v[15:16], v9
	v_cvt_f64_f32_e32 v[9:10], v10
	v_fma_f64 v[13:14], v[17:18], v[63:64], v[13:14]
	v_fma_f64 v[17:18], v[15:16], v[57:58], v[19:20]
	v_fma_f64 v[17:18], -v[9:10], v[59:60], v[17:18]
	v_fma_f64 v[9:10], v[9:10], v[57:58], v[13:14]
	v_cvt_f64_f32_e32 v[13:14], v11
	v_cvt_f64_f32_e32 v[11:12], v12
	v_fma_f64 v[9:10], v[15:16], v[59:60], v[9:10]
	v_fma_f64 v[15:16], v[13:14], v[53:54], v[17:18]
	;; [unrolled: 1-line block ×3, first 2 shown]
	v_fma_f64 v[42:43], -v[11:12], v[55:56], v[15:16]
	v_fma_f64 v[44:45], v[13:14], v[55:56], v[9:10]
	global_load_dwordx4 v[9:12], v[32:33], off offset:2160
	global_load_dwordx4 v[13:16], v[32:33], off offset:2144
	;; [unrolled: 1-line block ×4, first 2 shown]
	s_waitcnt vmcnt(0)
	v_cvt_f64_f32_e32 v[38:39], v34
	v_cvt_f64_f32_e32 v[34:35], v35
	v_fma_f64 v[40:41], v[38:39], v[65:66], v[77:78]
	v_fma_f64 v[40:41], -v[34:35], v[67:68], v[40:41]
	v_fma_f64 v[34:35], v[34:35], v[65:66], v[79:80]
	v_fma_f64 v[34:35], v[38:39], v[67:68], v[34:35]
	v_cvt_f64_f32_e32 v[38:39], v36
	v_cvt_f64_f32_e32 v[36:37], v37
	v_fma_f64 v[40:41], v[38:39], v[61:62], v[40:41]
	v_fma_f64 v[34:35], v[36:37], v[61:62], v[34:35]
	v_fma_f64 v[40:41], -v[36:37], v[63:64], v[40:41]
	v_cvt_f64_f32_e32 v[36:37], v17
	v_cvt_f64_f32_e32 v[17:18], v18
	v_fma_f64 v[34:35], v[38:39], v[63:64], v[34:35]
	v_fma_f64 v[38:39], v[36:37], v[57:58], v[40:41]
	v_fma_f64 v[38:39], -v[17:18], v[59:60], v[38:39]
	v_fma_f64 v[17:18], v[17:18], v[57:58], v[34:35]
	v_cvt_f64_f32_e32 v[34:35], v19
	v_cvt_f64_f32_e32 v[19:20], v20
	v_fma_f64 v[17:18], v[36:37], v[59:60], v[17:18]
	v_fma_f64 v[36:37], v[34:35], v[53:54], v[38:39]
	;; [unrolled: 1-line block ×3, first 2 shown]
	v_fma_f64 v[38:39], -v[19:20], v[55:56], v[36:37]
	v_fma_f64 v[40:41], v[34:35], v[55:56], v[17:18]
	v_cvt_f64_f32_e32 v[17:18], v13
	v_cvt_f64_f32_e32 v[13:14], v14
	v_fma_f64 v[19:20], v[17:18], v[65:66], v[21:22]
	v_fma_f64 v[19:20], -v[13:14], v[67:68], v[19:20]
	v_fma_f64 v[13:14], v[13:14], v[65:66], v[81:82]
	v_fma_f64 v[13:14], v[17:18], v[67:68], v[13:14]
	v_cvt_f64_f32_e32 v[17:18], v15
	v_cvt_f64_f32_e32 v[15:16], v16
	v_fma_f64 v[19:20], v[17:18], v[61:62], v[19:20]
	v_fma_f64 v[13:14], v[15:16], v[61:62], v[13:14]
	v_fma_f64 v[19:20], -v[15:16], v[63:64], v[19:20]
	v_cvt_f64_f32_e32 v[15:16], v9
	v_cvt_f64_f32_e32 v[9:10], v10
	v_fma_f64 v[13:14], v[17:18], v[63:64], v[13:14]
	v_fma_f64 v[17:18], v[15:16], v[57:58], v[19:20]
	v_fma_f64 v[17:18], -v[9:10], v[59:60], v[17:18]
	v_fma_f64 v[9:10], v[9:10], v[57:58], v[13:14]
	v_cvt_f64_f32_e32 v[13:14], v11
	v_cvt_f64_f32_e32 v[11:12], v12
	v_fma_f64 v[9:10], v[15:16], v[59:60], v[9:10]
	v_fma_f64 v[15:16], v[13:14], v[53:54], v[17:18]
	;; [unrolled: 1-line block ×3, first 2 shown]
	v_fma_f64 v[34:35], -v[11:12], v[55:56], v[15:16]
	v_fma_f64 v[36:37], v[13:14], v[55:56], v[9:10]
	global_load_dword v9, v[23:24], off offset:96
	s_waitcnt vmcnt(0)
	v_subrev_u32_e32 v9, s16, v9
	v_lshlrev_b32_e32 v21, 2, v9
	v_ashrrev_i32_e32 v22, 31, v21
	global_load_dwordx4 v[9:12], v[32:33], off offset:3120
	global_load_dwordx4 v[13:16], v[32:33], off offset:3104
	;; [unrolled: 1-line block ×4, first 2 shown]
	v_lshlrev_b64 v[21:22], 4, v[21:22]
	v_add_co_u32_e32 v71, vcc, s6, v21
	v_addc_co_u32_e32 v72, vcc, v52, v22, vcc
	global_load_dwordx4 v[21:24], v[71:72], off offset:48
	global_load_dwordx4 v[57:60], v[71:72], off offset:32
	;; [unrolled: 1-line block ×3, first 2 shown]
	global_load_dwordx4 v[65:68], v[71:72], off
	s_waitcnt vmcnt(4)
	v_cvt_f64_f32_e32 v[69:70], v53
	v_cvt_f64_f32_e32 v[53:54], v54
	s_waitcnt vmcnt(0)
	v_fma_f64 v[46:47], v[69:70], v[65:66], v[46:47]
	v_fma_f64 v[48:49], v[53:54], v[65:66], v[48:49]
	v_fma_f64 v[46:47], -v[53:54], v[67:68], v[46:47]
	v_fma_f64 v[48:49], v[69:70], v[67:68], v[48:49]
	v_cvt_f64_f32_e32 v[53:54], v55
	v_cvt_f64_f32_e32 v[55:56], v56
	v_fma_f64 v[46:47], v[53:54], v[61:62], v[46:47]
	v_fma_f64 v[48:49], v[55:56], v[61:62], v[48:49]
	v_fma_f64 v[46:47], -v[55:56], v[63:64], v[46:47]
	v_fma_f64 v[48:49], v[53:54], v[63:64], v[48:49]
	v_cvt_f64_f32_e32 v[53:54], v17
	v_cvt_f64_f32_e32 v[17:18], v18
	v_fma_f64 v[46:47], v[53:54], v[57:58], v[46:47]
	v_fma_f64 v[46:47], -v[17:18], v[59:60], v[46:47]
	v_fma_f64 v[17:18], v[17:18], v[57:58], v[48:49]
	v_cvt_f64_f32_e32 v[48:49], v19
	v_fma_f64 v[17:18], v[53:54], v[59:60], v[17:18]
	v_cvt_f64_f32_e32 v[53:54], v20
	;; [unrolled: 2-line block ×3, first 2 shown]
	v_cvt_f64_f32_e32 v[13:14], v14
	v_fma_f64 v[42:43], v[46:47], v[65:66], v[42:43]
	v_fma_f64 v[17:18], v[53:54], v[21:22], v[17:18]
	v_fma_f64 v[19:20], -v[53:54], v[23:24], v[19:20]
	v_fma_f64 v[42:43], -v[13:14], v[67:68], v[42:43]
	v_fma_f64 v[13:14], v[13:14], v[65:66], v[44:45]
	v_cvt_f64_f32_e32 v[44:45], v15
	v_cvt_f64_f32_e32 v[15:16], v16
	v_fma_f64 v[17:18], v[48:49], v[23:24], v[17:18]
	v_fma_f64 v[42:43], v[44:45], v[61:62], v[42:43]
	;; [unrolled: 1-line block ×3, first 2 shown]
	v_fma_f64 v[42:43], -v[15:16], v[63:64], v[42:43]
	v_fma_f64 v[13:14], v[15:16], v[61:62], v[13:14]
	v_cvt_f64_f32_e32 v[15:16], v9
	v_cvt_f64_f32_e32 v[9:10], v10
	v_fma_f64 v[42:43], v[15:16], v[57:58], v[42:43]
	v_fma_f64 v[13:14], v[44:45], v[63:64], v[13:14]
	v_fma_f64 v[42:43], -v[9:10], v[59:60], v[42:43]
	v_fma_f64 v[9:10], v[9:10], v[57:58], v[13:14]
	v_cvt_f64_f32_e32 v[13:14], v11
	v_cvt_f64_f32_e32 v[11:12], v12
	v_fma_f64 v[9:10], v[15:16], v[59:60], v[9:10]
	v_fma_f64 v[15:16], v[13:14], v[21:22], v[42:43]
	global_load_dwordx4 v[42:45], v[32:33], off offset:3184
	global_load_dwordx4 v[46:49], v[32:33], off offset:3168
	;; [unrolled: 1-line block ×4, first 2 shown]
	v_add_co_u32_e32 v32, vcc, 0x1000, v32
	v_addc_co_u32_e32 v33, vcc, 0, v33, vcc
	v_cmp_ge_i32_e32 vcc, v30, v50
	v_fma_f64 v[9:10], v[11:12], v[21:22], v[9:10]
	v_fma_f64 v[15:16], -v[11:12], v[23:24], v[15:16]
	s_or_b64 s[10:11], vcc, s[10:11]
	v_fma_f64 v[11:12], v[13:14], v[23:24], v[9:10]
	s_waitcnt vmcnt(0)
	v_cvt_f64_f32_e32 v[9:10], v69
	v_cvt_f64_f32_e32 v[13:14], v70
	v_fma_f64 v[38:39], v[9:10], v[65:66], v[38:39]
	v_fma_f64 v[38:39], -v[13:14], v[67:68], v[38:39]
	v_fma_f64 v[13:14], v[13:14], v[65:66], v[40:41]
	v_cvt_f64_f32_e32 v[40:41], v72
	v_fma_f64 v[9:10], v[9:10], v[67:68], v[13:14]
	v_cvt_f64_f32_e32 v[13:14], v71
	v_fma_f64 v[38:39], v[13:14], v[61:62], v[38:39]
	v_fma_f64 v[9:10], v[40:41], v[61:62], v[9:10]
	v_fma_f64 v[38:39], -v[40:41], v[63:64], v[38:39]
	v_cvt_f64_f32_e32 v[40:41], v54
	v_fma_f64 v[9:10], v[13:14], v[63:64], v[9:10]
	v_cvt_f64_f32_e32 v[13:14], v53
	v_cvt_f64_f32_e32 v[53:54], v56
	v_fma_f64 v[38:39], v[13:14], v[57:58], v[38:39]
	v_fma_f64 v[9:10], v[40:41], v[57:58], v[9:10]
	v_fma_f64 v[38:39], -v[40:41], v[59:60], v[38:39]
	v_cvt_f64_f32_e32 v[40:41], v55
	v_fma_f64 v[9:10], v[13:14], v[59:60], v[9:10]
	v_fma_f64 v[13:14], v[40:41], v[21:22], v[38:39]
	v_cvt_f64_f32_e32 v[38:39], v46
	v_fma_f64 v[9:10], v[53:54], v[21:22], v[9:10]
	v_fma_f64 v[34:35], v[38:39], v[65:66], v[34:35]
	v_fma_f64 v[13:14], -v[53:54], v[23:24], v[13:14]
	v_fma_f64 v[9:10], v[40:41], v[23:24], v[9:10]
	v_cvt_f64_f32_e32 v[40:41], v47
	v_fma_f64 v[36:37], v[40:41], v[65:66], v[36:37]
	v_fma_f64 v[34:35], -v[40:41], v[67:68], v[34:35]
	v_cvt_f64_f32_e32 v[40:41], v49
	v_fma_f64 v[36:37], v[38:39], v[67:68], v[36:37]
	v_cvt_f64_f32_e32 v[38:39], v48
	v_fma_f64 v[34:35], v[38:39], v[61:62], v[34:35]
	v_fma_f64 v[36:37], v[40:41], v[61:62], v[36:37]
	v_fma_f64 v[34:35], -v[40:41], v[63:64], v[34:35]
	v_cvt_f64_f32_e32 v[40:41], v43
	v_fma_f64 v[36:37], v[38:39], v[63:64], v[36:37]
	v_cvt_f64_f32_e32 v[38:39], v42
	v_fma_f64 v[34:35], v[38:39], v[57:58], v[34:35]
	;; [unrolled: 6-line block ×3, first 2 shown]
	v_fma_f64 v[21:22], v[40:41], v[21:22], v[36:37]
	v_fma_f64 v[34:35], -v[40:41], v[23:24], v[34:35]
	v_fma_f64 v[21:22], v[38:39], v[23:24], v[21:22]
	s_andn2_b64 exec, exec, s[10:11]
	s_cbranch_execnz .LBB166_19
; %bb.20:
	s_or_b64 exec, exec, s[10:11]
.LBB166_21:
	s_or_b64 exec, exec, s[2:3]
.LBB166_22:
	s_or_b64 exec, exec, s[8:9]
	s_cbranch_execz .LBB166_24
	s_branch .LBB166_35
.LBB166_23:
                                        ; implicit-def: $vgpr17_vgpr18
                                        ; implicit-def: $vgpr19_vgpr20
                                        ; implicit-def: $vgpr11_vgpr12
                                        ; implicit-def: $vgpr15_vgpr16
                                        ; implicit-def: $vgpr9_vgpr10
                                        ; implicit-def: $vgpr13_vgpr14
                                        ; implicit-def: $vgpr21_vgpr22
                                        ; implicit-def: $vgpr34_vgpr35
.LBB166_24:
	v_mov_b32_e32 v17, 0
	v_mov_b32_e32 v19, 0
	;; [unrolled: 1-line block ×16, first 2 shown]
	s_and_saveexec_b64 s[2:3], s[0:1]
	s_cbranch_execz .LBB166_34
; %bb.25:
	v_add_u32_e32 v9, v51, v0
	v_subrev_u32_e32 v9, s16, v9
	v_add_u32_e32 v9, 8, v9
	v_max_i32_e32 v9, v9, v50
	v_not_b32_e32 v10, v51
	v_add3_u32 v9, s16, v9, v10
	v_sub_u32_e32 v23, v9, v0
	v_and_b32_e32 v24, 24, v23
	v_mov_b32_e32 v34, 0
	v_mov_b32_e32 v21, 0
	;; [unrolled: 1-line block ×16, first 2 shown]
	v_cmp_ne_u32_e32 vcc, 24, v24
	s_and_saveexec_b64 s[8:9], vcc
	s_cbranch_execz .LBB166_29
; %bb.26:
	v_lshrrev_b32_e32 v9, 3, v23
	v_add_u32_e32 v9, 1, v9
	v_and_b32_e32 v9, 3, v9
	v_sub_u32_e32 v24, 0, v9
	v_mov_b32_e32 v17, 0
	v_mov_b32_e32 v19, 0
	;; [unrolled: 1-line block ×9, first 2 shown]
	s_mov_b64 s[10:11], 0
	v_mov_b32_e32 v30, s13
	v_mov_b32_e32 v20, 0
	;; [unrolled: 1-line block ×9, first 2 shown]
.LBB166_27:                             ; =>This Inner Loop Header: Depth=1
	global_load_dwordx4 v[36:39], v[28:29], off
	global_load_dwordx4 v[40:43], v[28:29], off offset:16
	global_load_dwordx4 v[44:47], v[28:29], off offset:32
	v_ashrrev_i32_e32 v27, 31, v26
	v_lshlrev_b64 v[32:33], 2, v[26:27]
	v_add_co_u32_e64 v24, s[0:1], 1, v24
	v_add_co_u32_e32 v32, vcc, s12, v32
	v_addc_co_u32_e32 v33, vcc, v30, v33, vcc
	global_load_dword v27, v[32:33], off
	s_or_b64 s[10:11], s[0:1], s[10:11]
	v_add_u32_e32 v26, 8, v26
	s_waitcnt vmcnt(3)
	v_cvt_f64_f32_e32 v[48:49], v36
	v_cvt_f64_f32_e32 v[51:52], v37
	;; [unrolled: 1-line block ×4, first 2 shown]
	global_load_dwordx4 v[36:39], v[28:29], off offset:48
	s_waitcnt vmcnt(3)
	v_cvt_f64_f32_e32 v[57:58], v40
	v_cvt_f64_f32_e32 v[40:41], v41
	;; [unrolled: 1-line block ×4, first 2 shown]
	s_waitcnt vmcnt(2)
	v_cvt_f64_f32_e32 v[61:62], v44
	v_cvt_f64_f32_e32 v[63:64], v46
	s_waitcnt vmcnt(1)
	v_subrev_u32_e32 v27, s16, v27
	v_lshlrev_b32_e32 v32, 2, v27
	v_ashrrev_i32_e32 v33, 31, v32
	v_lshlrev_b64 v[32:33], 4, v[32:33]
	v_cvt_f64_f32_e32 v[44:45], v45
	v_add_co_u32_e32 v32, vcc, s6, v32
	v_addc_co_u32_e32 v33, vcc, v31, v33, vcc
	v_cvt_f64_f32_e32 v[46:47], v47
	s_waitcnt vmcnt(0)
	v_cvt_f64_f32_e32 v[65:66], v36
	v_cvt_f64_f32_e32 v[67:68], v37
	;; [unrolled: 1-line block ×4, first 2 shown]
	global_load_dwordx4 v[36:39], v[32:33], off
	s_waitcnt vmcnt(0)
	v_fma_f64 v[17:18], v[51:52], v[36:37], v[17:18]
	v_fma_f64 v[11:12], v[55:56], v[36:37], v[11:12]
	;; [unrolled: 1-line block ×10, first 2 shown]
	v_fma_f64 v[19:20], -v[51:52], v[38:39], v[19:20]
	v_fma_f64 v[15:16], -v[55:56], v[38:39], v[15:16]
	;; [unrolled: 1-line block ×3, first 2 shown]
	v_fma_f64 v[21:22], v[59:60], v[38:39], v[21:22]
	v_fma_f64 v[13:14], -v[40:41], v[38:39], v[11:12]
	v_fma_f64 v[40:41], v[57:58], v[38:39], v[9:10]
	global_load_dwordx4 v[9:12], v[28:29], off offset:64
	s_waitcnt vmcnt(0)
	v_cvt_f64_f32_e32 v[36:37], v9
	v_cvt_f64_f32_e32 v[38:39], v10
	;; [unrolled: 1-line block ×4, first 2 shown]
	global_load_dwordx4 v[9:12], v[28:29], off offset:80
	s_waitcnt vmcnt(0)
	v_cvt_f64_f32_e32 v[53:54], v9
	v_cvt_f64_f32_e32 v[55:56], v10
	;; [unrolled: 1-line block ×4, first 2 shown]
	global_load_dwordx4 v[9:12], v[32:33], off offset:16
	s_waitcnt vmcnt(0)
	v_fma_f64 v[19:20], v[61:62], v[9:10], v[19:20]
	v_fma_f64 v[15:16], v[63:64], v[9:10], v[15:16]
	;; [unrolled: 1-line block ×5, first 2 shown]
	v_fma_f64 v[19:20], -v[44:45], v[11:12], v[19:20]
	v_fma_f64 v[44:45], v[46:47], v[9:10], v[48:49]
	v_fma_f64 v[46:47], -v[46:47], v[11:12], v[15:16]
	v_fma_f64 v[15:16], v[67:68], v[9:10], v[40:41]
	v_fma_f64 v[9:10], v[71:72], v[9:10], v[21:22]
	;; [unrolled: 1-line block ×3, first 2 shown]
	v_fma_f64 v[40:41], -v[67:68], v[11:12], v[13:14]
	v_fma_f64 v[34:35], -v[71:72], v[11:12], v[34:35]
	v_fma_f64 v[44:45], v[63:64], v[11:12], v[44:45]
	v_fma_f64 v[48:49], v[65:66], v[11:12], v[15:16]
	global_load_dwordx4 v[13:16], v[28:29], off offset:96
	v_fma_f64 v[63:64], v[69:70], v[11:12], v[9:10]
	global_load_dwordx4 v[9:12], v[28:29], off offset:112
	v_add_co_u32_e32 v28, vcc, 0x400, v28
	v_addc_co_u32_e32 v29, vcc, 0, v29, vcc
	s_waitcnt vmcnt(1)
	v_cvt_f64_f32_e32 v[61:62], v13
	v_cvt_f64_f32_e32 v[13:14], v14
	s_waitcnt vmcnt(0)
	v_cvt_f64_f32_e32 v[67:68], v9
	v_cvt_f64_f32_e32 v[69:70], v10
	;; [unrolled: 1-line block ×4, first 2 shown]
	global_load_dwordx4 v[9:12], v[32:33], off offset:32
	v_cvt_f64_f32_e32 v[65:66], v15
	v_cvt_f64_f32_e32 v[15:16], v16
	s_waitcnt vmcnt(0)
	v_fma_f64 v[19:20], v[36:37], v[9:10], v[19:20]
	v_fma_f64 v[17:18], v[38:39], v[9:10], v[17:18]
	;; [unrolled: 1-line block ×3, first 2 shown]
	v_fma_f64 v[38:39], -v[38:39], v[11:12], v[19:20]
	v_fma_f64 v[19:20], v[42:43], v[9:10], v[46:47]
	v_fma_f64 v[17:18], v[36:37], v[11:12], v[17:18]
	v_fma_f64 v[42:43], v[42:43], v[11:12], v[21:22]
	v_fma_f64 v[36:37], -v[51:52], v[11:12], v[19:20]
	v_fma_f64 v[19:20], v[53:54], v[9:10], v[40:41]
	v_fma_f64 v[40:41], v[55:56], v[9:10], v[48:49]
	v_fma_f64 v[44:45], -v[55:56], v[11:12], v[19:20]
	global_load_dwordx4 v[19:22], v[32:33], off offset:48
	v_fma_f64 v[32:33], v[57:58], v[9:10], v[34:35]
	v_fma_f64 v[9:10], v[59:60], v[9:10], v[63:64]
	;; [unrolled: 1-line block ×3, first 2 shown]
	v_fma_f64 v[32:33], -v[59:60], v[11:12], v[32:33]
	v_fma_f64 v[9:10], v[57:58], v[11:12], v[9:10]
	s_waitcnt vmcnt(0)
	v_fma_f64 v[11:12], v[61:62], v[19:20], v[38:39]
	v_fma_f64 v[17:18], v[13:14], v[19:20], v[17:18]
	;; [unrolled: 1-line block ×8, first 2 shown]
	v_fma_f64 v[19:20], -v[13:14], v[21:22], v[11:12]
	v_fma_f64 v[17:18], v[61:62], v[21:22], v[17:18]
	v_fma_f64 v[15:16], -v[15:16], v[21:22], v[36:37]
	v_fma_f64 v[11:12], v[65:66], v[21:22], v[38:39]
	;; [unrolled: 2-line block ×4, first 2 shown]
	s_andn2_b64 exec, exec, s[10:11]
	s_cbranch_execnz .LBB166_27
; %bb.28:
	s_or_b64 exec, exec, s[10:11]
.LBB166_29:
	s_or_b64 exec, exec, s[8:9]
	v_cmp_lt_u32_e32 vcc, 23, v23
	s_and_saveexec_b64 s[0:1], vcc
	s_cbranch_execz .LBB166_33
; %bb.30:
	s_mov_b64 s[8:9], 0
	v_mov_b32_e32 v46, s13
	v_mov_b32_e32 v47, s7
.LBB166_31:                             ; =>This Inner Loop Header: Depth=1
	v_ashrrev_i32_e32 v27, 31, v26
	v_lshlrev_b64 v[23:24], 2, v[26:27]
	v_add_u32_e32 v26, 32, v26
	v_add_co_u32_e32 v23, vcc, s12, v23
	v_addc_co_u32_e32 v24, vcc, v46, v24, vcc
	global_load_dword v27, v[23:24], off
	global_load_dwordx4 v[30:33], v[28:29], off offset:48
	global_load_dwordx4 v[36:39], v[28:29], off offset:32
	global_load_dwordx4 v[40:43], v[28:29], off offset:16
	global_load_dwordx4 v[51:54], v[28:29], off
	s_waitcnt vmcnt(4)
	v_subrev_u32_e32 v27, s16, v27
	v_lshlrev_b32_e32 v44, 2, v27
	v_ashrrev_i32_e32 v45, 31, v44
	v_lshlrev_b64 v[44:45], 4, v[44:45]
	s_waitcnt vmcnt(0)
	v_cvt_f64_f32_e32 v[48:49], v51
	v_add_co_u32_e32 v44, vcc, s6, v44
	v_addc_co_u32_e32 v45, vcc, v47, v45, vcc
	global_load_dwordx4 v[55:58], v[44:45], off offset:48
	global_load_dwordx4 v[59:62], v[44:45], off offset:32
	;; [unrolled: 1-line block ×3, first 2 shown]
	global_load_dwordx4 v[67:70], v[44:45], off
	v_cvt_f64_f32_e32 v[51:52], v52
	v_cvt_f64_f32_e32 v[44:45], v53
	s_waitcnt vmcnt(0)
	v_fma_f64 v[17:18], v[51:52], v[67:68], v[17:18]
	v_fma_f64 v[19:20], v[48:49], v[67:68], v[19:20]
	;; [unrolled: 1-line block ×4, first 2 shown]
	v_cvt_f64_f32_e32 v[48:49], v54
	v_fma_f64 v[19:20], -v[51:52], v[69:70], v[19:20]
	v_fma_f64 v[11:12], v[48:49], v[67:68], v[11:12]
	v_fma_f64 v[15:16], -v[48:49], v[69:70], v[15:16]
	v_fma_f64 v[11:12], v[44:45], v[69:70], v[11:12]
	v_cvt_f64_f32_e32 v[44:45], v40
	v_cvt_f64_f32_e32 v[40:41], v41
	v_fma_f64 v[13:14], v[44:45], v[67:68], v[13:14]
	v_fma_f64 v[9:10], v[40:41], v[67:68], v[9:10]
	v_fma_f64 v[13:14], -v[40:41], v[69:70], v[13:14]
	v_cvt_f64_f32_e32 v[40:41], v42
	v_cvt_f64_f32_e32 v[42:43], v43
	v_fma_f64 v[9:10], v[44:45], v[69:70], v[9:10]
	v_fma_f64 v[34:35], v[40:41], v[67:68], v[34:35]
	;; [unrolled: 1-line block ×3, first 2 shown]
	v_fma_f64 v[34:35], -v[42:43], v[69:70], v[34:35]
	v_fma_f64 v[21:22], v[40:41], v[69:70], v[21:22]
	v_cvt_f64_f32_e32 v[40:41], v36
	v_cvt_f64_f32_e32 v[36:37], v37
	v_fma_f64 v[19:20], v[40:41], v[63:64], v[19:20]
	v_fma_f64 v[17:18], v[36:37], v[63:64], v[17:18]
	v_fma_f64 v[42:43], -v[36:37], v[65:66], v[19:20]
	v_fma_f64 v[36:37], v[40:41], v[65:66], v[17:18]
	v_cvt_f64_f32_e32 v[17:18], v38
	v_cvt_f64_f32_e32 v[19:20], v39
	v_fma_f64 v[15:16], v[17:18], v[63:64], v[15:16]
	v_fma_f64 v[11:12], v[19:20], v[63:64], v[11:12]
	v_fma_f64 v[38:39], -v[19:20], v[65:66], v[15:16]
	v_cvt_f64_f32_e32 v[15:16], v31
	v_fma_f64 v[40:41], v[17:18], v[65:66], v[11:12]
	v_cvt_f64_f32_e32 v[11:12], v30
	v_fma_f64 v[9:10], v[15:16], v[63:64], v[9:10]
	v_fma_f64 v[13:14], v[11:12], v[63:64], v[13:14]
	;; [unrolled: 1-line block ×3, first 2 shown]
	v_cvt_f64_f32_e32 v[9:10], v32
	v_fma_f64 v[44:45], -v[15:16], v[65:66], v[13:14]
	v_cvt_f64_f32_e32 v[11:12], v33
	v_fma_f64 v[13:14], v[9:10], v[63:64], v[34:35]
	v_fma_f64 v[34:35], -v[11:12], v[65:66], v[13:14]
	v_fma_f64 v[11:12], v[11:12], v[63:64], v[21:22]
	v_fma_f64 v[21:22], v[9:10], v[65:66], v[11:12]
	global_load_dwordx4 v[9:12], v[28:29], off offset:112
	global_load_dwordx4 v[13:16], v[28:29], off offset:96
	;; [unrolled: 1-line block ×4, first 2 shown]
	s_waitcnt vmcnt(0)
	v_cvt_f64_f32_e32 v[51:52], v30
	v_cvt_f64_f32_e32 v[30:31], v31
	v_fma_f64 v[42:43], v[51:52], v[59:60], v[42:43]
	v_fma_f64 v[42:43], -v[30:31], v[61:62], v[42:43]
	v_fma_f64 v[30:31], v[30:31], v[59:60], v[36:37]
	v_cvt_f64_f32_e32 v[36:37], v32
	v_cvt_f64_f32_e32 v[32:33], v33
	v_fma_f64 v[38:39], v[36:37], v[59:60], v[38:39]
	v_fma_f64 v[30:31], v[51:52], v[61:62], v[30:31]
	v_fma_f64 v[38:39], -v[32:33], v[61:62], v[38:39]
	v_fma_f64 v[32:33], v[32:33], v[59:60], v[40:41]
	v_fma_f64 v[32:33], v[36:37], v[61:62], v[32:33]
	v_cvt_f64_f32_e32 v[36:37], v17
	v_cvt_f64_f32_e32 v[17:18], v18
	v_fma_f64 v[40:41], v[36:37], v[59:60], v[44:45]
	v_fma_f64 v[40:41], -v[17:18], v[61:62], v[40:41]
	v_fma_f64 v[17:18], v[17:18], v[59:60], v[48:49]
	v_fma_f64 v[17:18], v[36:37], v[61:62], v[17:18]
	v_cvt_f64_f32_e32 v[36:37], v19
	v_cvt_f64_f32_e32 v[19:20], v20
	v_fma_f64 v[34:35], v[36:37], v[59:60], v[34:35]
	v_fma_f64 v[34:35], -v[19:20], v[61:62], v[34:35]
	v_fma_f64 v[19:20], v[19:20], v[59:60], v[21:22]
	v_cvt_f64_f32_e32 v[21:22], v13
	v_cvt_f64_f32_e32 v[13:14], v14
	v_fma_f64 v[19:20], v[36:37], v[61:62], v[19:20]
	v_fma_f64 v[36:37], v[21:22], v[55:56], v[42:43]
	v_fma_f64 v[48:49], -v[13:14], v[57:58], v[36:37]
	v_fma_f64 v[13:14], v[13:14], v[55:56], v[30:31]
	v_fma_f64 v[21:22], v[21:22], v[57:58], v[13:14]
	v_cvt_f64_f32_e32 v[13:14], v15
	v_cvt_f64_f32_e32 v[15:16], v16
	v_fma_f64 v[30:31], v[13:14], v[55:56], v[38:39]
	v_fma_f64 v[59:60], -v[15:16], v[57:58], v[30:31]
	v_fma_f64 v[15:16], v[15:16], v[55:56], v[32:33]
	v_fma_f64 v[61:62], v[13:14], v[57:58], v[15:16]
	v_cvt_f64_f32_e32 v[13:14], v9
	v_cvt_f64_f32_e32 v[9:10], v10
	;; [unrolled: 6-line block ×3, first 2 shown]
	v_fma_f64 v[13:14], v[9:10], v[55:56], v[34:35]
	v_fma_f64 v[67:68], -v[11:12], v[57:58], v[13:14]
	v_fma_f64 v[11:12], v[11:12], v[55:56], v[19:20]
	v_fma_f64 v[55:56], v[9:10], v[57:58], v[11:12]
	global_load_dword v9, v[23:24], off offset:32
	s_waitcnt vmcnt(0)
	v_subrev_u32_e32 v9, s16, v9
	v_lshlrev_b32_e32 v34, 2, v9
	v_ashrrev_i32_e32 v35, 31, v34
	global_load_dwordx4 v[9:12], v[28:29], off offset:1072
	global_load_dwordx4 v[13:16], v[28:29], off offset:1056
	global_load_dwordx4 v[17:20], v[28:29], off offset:1040
	global_load_dwordx4 v[30:33], v[28:29], off offset:1024
	v_lshlrev_b64 v[34:35], 4, v[34:35]
	v_add_co_u32_e32 v69, vcc, s6, v34
	v_addc_co_u32_e32 v70, vcc, v47, v35, vcc
	global_load_dwordx4 v[34:37], v[69:70], off offset:48
	global_load_dwordx4 v[38:41], v[69:70], off offset:32
	;; [unrolled: 1-line block ×3, first 2 shown]
	global_load_dwordx4 v[51:54], v[69:70], off
	s_waitcnt vmcnt(4)
	v_cvt_f64_f32_e32 v[57:58], v30
	v_cvt_f64_f32_e32 v[30:31], v31
	s_waitcnt vmcnt(0)
	v_fma_f64 v[48:49], v[57:58], v[51:52], v[48:49]
	v_fma_f64 v[21:22], v[30:31], v[51:52], v[21:22]
	v_fma_f64 v[48:49], -v[30:31], v[53:54], v[48:49]
	v_cvt_f64_f32_e32 v[30:31], v32
	v_fma_f64 v[21:22], v[57:58], v[53:54], v[21:22]
	v_cvt_f64_f32_e32 v[32:33], v33
	v_fma_f64 v[57:58], v[30:31], v[51:52], v[59:60]
	v_fma_f64 v[57:58], -v[32:33], v[53:54], v[57:58]
	v_fma_f64 v[32:33], v[32:33], v[51:52], v[61:62]
	v_fma_f64 v[30:31], v[30:31], v[53:54], v[32:33]
	v_cvt_f64_f32_e32 v[32:33], v17
	v_cvt_f64_f32_e32 v[17:18], v18
	v_fma_f64 v[59:60], v[32:33], v[51:52], v[63:64]
	v_fma_f64 v[59:60], -v[17:18], v[53:54], v[59:60]
	v_fma_f64 v[17:18], v[17:18], v[51:52], v[65:66]
	v_fma_f64 v[17:18], v[32:33], v[53:54], v[17:18]
	v_cvt_f64_f32_e32 v[32:33], v19
	;; [unrolled: 6-line block ×6, first 2 shown]
	v_cvt_f64_f32_e32 v[11:12], v12
	v_fma_f64 v[13:14], v[9:10], v[42:43], v[61:62]
	v_fma_f64 v[59:60], -v[11:12], v[44:45], v[13:14]
	v_fma_f64 v[11:12], v[11:12], v[42:43], v[19:20]
	v_fma_f64 v[42:43], v[9:10], v[44:45], v[11:12]
	global_load_dwordx4 v[9:12], v[28:29], off offset:1136
	global_load_dwordx4 v[13:16], v[28:29], off offset:1120
	;; [unrolled: 1-line block ×4, first 2 shown]
	s_waitcnt vmcnt(0)
	v_cvt_f64_f32_e32 v[44:45], v30
	v_cvt_f64_f32_e32 v[30:31], v31
	v_fma_f64 v[48:49], v[44:45], v[38:39], v[48:49]
	v_fma_f64 v[21:22], v[30:31], v[38:39], v[21:22]
	v_fma_f64 v[48:49], -v[30:31], v[40:41], v[48:49]
	v_cvt_f64_f32_e32 v[30:31], v32
	v_fma_f64 v[21:22], v[44:45], v[40:41], v[21:22]
	v_cvt_f64_f32_e32 v[32:33], v33
	v_fma_f64 v[44:45], v[30:31], v[38:39], v[51:52]
	v_fma_f64 v[44:45], -v[32:33], v[40:41], v[44:45]
	v_fma_f64 v[32:33], v[32:33], v[38:39], v[53:54]
	v_fma_f64 v[30:31], v[30:31], v[40:41], v[32:33]
	v_cvt_f64_f32_e32 v[32:33], v17
	v_cvt_f64_f32_e32 v[17:18], v18
	v_fma_f64 v[51:52], v[32:33], v[38:39], v[55:56]
	v_fma_f64 v[51:52], -v[17:18], v[40:41], v[51:52]
	v_fma_f64 v[17:18], v[17:18], v[38:39], v[57:58]
	v_fma_f64 v[17:18], v[32:33], v[40:41], v[17:18]
	v_cvt_f64_f32_e32 v[32:33], v19
	v_cvt_f64_f32_e32 v[19:20], v20
	v_fma_f64 v[53:54], v[32:33], v[38:39], v[59:60]
	v_fma_f64 v[53:54], -v[19:20], v[40:41], v[53:54]
	v_fma_f64 v[19:20], v[19:20], v[38:39], v[42:43]
	v_fma_f64 v[19:20], v[32:33], v[40:41], v[19:20]
	v_cvt_f64_f32_e32 v[32:33], v13
	v_cvt_f64_f32_e32 v[13:14], v14
	v_fma_f64 v[38:39], v[32:33], v[34:35], v[48:49]
	v_fma_f64 v[48:49], -v[13:14], v[36:37], v[38:39]
	v_fma_f64 v[13:14], v[13:14], v[34:35], v[21:22]
	v_fma_f64 v[21:22], v[32:33], v[36:37], v[13:14]
	v_cvt_f64_f32_e32 v[13:14], v15
	v_cvt_f64_f32_e32 v[15:16], v16
	v_fma_f64 v[32:33], v[13:14], v[34:35], v[44:45]
	v_fma_f64 v[55:56], -v[15:16], v[36:37], v[32:33]
	v_fma_f64 v[15:16], v[15:16], v[34:35], v[30:31]
	v_fma_f64 v[57:58], v[13:14], v[36:37], v[15:16]
	v_cvt_f64_f32_e32 v[13:14], v9
	v_cvt_f64_f32_e32 v[9:10], v10
	v_fma_f64 v[15:16], v[13:14], v[34:35], v[51:52]
	v_fma_f64 v[59:60], -v[9:10], v[36:37], v[15:16]
	v_fma_f64 v[9:10], v[9:10], v[34:35], v[17:18]
	v_fma_f64 v[61:62], v[13:14], v[36:37], v[9:10]
	v_cvt_f64_f32_e32 v[9:10], v11
	v_cvt_f64_f32_e32 v[11:12], v12
	v_fma_f64 v[13:14], v[9:10], v[34:35], v[53:54]
	v_fma_f64 v[63:64], -v[11:12], v[36:37], v[13:14]
	v_fma_f64 v[11:12], v[11:12], v[34:35], v[19:20]
	v_fma_f64 v[65:66], v[9:10], v[36:37], v[11:12]
	global_load_dword v9, v[23:24], off offset:64
	s_waitcnt vmcnt(0)
	v_subrev_u32_e32 v9, s16, v9
	v_lshlrev_b32_e32 v34, 2, v9
	v_ashrrev_i32_e32 v35, 31, v34
	global_load_dwordx4 v[9:12], v[28:29], off offset:2096
	global_load_dwordx4 v[13:16], v[28:29], off offset:2080
	;; [unrolled: 1-line block ×4, first 2 shown]
	v_lshlrev_b64 v[34:35], 4, v[34:35]
	v_add_co_u32_e32 v69, vcc, s6, v34
	v_addc_co_u32_e32 v70, vcc, v47, v35, vcc
	global_load_dwordx4 v[51:54], v[69:70], off offset:48
	global_load_dwordx4 v[34:37], v[69:70], off offset:32
	;; [unrolled: 1-line block ×3, first 2 shown]
	global_load_dwordx4 v[42:45], v[69:70], off
	s_waitcnt vmcnt(4)
	v_cvt_f64_f32_e32 v[67:68], v30
	v_cvt_f64_f32_e32 v[30:31], v31
	s_waitcnt vmcnt(0)
	v_fma_f64 v[48:49], v[67:68], v[42:43], v[48:49]
	v_fma_f64 v[21:22], v[30:31], v[42:43], v[21:22]
	v_fma_f64 v[48:49], -v[30:31], v[44:45], v[48:49]
	v_cvt_f64_f32_e32 v[30:31], v32
	v_cvt_f64_f32_e32 v[32:33], v33
	v_fma_f64 v[21:22], v[67:68], v[44:45], v[21:22]
	v_fma_f64 v[55:56], v[30:31], v[42:43], v[55:56]
	v_fma_f64 v[55:56], -v[32:33], v[44:45], v[55:56]
	v_fma_f64 v[32:33], v[32:33], v[42:43], v[57:58]
	v_fma_f64 v[30:31], v[30:31], v[44:45], v[32:33]
	v_cvt_f64_f32_e32 v[32:33], v17
	v_cvt_f64_f32_e32 v[17:18], v18
	v_fma_f64 v[57:58], v[32:33], v[42:43], v[59:60]
	v_fma_f64 v[57:58], -v[17:18], v[44:45], v[57:58]
	v_fma_f64 v[17:18], v[17:18], v[42:43], v[61:62]
	v_fma_f64 v[17:18], v[32:33], v[44:45], v[17:18]
	v_cvt_f64_f32_e32 v[32:33], v19
	v_cvt_f64_f32_e32 v[19:20], v20
	;; [unrolled: 6-line block ×6, first 2 shown]
	v_fma_f64 v[13:14], v[9:10], v[38:39], v[59:60]
	v_fma_f64 v[59:60], -v[11:12], v[40:41], v[13:14]
	v_fma_f64 v[11:12], v[11:12], v[38:39], v[19:20]
	v_fma_f64 v[38:39], v[9:10], v[40:41], v[11:12]
	global_load_dwordx4 v[9:12], v[28:29], off offset:2160
	global_load_dwordx4 v[13:16], v[28:29], off offset:2144
	;; [unrolled: 1-line block ×4, first 2 shown]
	s_waitcnt vmcnt(0)
	v_cvt_f64_f32_e32 v[40:41], v30
	v_cvt_f64_f32_e32 v[30:31], v31
	v_fma_f64 v[42:43], v[40:41], v[34:35], v[42:43]
	v_fma_f64 v[21:22], v[30:31], v[34:35], v[21:22]
	v_fma_f64 v[42:43], -v[30:31], v[36:37], v[42:43]
	v_cvt_f64_f32_e32 v[30:31], v32
	v_fma_f64 v[21:22], v[40:41], v[36:37], v[21:22]
	v_cvt_f64_f32_e32 v[32:33], v33
	v_fma_f64 v[40:41], v[30:31], v[34:35], v[44:45]
	v_fma_f64 v[40:41], -v[32:33], v[36:37], v[40:41]
	v_fma_f64 v[32:33], v[32:33], v[34:35], v[48:49]
	v_fma_f64 v[30:31], v[30:31], v[36:37], v[32:33]
	v_cvt_f64_f32_e32 v[32:33], v17
	v_cvt_f64_f32_e32 v[17:18], v18
	v_fma_f64 v[44:45], v[32:33], v[34:35], v[55:56]
	v_fma_f64 v[48:49], -v[17:18], v[36:37], v[44:45]
	v_fma_f64 v[17:18], v[17:18], v[34:35], v[57:58]
	v_fma_f64 v[17:18], v[32:33], v[36:37], v[17:18]
	v_cvt_f64_f32_e32 v[32:33], v19
	;; [unrolled: 6-line block ×6, first 2 shown]
	v_cvt_f64_f32_e32 v[11:12], v12
	v_fma_f64 v[13:14], v[9:10], v[51:52], v[55:56]
	v_fma_f64 v[30:31], -v[11:12], v[53:54], v[13:14]
	v_fma_f64 v[11:12], v[11:12], v[51:52], v[19:20]
	v_fma_f64 v[32:33], v[9:10], v[53:54], v[11:12]
	global_load_dword v9, v[23:24], off offset:96
	s_waitcnt vmcnt(0)
	v_subrev_u32_e32 v9, s16, v9
	v_lshlrev_b32_e32 v21, 2, v9
	v_ashrrev_i32_e32 v22, 31, v21
	global_load_dwordx4 v[9:12], v[28:29], off offset:3120
	global_load_dwordx4 v[13:16], v[28:29], off offset:3104
	;; [unrolled: 1-line block ×4, first 2 shown]
	v_lshlrev_b64 v[21:22], 4, v[21:22]
	v_add_co_u32_e32 v67, vcc, s6, v21
	v_addc_co_u32_e32 v68, vcc, v47, v22, vcc
	global_load_dwordx4 v[21:24], v[67:68], off offset:48
	global_load_dwordx4 v[55:58], v[67:68], off offset:32
	;; [unrolled: 1-line block ×3, first 2 shown]
	global_load_dwordx4 v[63:66], v[67:68], off
	s_waitcnt vmcnt(4)
	v_cvt_f64_f32_e32 v[48:49], v51
	v_cvt_f64_f32_e32 v[51:52], v52
	s_waitcnt vmcnt(0)
	v_fma_f64 v[42:43], v[48:49], v[63:64], v[42:43]
	v_fma_f64 v[44:45], v[51:52], v[63:64], v[44:45]
	v_fma_f64 v[42:43], -v[51:52], v[65:66], v[42:43]
	v_cvt_f64_f32_e32 v[51:52], v54
	v_fma_f64 v[44:45], v[48:49], v[65:66], v[44:45]
	v_cvt_f64_f32_e32 v[48:49], v53
	v_fma_f64 v[40:41], v[51:52], v[63:64], v[40:41]
	v_fma_f64 v[38:39], v[48:49], v[63:64], v[38:39]
	;; [unrolled: 1-line block ×3, first 2 shown]
	v_cvt_f64_f32_e32 v[48:49], v17
	v_cvt_f64_f32_e32 v[17:18], v18
	v_fma_f64 v[38:39], -v[51:52], v[65:66], v[38:39]
	v_fma_f64 v[34:35], v[48:49], v[63:64], v[34:35]
	v_fma_f64 v[34:35], -v[17:18], v[65:66], v[34:35]
	v_fma_f64 v[17:18], v[17:18], v[63:64], v[36:37]
	v_cvt_f64_f32_e32 v[36:37], v19
	v_cvt_f64_f32_e32 v[19:20], v20
	v_fma_f64 v[30:31], v[36:37], v[63:64], v[30:31]
	v_fma_f64 v[17:18], v[48:49], v[65:66], v[17:18]
	v_fma_f64 v[30:31], -v[19:20], v[65:66], v[30:31]
	v_fma_f64 v[19:20], v[19:20], v[63:64], v[32:33]
	v_cvt_f64_f32_e32 v[32:33], v13
	v_cvt_f64_f32_e32 v[13:14], v14
	v_fma_f64 v[19:20], v[36:37], v[65:66], v[19:20]
	v_fma_f64 v[36:37], v[32:33], v[59:60], v[42:43]
	v_fma_f64 v[36:37], -v[13:14], v[61:62], v[36:37]
	v_fma_f64 v[13:14], v[13:14], v[59:60], v[44:45]
	v_fma_f64 v[42:43], v[32:33], v[61:62], v[13:14]
	v_cvt_f64_f32_e32 v[13:14], v15
	v_cvt_f64_f32_e32 v[15:16], v16
	v_fma_f64 v[32:33], v[13:14], v[59:60], v[38:39]
	v_fma_f64 v[38:39], -v[15:16], v[61:62], v[32:33]
	v_fma_f64 v[15:16], v[15:16], v[59:60], v[40:41]
	v_fma_f64 v[40:41], v[13:14], v[61:62], v[15:16]
	v_cvt_f64_f32_e32 v[13:14], v9
	v_cvt_f64_f32_e32 v[9:10], v10
	;; [unrolled: 6-line block ×3, first 2 shown]
	v_fma_f64 v[13:14], v[9:10], v[59:60], v[30:31]
	v_fma_f64 v[48:49], -v[11:12], v[61:62], v[13:14]
	v_fma_f64 v[11:12], v[11:12], v[59:60], v[19:20]
	v_fma_f64 v[51:52], v[9:10], v[61:62], v[11:12]
	global_load_dwordx4 v[30:33], v[28:29], off offset:3184
	global_load_dwordx4 v[9:12], v[28:29], off offset:3168
	;; [unrolled: 1-line block ×4, first 2 shown]
	v_add_co_u32_e32 v28, vcc, 0x1000, v28
	v_addc_co_u32_e32 v29, vcc, 0, v29, vcc
	v_cmp_ge_i32_e32 vcc, v26, v50
	s_or_b64 s[8:9], vcc, s[8:9]
	s_waitcnt vmcnt(0)
	v_cvt_f64_f32_e32 v[53:54], v17
	v_cvt_f64_f32_e32 v[17:18], v18
	v_fma_f64 v[36:37], v[53:54], v[55:56], v[36:37]
	v_fma_f64 v[36:37], -v[17:18], v[57:58], v[36:37]
	v_fma_f64 v[17:18], v[17:18], v[55:56], v[42:43]
	v_cvt_f64_f32_e32 v[42:43], v19
	v_cvt_f64_f32_e32 v[19:20], v20
	v_fma_f64 v[38:39], v[42:43], v[55:56], v[38:39]
	v_fma_f64 v[17:18], v[53:54], v[57:58], v[17:18]
	v_fma_f64 v[38:39], -v[19:20], v[57:58], v[38:39]
	v_fma_f64 v[19:20], v[19:20], v[55:56], v[40:41]
	v_fma_f64 v[40:41], v[42:43], v[57:58], v[19:20]
	v_cvt_f64_f32_e32 v[19:20], v13
	v_cvt_f64_f32_e32 v[13:14], v14
	v_fma_f64 v[34:35], v[19:20], v[55:56], v[34:35]
	v_fma_f64 v[34:35], -v[13:14], v[57:58], v[34:35]
	v_fma_f64 v[13:14], v[13:14], v[55:56], v[44:45]
	v_fma_f64 v[42:43], v[19:20], v[57:58], v[13:14]
	v_cvt_f64_f32_e32 v[13:14], v15
	v_cvt_f64_f32_e32 v[15:16], v16
	;; [unrolled: 6-line block ×6, first 2 shown]
	v_fma_f64 v[34:35], v[30:31], v[21:22], v[44:45]
	v_fma_f64 v[21:22], v[32:33], v[21:22], v[48:49]
	v_fma_f64 v[34:35], -v[32:33], v[23:24], v[34:35]
	v_fma_f64 v[21:22], v[30:31], v[23:24], v[21:22]
	s_andn2_b64 exec, exec, s[8:9]
	s_cbranch_execnz .LBB166_31
; %bb.32:
	s_or_b64 exec, exec, s[8:9]
.LBB166_33:
	s_or_b64 exec, exec, s[0:1]
.LBB166_34:
	s_or_b64 exec, exec, s[2:3]
.LBB166_35:
	v_mov_b32_dpp v23, v19 row_shr:1 row_mask:0xf bank_mask:0xf
	v_mov_b32_dpp v24, v20 row_shr:1 row_mask:0xf bank_mask:0xf
	v_add_f64 v[19:20], v[19:20], v[23:24]
	v_mov_b32_dpp v23, v17 row_shr:1 row_mask:0xf bank_mask:0xf
	v_mov_b32_dpp v24, v18 row_shr:1 row_mask:0xf bank_mask:0xf
	;; [unrolled: 1-line block ×4, first 2 shown]
	v_add_f64 v[17:18], v[17:18], v[23:24]
	v_add_f64 v[26:27], v[15:16], v[26:27]
	v_mov_b32_dpp v15, v11 row_shr:1 row_mask:0xf bank_mask:0xf
	v_mov_b32_dpp v23, v19 row_shr:2 row_mask:0xf bank_mask:0xf
	;; [unrolled: 1-line block ×6, first 2 shown]
	v_add_f64 v[28:29], v[11:12], v[15:16]
	v_add_f64 v[11:12], v[19:20], v[23:24]
	v_mov_b32_dpp v23, v13 row_shr:1 row_mask:0xf bank_mask:0xf
	v_mov_b32_dpp v24, v14 row_shr:1 row_mask:0xf bank_mask:0xf
	v_add_f64 v[36:37], v[9:10], v[36:37]
	v_mov_b32_dpp v9, v34 row_shr:1 row_mask:0xf bank_mask:0xf
	v_mov_b32_dpp v10, v35 row_shr:1 row_mask:0xf bank_mask:0xf
	v_add_f64 v[30:31], v[13:14], v[23:24]
	v_add_f64 v[34:35], v[34:35], v[9:10]
	v_mov_b32_dpp v9, v21 row_shr:1 row_mask:0xf bank_mask:0xf
	v_mov_b32_dpp v10, v22 row_shr:1 row_mask:0xf bank_mask:0xf
	v_add_f64 v[38:39], v[21:22], v[9:10]
	v_mov_b32_dpp v15, v17 row_shr:2 row_mask:0xf bank_mask:0xf
	v_mov_b32_dpp v16, v18 row_shr:2 row_mask:0xf bank_mask:0xf
	;; [unrolled: 3-line block ×3, first 2 shown]
	v_mov_b32_dpp v17, v26 row_shr:2 row_mask:0xf bank_mask:0xf
	v_mov_b32_dpp v18, v27 row_shr:2 row_mask:0xf bank_mask:0xf
	;; [unrolled: 1-line block ×4, first 2 shown]
	v_add_f64 v[9:10], v[30:31], v[32:33]
	v_mov_b32_dpp v21, v36 row_shr:2 row_mask:0xf bank_mask:0xf
	v_mov_b32_dpp v22, v37 row_shr:2 row_mask:0xf bank_mask:0xf
	;; [unrolled: 1-line block ×6, first 2 shown]
	v_add_f64 v[17:18], v[26:27], v[17:18]
	v_add_f64 v[19:20], v[28:29], v[19:20]
	;; [unrolled: 1-line block ×5, first 2 shown]
	v_mov_b32_dpp v28, v11 row_shr:4 row_mask:0xf bank_mask:0xe
	v_mov_b32_dpp v29, v12 row_shr:4 row_mask:0xf bank_mask:0xe
	v_mov_b32_dpp v26, v15 row_shr:4 row_mask:0xf bank_mask:0xe
	v_mov_b32_dpp v27, v16 row_shr:4 row_mask:0xf bank_mask:0xe
	v_mov_b32_dpp v23, v17 row_shr:4 row_mask:0xf bank_mask:0xe
	v_mov_b32_dpp v24, v18 row_shr:4 row_mask:0xf bank_mask:0xe
	v_mov_b32_dpp v13, v19 row_shr:4 row_mask:0xf bank_mask:0xe
	v_mov_b32_dpp v14, v20 row_shr:4 row_mask:0xf bank_mask:0xe
	v_mov_b32_dpp v40, v9 row_shr:4 row_mask:0xf bank_mask:0xe
	v_mov_b32_dpp v41, v10 row_shr:4 row_mask:0xf bank_mask:0xe
	v_mov_b32_dpp v38, v21 row_shr:4 row_mask:0xf bank_mask:0xe
	v_mov_b32_dpp v39, v22 row_shr:4 row_mask:0xf bank_mask:0xe
	v_mov_b32_dpp v36, v30 row_shr:4 row_mask:0xf bank_mask:0xe
	v_mov_b32_dpp v37, v31 row_shr:4 row_mask:0xf bank_mask:0xe
	v_mov_b32_dpp v34, v32 row_shr:4 row_mask:0xf bank_mask:0xe
	v_mov_b32_dpp v35, v33 row_shr:4 row_mask:0xf bank_mask:0xe
	v_cmp_eq_u32_e32 vcc, 7, v0
	s_and_b64 exec, exec, vcc
	s_cbranch_execz .LBB166_8
; %bb.36:
	v_add_f64 v[15:16], v[15:16], v[26:27]
	v_add_f64 v[23:24], v[17:18], v[23:24]
	;; [unrolled: 1-line block ×8, first 2 shown]
	v_mul_f64 v[19:20], v[15:16], -v[7:8]
	v_mul_f64 v[15:16], v[5:6], v[15:16]
	v_mul_f64 v[28:29], v[13:14], -v[7:8]
	v_mul_f64 v[30:31], v[5:6], v[13:14]
	;; [unrolled: 2-line block ×4, first 2 shown]
	v_cmp_eq_f64_e32 vcc, 0, v[1:2]
	v_cmp_eq_f64_e64 s[0:1], 0, v[3:4]
	v_fma_f64 v[17:18], v[5:6], v[11:12], v[19:20]
	v_fma_f64 v[19:20], v[7:8], v[11:12], v[15:16]
	v_fma_f64 v[13:14], v[5:6], v[23:24], v[28:29]
	v_fma_f64 v[15:16], v[7:8], v[23:24], v[30:31]
	v_fma_f64 v[9:10], v[5:6], v[26:27], v[32:33]
	v_fma_f64 v[11:12], v[7:8], v[26:27], v[34:35]
	v_fma_f64 v[5:6], v[5:6], v[21:22], v[36:37]
	v_fma_f64 v[7:8], v[7:8], v[21:22], v[38:39]
	s_load_dwordx2 s[2:3], s[4:5], 0x60
	s_and_b64 s[0:1], vcc, s[0:1]
	v_lshlrev_b32_e32 v21, 2, v25
	s_and_saveexec_b64 s[4:5], s[0:1]
	s_xor_b64 s[0:1], exec, s[4:5]
	s_cbranch_execz .LBB166_38
; %bb.37:
	v_ashrrev_i32_e32 v22, 31, v21
	v_lshlrev_b64 v[0:1], 4, v[21:22]
	s_waitcnt lgkmcnt(0)
	v_mov_b32_e32 v2, s3
	v_add_co_u32_e32 v0, vcc, s2, v0
	v_addc_co_u32_e32 v1, vcc, v2, v1, vcc
	global_store_dwordx4 v[0:1], v[17:20], off
	global_store_dwordx4 v[0:1], v[13:16], off offset:16
	global_store_dwordx4 v[0:1], v[9:12], off offset:32
	;; [unrolled: 1-line block ×3, first 2 shown]
                                        ; implicit-def: $vgpr3_vgpr4
                                        ; implicit-def: $vgpr17_vgpr18
                                        ; implicit-def: $vgpr21
                                        ; implicit-def: $vgpr13_vgpr14
                                        ; implicit-def: $vgpr9_vgpr10
                                        ; implicit-def: $vgpr5_vgpr6
.LBB166_38:
	s_andn2_saveexec_b64 s[0:1], s[0:1]
	s_cbranch_execz .LBB166_8
; %bb.39:
	v_ashrrev_i32_e32 v22, 31, v21
	v_lshlrev_b64 v[21:22], 4, v[21:22]
	s_waitcnt lgkmcnt(0)
	v_mov_b32_e32 v0, s3
	v_add_co_u32_e32 v37, vcc, s2, v21
	v_addc_co_u32_e32 v38, vcc, v0, v22, vcc
	global_load_dwordx4 v[21:24], v[37:38], off
	global_load_dwordx4 v[25:28], v[37:38], off offset:16
	global_load_dwordx4 v[29:32], v[37:38], off offset:32
	;; [unrolled: 1-line block ×3, first 2 shown]
	s_waitcnt vmcnt(3)
	v_fma_f64 v[17:18], v[1:2], v[21:22], v[17:18]
	v_fma_f64 v[19:20], v[3:4], v[21:22], v[19:20]
	s_waitcnt vmcnt(2)
	v_fma_f64 v[13:14], v[1:2], v[25:26], v[13:14]
	v_fma_f64 v[15:16], v[3:4], v[25:26], v[15:16]
	s_waitcnt vmcnt(1)
	v_fma_f64 v[21:22], v[1:2], v[29:30], v[9:10]
	v_fma_f64 v[25:26], v[3:4], v[29:30], v[11:12]
	s_waitcnt vmcnt(0)
	v_fma_f64 v[29:30], v[1:2], v[33:34], v[5:6]
	v_fma_f64 v[33:34], v[3:4], v[33:34], v[7:8]
	v_fma_f64 v[5:6], -v[3:4], v[23:24], v[17:18]
	v_fma_f64 v[7:8], v[1:2], v[23:24], v[19:20]
	v_fma_f64 v[9:10], -v[3:4], v[27:28], v[13:14]
	v_fma_f64 v[11:12], v[1:2], v[27:28], v[15:16]
	;; [unrolled: 2-line block ×4, first 2 shown]
	global_store_dwordx4 v[37:38], v[5:8], off
	global_store_dwordx4 v[37:38], v[9:12], off offset:16
	global_store_dwordx4 v[37:38], v[13:16], off offset:32
	;; [unrolled: 1-line block ×3, first 2 shown]
	s_endpgm
	.section	.rodata,"a",@progbits
	.p2align	6, 0x0
	.amdhsa_kernel _ZN9rocsparseL18bsrxmvn_4x4_kernelILj128ELj8E21rocsparse_complex_numIdEiiS1_IfES2_S2_EEvT3_20rocsparse_direction_NS_24const_host_device_scalarIT1_EES4_PKS4_PKT2_SD_SA_PKT4_PKT5_S8_PT6_21rocsparse_index_base_b
		.amdhsa_group_segment_fixed_size 0
		.amdhsa_private_segment_fixed_size 0
		.amdhsa_kernarg_size 112
		.amdhsa_user_sgpr_count 6
		.amdhsa_user_sgpr_private_segment_buffer 1
		.amdhsa_user_sgpr_dispatch_ptr 0
		.amdhsa_user_sgpr_queue_ptr 0
		.amdhsa_user_sgpr_kernarg_segment_ptr 1
		.amdhsa_user_sgpr_dispatch_id 0
		.amdhsa_user_sgpr_flat_scratch_init 0
		.amdhsa_user_sgpr_private_segment_size 0
		.amdhsa_uses_dynamic_stack 0
		.amdhsa_system_sgpr_private_segment_wavefront_offset 0
		.amdhsa_system_sgpr_workgroup_id_x 1
		.amdhsa_system_sgpr_workgroup_id_y 0
		.amdhsa_system_sgpr_workgroup_id_z 0
		.amdhsa_system_sgpr_workgroup_info 0
		.amdhsa_system_vgpr_workitem_id 0
		.amdhsa_next_free_vgpr 85
		.amdhsa_next_free_sgpr 18
		.amdhsa_reserve_vcc 1
		.amdhsa_reserve_flat_scratch 0
		.amdhsa_float_round_mode_32 0
		.amdhsa_float_round_mode_16_64 0
		.amdhsa_float_denorm_mode_32 3
		.amdhsa_float_denorm_mode_16_64 3
		.amdhsa_dx10_clamp 1
		.amdhsa_ieee_mode 1
		.amdhsa_fp16_overflow 0
		.amdhsa_exception_fp_ieee_invalid_op 0
		.amdhsa_exception_fp_denorm_src 0
		.amdhsa_exception_fp_ieee_div_zero 0
		.amdhsa_exception_fp_ieee_overflow 0
		.amdhsa_exception_fp_ieee_underflow 0
		.amdhsa_exception_fp_ieee_inexact 0
		.amdhsa_exception_int_div_zero 0
	.end_amdhsa_kernel
	.section	.text._ZN9rocsparseL18bsrxmvn_4x4_kernelILj128ELj8E21rocsparse_complex_numIdEiiS1_IfES2_S2_EEvT3_20rocsparse_direction_NS_24const_host_device_scalarIT1_EES4_PKS4_PKT2_SD_SA_PKT4_PKT5_S8_PT6_21rocsparse_index_base_b,"axG",@progbits,_ZN9rocsparseL18bsrxmvn_4x4_kernelILj128ELj8E21rocsparse_complex_numIdEiiS1_IfES2_S2_EEvT3_20rocsparse_direction_NS_24const_host_device_scalarIT1_EES4_PKS4_PKT2_SD_SA_PKT4_PKT5_S8_PT6_21rocsparse_index_base_b,comdat
.Lfunc_end166:
	.size	_ZN9rocsparseL18bsrxmvn_4x4_kernelILj128ELj8E21rocsparse_complex_numIdEiiS1_IfES2_S2_EEvT3_20rocsparse_direction_NS_24const_host_device_scalarIT1_EES4_PKS4_PKT2_SD_SA_PKT4_PKT5_S8_PT6_21rocsparse_index_base_b, .Lfunc_end166-_ZN9rocsparseL18bsrxmvn_4x4_kernelILj128ELj8E21rocsparse_complex_numIdEiiS1_IfES2_S2_EEvT3_20rocsparse_direction_NS_24const_host_device_scalarIT1_EES4_PKS4_PKT2_SD_SA_PKT4_PKT5_S8_PT6_21rocsparse_index_base_b
                                        ; -- End function
	.set _ZN9rocsparseL18bsrxmvn_4x4_kernelILj128ELj8E21rocsparse_complex_numIdEiiS1_IfES2_S2_EEvT3_20rocsparse_direction_NS_24const_host_device_scalarIT1_EES4_PKS4_PKT2_SD_SA_PKT4_PKT5_S8_PT6_21rocsparse_index_base_b.num_vgpr, 85
	.set _ZN9rocsparseL18bsrxmvn_4x4_kernelILj128ELj8E21rocsparse_complex_numIdEiiS1_IfES2_S2_EEvT3_20rocsparse_direction_NS_24const_host_device_scalarIT1_EES4_PKS4_PKT2_SD_SA_PKT4_PKT5_S8_PT6_21rocsparse_index_base_b.num_agpr, 0
	.set _ZN9rocsparseL18bsrxmvn_4x4_kernelILj128ELj8E21rocsparse_complex_numIdEiiS1_IfES2_S2_EEvT3_20rocsparse_direction_NS_24const_host_device_scalarIT1_EES4_PKS4_PKT2_SD_SA_PKT4_PKT5_S8_PT6_21rocsparse_index_base_b.numbered_sgpr, 18
	.set _ZN9rocsparseL18bsrxmvn_4x4_kernelILj128ELj8E21rocsparse_complex_numIdEiiS1_IfES2_S2_EEvT3_20rocsparse_direction_NS_24const_host_device_scalarIT1_EES4_PKS4_PKT2_SD_SA_PKT4_PKT5_S8_PT6_21rocsparse_index_base_b.num_named_barrier, 0
	.set _ZN9rocsparseL18bsrxmvn_4x4_kernelILj128ELj8E21rocsparse_complex_numIdEiiS1_IfES2_S2_EEvT3_20rocsparse_direction_NS_24const_host_device_scalarIT1_EES4_PKS4_PKT2_SD_SA_PKT4_PKT5_S8_PT6_21rocsparse_index_base_b.private_seg_size, 0
	.set _ZN9rocsparseL18bsrxmvn_4x4_kernelILj128ELj8E21rocsparse_complex_numIdEiiS1_IfES2_S2_EEvT3_20rocsparse_direction_NS_24const_host_device_scalarIT1_EES4_PKS4_PKT2_SD_SA_PKT4_PKT5_S8_PT6_21rocsparse_index_base_b.uses_vcc, 1
	.set _ZN9rocsparseL18bsrxmvn_4x4_kernelILj128ELj8E21rocsparse_complex_numIdEiiS1_IfES2_S2_EEvT3_20rocsparse_direction_NS_24const_host_device_scalarIT1_EES4_PKS4_PKT2_SD_SA_PKT4_PKT5_S8_PT6_21rocsparse_index_base_b.uses_flat_scratch, 0
	.set _ZN9rocsparseL18bsrxmvn_4x4_kernelILj128ELj8E21rocsparse_complex_numIdEiiS1_IfES2_S2_EEvT3_20rocsparse_direction_NS_24const_host_device_scalarIT1_EES4_PKS4_PKT2_SD_SA_PKT4_PKT5_S8_PT6_21rocsparse_index_base_b.has_dyn_sized_stack, 0
	.set _ZN9rocsparseL18bsrxmvn_4x4_kernelILj128ELj8E21rocsparse_complex_numIdEiiS1_IfES2_S2_EEvT3_20rocsparse_direction_NS_24const_host_device_scalarIT1_EES4_PKS4_PKT2_SD_SA_PKT4_PKT5_S8_PT6_21rocsparse_index_base_b.has_recursion, 0
	.set _ZN9rocsparseL18bsrxmvn_4x4_kernelILj128ELj8E21rocsparse_complex_numIdEiiS1_IfES2_S2_EEvT3_20rocsparse_direction_NS_24const_host_device_scalarIT1_EES4_PKS4_PKT2_SD_SA_PKT4_PKT5_S8_PT6_21rocsparse_index_base_b.has_indirect_call, 0
	.section	.AMDGPU.csdata,"",@progbits
; Kernel info:
; codeLenInByte = 10404
; TotalNumSgprs: 22
; NumVgprs: 85
; ScratchSize: 0
; MemoryBound: 0
; FloatMode: 240
; IeeeMode: 1
; LDSByteSize: 0 bytes/workgroup (compile time only)
; SGPRBlocks: 2
; VGPRBlocks: 21
; NumSGPRsForWavesPerEU: 22
; NumVGPRsForWavesPerEU: 85
; Occupancy: 2
; WaveLimiterHint : 1
; COMPUTE_PGM_RSRC2:SCRATCH_EN: 0
; COMPUTE_PGM_RSRC2:USER_SGPR: 6
; COMPUTE_PGM_RSRC2:TRAP_HANDLER: 0
; COMPUTE_PGM_RSRC2:TGID_X_EN: 1
; COMPUTE_PGM_RSRC2:TGID_Y_EN: 0
; COMPUTE_PGM_RSRC2:TGID_Z_EN: 0
; COMPUTE_PGM_RSRC2:TIDIG_COMP_CNT: 0
	.section	.text._ZN9rocsparseL18bsrxmvn_4x4_kernelILj128ELj16E21rocsparse_complex_numIdEiiS1_IfES2_S2_EEvT3_20rocsparse_direction_NS_24const_host_device_scalarIT1_EES4_PKS4_PKT2_SD_SA_PKT4_PKT5_S8_PT6_21rocsparse_index_base_b,"axG",@progbits,_ZN9rocsparseL18bsrxmvn_4x4_kernelILj128ELj16E21rocsparse_complex_numIdEiiS1_IfES2_S2_EEvT3_20rocsparse_direction_NS_24const_host_device_scalarIT1_EES4_PKS4_PKT2_SD_SA_PKT4_PKT5_S8_PT6_21rocsparse_index_base_b,comdat
	.globl	_ZN9rocsparseL18bsrxmvn_4x4_kernelILj128ELj16E21rocsparse_complex_numIdEiiS1_IfES2_S2_EEvT3_20rocsparse_direction_NS_24const_host_device_scalarIT1_EES4_PKS4_PKT2_SD_SA_PKT4_PKT5_S8_PT6_21rocsparse_index_base_b ; -- Begin function _ZN9rocsparseL18bsrxmvn_4x4_kernelILj128ELj16E21rocsparse_complex_numIdEiiS1_IfES2_S2_EEvT3_20rocsparse_direction_NS_24const_host_device_scalarIT1_EES4_PKS4_PKT2_SD_SA_PKT4_PKT5_S8_PT6_21rocsparse_index_base_b
	.p2align	8
	.type	_ZN9rocsparseL18bsrxmvn_4x4_kernelILj128ELj16E21rocsparse_complex_numIdEiiS1_IfES2_S2_EEvT3_20rocsparse_direction_NS_24const_host_device_scalarIT1_EES4_PKS4_PKT2_SD_SA_PKT4_PKT5_S8_PT6_21rocsparse_index_base_b,@function
_ZN9rocsparseL18bsrxmvn_4x4_kernelILj128ELj16E21rocsparse_complex_numIdEiiS1_IfES2_S2_EEvT3_20rocsparse_direction_NS_24const_host_device_scalarIT1_EES4_PKS4_PKT2_SD_SA_PKT4_PKT5_S8_PT6_21rocsparse_index_base_b: ; @_ZN9rocsparseL18bsrxmvn_4x4_kernelILj128ELj16E21rocsparse_complex_numIdEiiS1_IfES2_S2_EEvT3_20rocsparse_direction_NS_24const_host_device_scalarIT1_EES4_PKS4_PKT2_SD_SA_PKT4_PKT5_S8_PT6_21rocsparse_index_base_b
; %bb.0:
	s_load_dwordx2 s[0:1], s[4:5], 0x8
	s_load_dwordx2 s[16:17], s[4:5], 0x68
	s_add_u32 s7, s4, 8
	s_addc_u32 s8, s5, 0
	s_add_u32 s9, s4, 0x50
	s_addc_u32 s10, s5, 0
	s_waitcnt lgkmcnt(0)
	s_bitcmp1_b32 s17, 0
	s_cselect_b32 s1, s8, s1
	s_cselect_b32 s0, s7, s0
	v_mov_b32_e32 v1, s0
	v_mov_b32_e32 v2, s1
	flat_load_dwordx4 v[5:8], v[1:2]
	s_load_dwordx2 s[2:3], s[4:5], 0x50
	s_waitcnt lgkmcnt(0)
	s_cselect_b32 s0, s10, s3
	s_cselect_b32 s1, s9, s2
	v_mov_b32_e32 v1, s1
	v_mov_b32_e32 v2, s0
	flat_load_dwordx4 v[1:4], v[1:2]
	s_waitcnt vmcnt(0)
	v_cmp_eq_f64_e32 vcc, 0, v[5:6]
	v_cmp_eq_f64_e64 s[0:1], 0, v[7:8]
	s_and_b64 s[8:9], vcc, s[0:1]
	s_mov_b64 s[0:1], -1
	s_and_saveexec_b64 s[2:3], s[8:9]
	s_cbranch_execz .LBB167_2
; %bb.1:
	s_waitcnt lgkmcnt(0)
	v_cmp_neq_f64_e32 vcc, 1.0, v[1:2]
	v_cmp_neq_f64_e64 s[0:1], 0, v[3:4]
	s_or_b64 s[0:1], vcc, s[0:1]
	s_orn2_b64 s[0:1], s[0:1], exec
.LBB167_2:
	s_or_b64 exec, exec, s[2:3]
	s_and_saveexec_b64 s[2:3], s[0:1]
	s_cbranch_execz .LBB167_8
; %bb.3:
	s_load_dwordx2 s[8:9], s[4:5], 0x20
	s_load_dwordx2 s[0:1], s[4:5], 0x0
	v_lshrrev_b32_e32 v9, 4, v0
	v_lshl_or_b32 v25, s6, 3, v9
	s_mov_b64 s[2:3], 0
	s_waitcnt lgkmcnt(0)
	s_cmp_lg_u64 s[8:9], 0
	s_cbranch_scc0 .LBB167_9
; %bb.4:
	s_load_dword s6, s[4:5], 0x18
                                        ; implicit-def: $vgpr9
	s_waitcnt lgkmcnt(0)
	v_cmp_gt_i32_e32 vcc, s6, v25
	s_and_saveexec_b64 s[6:7], vcc
	s_xor_b64 s[6:7], exec, s[6:7]
	s_cbranch_execz .LBB167_6
; %bb.5:
	v_ashrrev_i32_e32 v26, 31, v25
	v_lshlrev_b64 v[9:10], 2, v[25:26]
	v_mov_b32_e32 v11, s9
	v_add_co_u32_e32 v9, vcc, s8, v9
	v_addc_co_u32_e32 v10, vcc, v11, v10, vcc
	global_load_dword v9, v[9:10], off
	s_mov_b64 s[2:3], exec
	s_waitcnt vmcnt(0)
	v_subrev_u32_e32 v9, s16, v9
.LBB167_6:
	s_or_b64 exec, exec, s[6:7]
	s_branch .LBB167_10
.LBB167_7:
	v_cmp_gt_i32_e32 vcc, s0, v25
	s_andn2_b64 s[2:3], s[2:3], exec
	s_and_b64 s[6:7], vcc, exec
	s_or_b64 s[2:3], s[2:3], s[6:7]
	s_and_b64 exec, exec, s[2:3]
	s_cbranch_execnz .LBB167_11
.LBB167_8:
	s_endpgm
.LBB167_9:
                                        ; implicit-def: $vgpr9
	s_cbranch_execnz .LBB167_7
.LBB167_10:
	v_mov_b32_e32 v25, v9
	s_and_b64 exec, exec, s[2:3]
	s_cbranch_execz .LBB167_8
.LBB167_11:
	s_load_dwordx8 s[8:15], s[4:5], 0x28
	v_ashrrev_i32_e32 v26, 31, v25
	v_lshlrev_b64 v[9:10], 2, v[25:26]
	v_and_b32_e32 v0, 15, v0
	s_load_dwordx2 s[6:7], s[4:5], 0x48
	s_waitcnt lgkmcnt(0)
	v_mov_b32_e32 v12, s9
	v_add_co_u32_e32 v11, vcc, s8, v9
	v_addc_co_u32_e32 v12, vcc, v12, v10, vcc
	global_load_dword v53, v[11:12], off
	v_add_co_u32_e32 v11, vcc, 4, v11
	v_addc_co_u32_e32 v12, vcc, 0, v12, vcc
	v_mov_b32_e32 v13, s11
	v_add_co_u32_e32 v9, vcc, s10, v9
	s_cmp_eq_u64 s[10:11], 0
	v_addc_co_u32_e32 v10, vcc, v13, v10, vcc
	s_cselect_b64 vcc, -1, 0
	v_cndmask_b32_e32 v10, v10, v12, vcc
	v_cndmask_b32_e32 v9, v9, v11, vcc
	global_load_dword v9, v[9:10], off
	v_mov_b32_e32 v11, s15
	s_cmp_eq_u32 s1, 1
	s_waitcnt vmcnt(1)
	v_subrev_u32_e32 v10, s16, v53
	v_add_u32_e32 v26, v10, v0
	v_ashrrev_i32_e32 v27, 31, v26
	s_waitcnt vmcnt(0)
	v_subrev_u32_e32 v52, s16, v9
	v_lshlrev_b64 v[9:10], 7, v[26:27]
	v_cmp_lt_i32_e64 s[0:1], v26, v52
	v_add_co_u32_e32 v28, vcc, s14, v9
	v_addc_co_u32_e32 v29, vcc, v11, v10, vcc
	s_cbranch_scc1 .LBB167_23
; %bb.12:
	v_mov_b32_e32 v17, 0
	v_mov_b32_e32 v19, 0
	;; [unrolled: 1-line block ×16, first 2 shown]
	s_and_saveexec_b64 s[8:9], s[0:1]
	s_cbranch_execz .LBB167_22
; %bb.13:
	v_add_u32_e32 v9, v53, v0
	v_subrev_u32_e32 v9, s16, v9
	v_add_u32_e32 v9, 16, v9
	v_max_i32_e32 v9, v9, v52
	v_not_b32_e32 v10, v53
	v_add3_u32 v9, s16, v9, v10
	v_sub_u32_e32 v23, v9, v0
	v_and_b32_e32 v9, 48, v23
	v_cmp_ne_u32_e32 vcc, 48, v9
	v_mov_b32_e32 v34, 0
	v_mov_b32_e32 v21, 0
	v_mov_b32_e32 v11, 0
	v_mov_b32_e32 v9, 0
	v_mov_b32_e32 v15, 0
	v_mov_b32_e32 v13, 0
	v_mov_b32_e32 v19, 0
	v_mov_b32_e32 v17, 0
	v_mov_b32_e32 v33, v29
	v_mov_b32_e32 v35, 0
	v_mov_b32_e32 v22, 0
	v_mov_b32_e32 v12, 0
	v_mov_b32_e32 v10, 0
	v_mov_b32_e32 v16, 0
	v_mov_b32_e32 v14, 0
	v_mov_b32_e32 v20, 0
	v_mov_b32_e32 v18, 0
	v_mov_b32_e32 v32, v28
	v_mov_b32_e32 v30, v26
	s_and_saveexec_b64 s[10:11], vcc
	s_cbranch_execz .LBB167_17
; %bb.14:
	v_lshrrev_b32_e32 v9, 4, v23
	v_add_u32_e32 v9, 1, v9
	v_and_b32_e32 v9, 3, v9
	v_sub_u32_e32 v24, 0, v9
	v_mov_b32_e32 v17, 0
	v_mov_b32_e32 v19, 0
	;; [unrolled: 1-line block ×10, first 2 shown]
	s_mov_b64 s[14:15], 0
	v_mov_b32_e32 v27, s13
	v_mov_b32_e32 v36, s7
	;; [unrolled: 1-line block ×11, first 2 shown]
.LBB167_15:                             ; =>This Inner Loop Header: Depth=1
	v_ashrrev_i32_e32 v31, 31, v30
	v_lshlrev_b64 v[41:42], 2, v[30:31]
	global_load_dwordx4 v[37:40], v[32:33], off
	v_add_co_u32_e32 v41, vcc, s12, v41
	v_addc_co_u32_e32 v42, vcc, v27, v42, vcc
	global_load_dword v31, v[41:42], off
	v_add_co_u32_e64 v24, s[2:3], 1, v24
	s_or_b64 s[14:15], s[2:3], s[14:15]
	v_add_u32_e32 v30, 16, v30
	s_waitcnt vmcnt(1)
	v_cvt_f64_f32_e32 v[45:46], v37
	v_cvt_f64_f32_e32 v[37:38], v38
	s_waitcnt vmcnt(0)
	v_subrev_u32_e32 v31, s16, v31
	v_lshlrev_b32_e32 v41, 2, v31
	v_ashrrev_i32_e32 v42, 31, v41
	v_lshlrev_b64 v[41:42], 4, v[41:42]
	v_add_co_u32_e32 v47, vcc, s6, v41
	v_addc_co_u32_e32 v48, vcc, v36, v42, vcc
	global_load_dwordx4 v[41:44], v[47:48], off
	s_waitcnt vmcnt(0)
	v_fma_f64 v[19:20], v[45:46], v[41:42], v[19:20]
	v_fma_f64 v[17:18], v[37:38], v[41:42], v[17:18]
	v_fma_f64 v[37:38], -v[37:38], v[43:44], v[19:20]
	v_fma_f64 v[45:46], v[45:46], v[43:44], v[17:18]
	global_load_dwordx4 v[17:20], v[32:33], off offset:32
	s_waitcnt vmcnt(0)
	v_cvt_f64_f32_e32 v[49:50], v17
	v_cvt_f64_f32_e32 v[17:18], v18
	v_fma_f64 v[15:16], v[49:50], v[41:42], v[15:16]
	v_fma_f64 v[13:14], v[17:18], v[41:42], v[13:14]
	v_fma_f64 v[17:18], -v[17:18], v[43:44], v[15:16]
	v_fma_f64 v[49:50], v[49:50], v[43:44], v[13:14]
	global_load_dwordx4 v[13:16], v[32:33], off offset:64
	s_waitcnt vmcnt(0)
	v_cvt_f64_f32_e32 v[54:55], v13
	v_cvt_f64_f32_e32 v[13:14], v14
	;; [unrolled: 8-line block ×3, first 2 shown]
	v_cvt_f64_f32_e32 v[58:59], v11
	v_cvt_f64_f32_e32 v[60:61], v12
	v_fma_f64 v[34:35], v[56:57], v[41:42], v[34:35]
	v_fma_f64 v[21:22], v[9:10], v[41:42], v[21:22]
	v_cvt_f64_f32_e32 v[41:42], v39
	v_cvt_f64_f32_e32 v[39:40], v40
	v_fma_f64 v[34:35], -v[9:10], v[43:44], v[34:35]
	global_load_dwordx4 v[9:12], v[47:48], off offset:16
	v_fma_f64 v[21:22], v[56:57], v[43:44], v[21:22]
	v_cvt_f64_f32_e32 v[43:44], v19
	v_cvt_f64_f32_e32 v[19:20], v20
	;; [unrolled: 1-line block ×4, first 2 shown]
	s_waitcnt vmcnt(0)
	v_fma_f64 v[37:38], v[41:42], v[9:10], v[37:38]
	v_fma_f64 v[45:46], v[39:40], v[9:10], v[45:46]
	;; [unrolled: 1-line block ×4, first 2 shown]
	v_fma_f64 v[37:38], -v[39:40], v[11:12], v[37:38]
	v_fma_f64 v[39:40], v[41:42], v[11:12], v[45:46]
	v_fma_f64 v[41:42], v[19:20], v[9:10], v[49:50]
	v_fma_f64 v[45:46], -v[19:20], v[11:12], v[17:18]
	v_fma_f64 v[17:18], v[15:16], v[9:10], v[54:55]
	v_fma_f64 v[41:42], v[43:44], v[11:12], v[41:42]
	;; [unrolled: 3-line block ×3, first 2 shown]
	v_fma_f64 v[21:22], v[56:57], v[11:12], v[17:18]
	v_fma_f64 v[34:35], -v[60:61], v[11:12], v[13:14]
	global_load_dwordx4 v[13:16], v[32:33], off offset:16
	v_fma_f64 v[49:50], v[58:59], v[11:12], v[9:10]
	global_load_dwordx4 v[9:12], v[47:48], off offset:32
	s_waitcnt vmcnt(1)
	v_cvt_f64_f32_e32 v[17:18], v13
	v_cvt_f64_f32_e32 v[13:14], v14
	s_waitcnt vmcnt(0)
	v_fma_f64 v[19:20], v[17:18], v[9:10], v[37:38]
	v_fma_f64 v[37:38], v[13:14], v[9:10], v[39:40]
	v_fma_f64 v[13:14], -v[13:14], v[11:12], v[19:20]
	v_fma_f64 v[54:55], v[17:18], v[11:12], v[37:38]
	global_load_dwordx4 v[17:20], v[32:33], off offset:48
	s_waitcnt vmcnt(0)
	v_cvt_f64_f32_e32 v[37:38], v17
	v_cvt_f64_f32_e32 v[17:18], v18
	v_fma_f64 v[39:40], v[37:38], v[9:10], v[45:46]
	v_fma_f64 v[41:42], v[17:18], v[9:10], v[41:42]
	v_fma_f64 v[45:46], -v[17:18], v[11:12], v[39:40]
	v_fma_f64 v[56:57], v[37:38], v[11:12], v[41:42]
	global_load_dwordx4 v[37:40], v[32:33], off offset:80
	s_waitcnt vmcnt(0)
	v_cvt_f64_f32_e32 v[17:18], v37
	v_cvt_f64_f32_e32 v[37:38], v38
	v_cvt_f64_f32_e32 v[60:61], v39
	v_cvt_f64_f32_e32 v[62:63], v40
	v_fma_f64 v[41:42], v[17:18], v[9:10], v[43:44]
	v_fma_f64 v[21:22], v[37:38], v[9:10], v[21:22]
	v_fma_f64 v[58:59], -v[37:38], v[11:12], v[41:42]
	global_load_dwordx4 v[41:44], v[32:33], off offset:112
	v_fma_f64 v[21:22], v[17:18], v[11:12], v[21:22]
	v_add_co_u32_e32 v32, vcc, 0x800, v32
	v_addc_co_u32_e32 v33, vcc, 0, v33, vcc
	s_waitcnt vmcnt(0)
	v_cvt_f64_f32_e32 v[17:18], v41
	v_cvt_f64_f32_e32 v[37:38], v42
	v_cvt_f64_f32_e32 v[41:42], v19
	v_cvt_f64_f32_e32 v[64:65], v43
	v_fma_f64 v[34:35], v[17:18], v[9:10], v[34:35]
	v_fma_f64 v[9:10], v[37:38], v[9:10], v[49:50]
	v_cvt_f64_f32_e32 v[49:50], v20
	v_cvt_f64_f32_e32 v[43:44], v44
	v_fma_f64 v[34:35], -v[37:38], v[11:12], v[34:35]
	global_load_dwordx4 v[37:40], v[47:48], off offset:48
	v_fma_f64 v[9:10], v[17:18], v[11:12], v[9:10]
	v_cvt_f64_f32_e32 v[11:12], v15
	v_cvt_f64_f32_e32 v[15:16], v16
	s_waitcnt vmcnt(0)
	v_fma_f64 v[17:18], v[15:16], v[37:38], v[54:55]
	v_fma_f64 v[13:14], v[11:12], v[37:38], v[13:14]
	;; [unrolled: 1-line block ×6, first 2 shown]
	v_fma_f64 v[19:20], -v[15:16], v[39:40], v[13:14]
	v_fma_f64 v[13:14], v[49:50], v[37:38], v[56:57]
	v_fma_f64 v[34:35], -v[43:44], v[39:40], v[34:35]
	v_fma_f64 v[15:16], -v[49:50], v[39:40], v[11:12]
	v_fma_f64 v[11:12], v[60:61], v[37:38], v[58:59]
	v_fma_f64 v[37:38], v[43:44], v[37:38], v[9:10]
	;; [unrolled: 1-line block ×4, first 2 shown]
	v_fma_f64 v[11:12], -v[62:63], v[39:40], v[11:12]
	v_fma_f64 v[21:22], v[64:65], v[39:40], v[37:38]
	s_andn2_b64 exec, exec, s[14:15]
	s_cbranch_execnz .LBB167_15
; %bb.16:
	s_or_b64 exec, exec, s[14:15]
.LBB167_17:
	s_or_b64 exec, exec, s[10:11]
	v_cmp_lt_u32_e32 vcc, 47, v23
	s_and_saveexec_b64 s[10:11], vcc
	s_cbranch_execz .LBB167_21
; %bb.18:
	s_mov_b64 s[14:15], 0
	v_mov_b32_e32 v27, s13
	v_mov_b32_e32 v54, s7
	s_movk_i32 s17, 0x1000
.LBB167_19:                             ; =>This Inner Loop Header: Depth=1
	v_ashrrev_i32_e32 v31, 31, v30
	v_lshlrev_b64 v[23:24], 2, v[30:31]
	v_add_u32_e32 v30, 64, v30
	v_add_co_u32_e32 v23, vcc, s12, v23
	v_addc_co_u32_e32 v24, vcc, v27, v24, vcc
	global_load_dword v31, v[23:24], off
	global_load_dwordx4 v[36:39], v[32:33], off offset:48
	global_load_dwordx4 v[40:43], v[32:33], off offset:32
	;; [unrolled: 1-line block ×3, first 2 shown]
	global_load_dwordx4 v[48:51], v[32:33], off
	v_cmp_ge_i32_e64 s[2:3], v30, v52
	s_or_b64 s[14:15], s[2:3], s[14:15]
	s_waitcnt vmcnt(4)
	v_subrev_u32_e32 v31, s16, v31
	v_lshlrev_b32_e32 v55, 2, v31
	v_ashrrev_i32_e32 v56, 31, v55
	v_lshlrev_b64 v[55:56], 4, v[55:56]
	s_waitcnt vmcnt(0)
	v_cvt_f64_f32_e32 v[71:72], v48
	v_add_co_u32_e32 v73, vcc, s6, v55
	v_addc_co_u32_e32 v74, vcc, v54, v56, vcc
	global_load_dwordx4 v[55:58], v[73:74], off offset:48
	global_load_dwordx4 v[59:62], v[73:74], off offset:32
	;; [unrolled: 1-line block ×3, first 2 shown]
	global_load_dwordx4 v[67:70], v[73:74], off
	v_cvt_f64_f32_e32 v[48:49], v49
	s_waitcnt vmcnt(0)
	v_fma_f64 v[19:20], v[71:72], v[67:68], v[19:20]
	v_fma_f64 v[17:18], v[48:49], v[67:68], v[17:18]
	v_fma_f64 v[19:20], -v[48:49], v[69:70], v[19:20]
	v_fma_f64 v[17:18], v[71:72], v[69:70], v[17:18]
	v_cvt_f64_f32_e32 v[48:49], v50
	v_cvt_f64_f32_e32 v[50:51], v51
	v_fma_f64 v[19:20], v[48:49], v[63:64], v[19:20]
	v_fma_f64 v[17:18], v[50:51], v[63:64], v[17:18]
	v_fma_f64 v[19:20], -v[50:51], v[65:66], v[19:20]
	v_fma_f64 v[17:18], v[48:49], v[65:66], v[17:18]
	v_cvt_f64_f32_e32 v[48:49], v44
	v_cvt_f64_f32_e32 v[44:45], v45
	;; [unrolled: 6-line block ×7, first 2 shown]
	v_fma_f64 v[15:16], v[17:18], v[55:56], v[15:16]
	v_fma_f64 v[13:14], v[19:20], v[55:56], v[13:14]
	v_fma_f64 v[73:74], -v[19:20], v[57:58], v[15:16]
	v_fma_f64 v[75:76], v[17:18], v[57:58], v[13:14]
	global_load_dwordx4 v[13:16], v[32:33], off offset:112
	global_load_dwordx4 v[17:20], v[32:33], off offset:96
	;; [unrolled: 1-line block ×4, first 2 shown]
	s_waitcnt vmcnt(0)
	v_cvt_f64_f32_e32 v[44:45], v40
	v_cvt_f64_f32_e32 v[40:41], v41
	v_fma_f64 v[11:12], v[44:45], v[67:68], v[11:12]
	v_fma_f64 v[9:10], v[40:41], v[67:68], v[9:10]
	v_fma_f64 v[11:12], -v[40:41], v[69:70], v[11:12]
	v_fma_f64 v[9:10], v[44:45], v[69:70], v[9:10]
	v_cvt_f64_f32_e32 v[40:41], v42
	v_cvt_f64_f32_e32 v[42:43], v43
	v_fma_f64 v[11:12], v[40:41], v[63:64], v[11:12]
	v_fma_f64 v[9:10], v[42:43], v[63:64], v[9:10]
	v_fma_f64 v[11:12], -v[42:43], v[65:66], v[11:12]
	v_fma_f64 v[9:10], v[40:41], v[65:66], v[9:10]
	;; [unrolled: 6-line block ×4, first 2 shown]
	v_cvt_f64_f32_e32 v[9:10], v17
	v_cvt_f64_f32_e32 v[11:12], v18
	v_fma_f64 v[17:18], v[9:10], v[67:68], v[34:35]
	v_fma_f64 v[17:18], -v[11:12], v[69:70], v[17:18]
	v_fma_f64 v[11:12], v[11:12], v[67:68], v[21:22]
	v_fma_f64 v[9:10], v[9:10], v[69:70], v[11:12]
	v_cvt_f64_f32_e32 v[11:12], v19
	v_cvt_f64_f32_e32 v[19:20], v20
	v_fma_f64 v[17:18], v[11:12], v[63:64], v[17:18]
	v_fma_f64 v[9:10], v[19:20], v[63:64], v[9:10]
	v_fma_f64 v[17:18], -v[19:20], v[65:66], v[17:18]
	v_fma_f64 v[9:10], v[11:12], v[65:66], v[9:10]
	v_cvt_f64_f32_e32 v[11:12], v13
	v_cvt_f64_f32_e32 v[13:14], v14
	v_fma_f64 v[17:18], v[11:12], v[59:60], v[17:18]
	v_fma_f64 v[9:10], v[13:14], v[59:60], v[9:10]
	v_fma_f64 v[17:18], -v[13:14], v[61:62], v[17:18]
	v_cvt_f64_f32_e32 v[13:14], v16
	v_fma_f64 v[9:10], v[11:12], v[61:62], v[9:10]
	v_cvt_f64_f32_e32 v[11:12], v15
	v_fma_f64 v[15:16], v[11:12], v[55:56], v[17:18]
	v_fma_f64 v[9:10], v[13:14], v[55:56], v[9:10]
	v_fma_f64 v[21:22], -v[13:14], v[57:58], v[15:16]
	v_fma_f64 v[59:60], v[11:12], v[57:58], v[9:10]
	global_load_dword v9, v[23:24], off offset:64
	s_waitcnt vmcnt(0)
	v_subrev_u32_e32 v9, s16, v9
	v_lshlrev_b32_e32 v38, 2, v9
	v_ashrrev_i32_e32 v39, 31, v38
	global_load_dwordx4 v[9:12], v[32:33], off offset:2096
	global_load_dwordx4 v[13:16], v[32:33], off offset:2080
	;; [unrolled: 1-line block ×4, first 2 shown]
	v_lshlrev_b64 v[38:39], 4, v[38:39]
	v_add_co_u32_e32 v63, vcc, s6, v38
	v_addc_co_u32_e32 v64, vcc, v54, v39, vcc
	global_load_dwordx4 v[38:41], v[63:64], off offset:48
	global_load_dwordx4 v[42:45], v[63:64], off offset:32
	;; [unrolled: 1-line block ×3, first 2 shown]
	global_load_dwordx4 v[55:58], v[63:64], off
	s_waitcnt vmcnt(4)
	v_cvt_f64_f32_e32 v[61:62], v34
	v_cvt_f64_f32_e32 v[34:35], v35
	s_waitcnt vmcnt(0)
	v_fma_f64 v[50:51], v[61:62], v[55:56], v[50:51]
	v_fma_f64 v[50:51], -v[34:35], v[57:58], v[50:51]
	v_fma_f64 v[34:35], v[34:35], v[55:56], v[71:72]
	v_fma_f64 v[34:35], v[61:62], v[57:58], v[34:35]
	v_cvt_f64_f32_e32 v[61:62], v36
	v_cvt_f64_f32_e32 v[36:37], v37
	v_fma_f64 v[50:51], v[61:62], v[46:47], v[50:51]
	v_fma_f64 v[34:35], v[36:37], v[46:47], v[34:35]
	v_fma_f64 v[50:51], -v[36:37], v[48:49], v[50:51]
	v_cvt_f64_f32_e32 v[36:37], v17
	v_cvt_f64_f32_e32 v[17:18], v18
	v_fma_f64 v[34:35], v[61:62], v[48:49], v[34:35]
	v_fma_f64 v[50:51], v[36:37], v[42:43], v[50:51]
	v_fma_f64 v[50:51], -v[17:18], v[44:45], v[50:51]
	v_fma_f64 v[17:18], v[17:18], v[42:43], v[34:35]
	v_cvt_f64_f32_e32 v[34:35], v19
	v_cvt_f64_f32_e32 v[19:20], v20
	v_fma_f64 v[17:18], v[36:37], v[44:45], v[17:18]
	v_fma_f64 v[36:37], v[34:35], v[38:39], v[50:51]
	;; [unrolled: 1-line block ×3, first 2 shown]
	v_fma_f64 v[50:51], -v[19:20], v[40:41], v[36:37]
	v_fma_f64 v[71:72], v[34:35], v[40:41], v[17:18]
	v_cvt_f64_f32_e32 v[17:18], v13
	v_cvt_f64_f32_e32 v[13:14], v14
	v_fma_f64 v[19:20], v[17:18], v[55:56], v[73:74]
	v_fma_f64 v[19:20], -v[13:14], v[57:58], v[19:20]
	v_fma_f64 v[13:14], v[13:14], v[55:56], v[75:76]
	v_fma_f64 v[13:14], v[17:18], v[57:58], v[13:14]
	v_cvt_f64_f32_e32 v[17:18], v15
	v_cvt_f64_f32_e32 v[15:16], v16
	v_fma_f64 v[19:20], v[17:18], v[46:47], v[19:20]
	v_fma_f64 v[13:14], v[15:16], v[46:47], v[13:14]
	v_fma_f64 v[19:20], -v[15:16], v[48:49], v[19:20]
	v_cvt_f64_f32_e32 v[15:16], v9
	v_cvt_f64_f32_e32 v[9:10], v10
	v_fma_f64 v[13:14], v[17:18], v[48:49], v[13:14]
	v_fma_f64 v[17:18], v[15:16], v[42:43], v[19:20]
	v_fma_f64 v[17:18], -v[9:10], v[44:45], v[17:18]
	v_fma_f64 v[9:10], v[9:10], v[42:43], v[13:14]
	v_cvt_f64_f32_e32 v[13:14], v11
	v_cvt_f64_f32_e32 v[11:12], v12
	v_fma_f64 v[9:10], v[15:16], v[44:45], v[9:10]
	v_fma_f64 v[15:16], v[13:14], v[38:39], v[17:18]
	v_fma_f64 v[9:10], v[11:12], v[38:39], v[9:10]
	v_fma_f64 v[73:74], -v[11:12], v[40:41], v[15:16]
	v_fma_f64 v[75:76], v[13:14], v[40:41], v[9:10]
	global_load_dwordx4 v[9:12], v[32:33], off offset:2160
	global_load_dwordx4 v[13:16], v[32:33], off offset:2144
	;; [unrolled: 1-line block ×4, first 2 shown]
	s_waitcnt vmcnt(0)
	v_cvt_f64_f32_e32 v[61:62], v34
	v_cvt_f64_f32_e32 v[34:35], v35
	v_fma_f64 v[63:64], v[61:62], v[55:56], v[77:78]
	v_fma_f64 v[63:64], -v[34:35], v[57:58], v[63:64]
	v_fma_f64 v[34:35], v[34:35], v[55:56], v[79:80]
	v_fma_f64 v[34:35], v[61:62], v[57:58], v[34:35]
	v_cvt_f64_f32_e32 v[61:62], v36
	v_cvt_f64_f32_e32 v[36:37], v37
	v_fma_f64 v[63:64], v[61:62], v[46:47], v[63:64]
	v_fma_f64 v[34:35], v[36:37], v[46:47], v[34:35]
	v_fma_f64 v[63:64], -v[36:37], v[48:49], v[63:64]
	v_cvt_f64_f32_e32 v[36:37], v17
	v_cvt_f64_f32_e32 v[17:18], v18
	v_fma_f64 v[34:35], v[61:62], v[48:49], v[34:35]
	v_fma_f64 v[61:62], v[36:37], v[42:43], v[63:64]
	v_fma_f64 v[61:62], -v[17:18], v[44:45], v[61:62]
	v_fma_f64 v[17:18], v[17:18], v[42:43], v[34:35]
	v_cvt_f64_f32_e32 v[34:35], v19
	v_cvt_f64_f32_e32 v[19:20], v20
	v_fma_f64 v[17:18], v[36:37], v[44:45], v[17:18]
	v_fma_f64 v[36:37], v[34:35], v[38:39], v[61:62]
	;; [unrolled: 1-line block ×3, first 2 shown]
	v_fma_f64 v[77:78], -v[19:20], v[40:41], v[36:37]
	v_fma_f64 v[79:80], v[34:35], v[40:41], v[17:18]
	v_cvt_f64_f32_e32 v[17:18], v13
	v_cvt_f64_f32_e32 v[13:14], v14
	v_add_co_u32_e32 v34, vcc, s17, v32
	v_fma_f64 v[19:20], v[17:18], v[55:56], v[21:22]
	v_addc_co_u32_e32 v35, vcc, 0, v33, vcc
	v_fma_f64 v[19:20], -v[13:14], v[57:58], v[19:20]
	v_fma_f64 v[13:14], v[13:14], v[55:56], v[59:60]
	v_fma_f64 v[13:14], v[17:18], v[57:58], v[13:14]
	v_cvt_f64_f32_e32 v[17:18], v15
	v_cvt_f64_f32_e32 v[15:16], v16
	v_fma_f64 v[19:20], v[17:18], v[46:47], v[19:20]
	v_fma_f64 v[13:14], v[15:16], v[46:47], v[13:14]
	v_fma_f64 v[19:20], -v[15:16], v[48:49], v[19:20]
	v_cvt_f64_f32_e32 v[15:16], v9
	v_cvt_f64_f32_e32 v[9:10], v10
	v_fma_f64 v[13:14], v[17:18], v[48:49], v[13:14]
	v_fma_f64 v[17:18], v[15:16], v[42:43], v[19:20]
	v_fma_f64 v[17:18], -v[9:10], v[44:45], v[17:18]
	v_fma_f64 v[9:10], v[9:10], v[42:43], v[13:14]
	v_cvt_f64_f32_e32 v[13:14], v11
	v_cvt_f64_f32_e32 v[11:12], v12
	v_fma_f64 v[9:10], v[15:16], v[44:45], v[9:10]
	v_fma_f64 v[15:16], v[13:14], v[38:39], v[17:18]
	v_fma_f64 v[9:10], v[11:12], v[38:39], v[9:10]
	v_fma_f64 v[21:22], -v[11:12], v[40:41], v[15:16]
	v_fma_f64 v[81:82], v[13:14], v[40:41], v[9:10]
	global_load_dword v9, v[23:24], off offset:128
	s_waitcnt vmcnt(0)
	v_subrev_u32_e32 v9, s16, v9
	v_lshlrev_b32_e32 v40, 2, v9
	v_ashrrev_i32_e32 v41, 31, v40
	v_lshlrev_b64 v[40:41], 4, v[40:41]
	global_load_dwordx4 v[9:12], v[34:35], off
	global_load_dwordx4 v[13:16], v[34:35], off offset:48
	global_load_dwordx4 v[17:20], v[34:35], off offset:32
	global_load_dwordx4 v[36:39], v[34:35], off offset:16
	v_add_co_u32_e32 v40, vcc, s6, v40
	v_addc_co_u32_e32 v41, vcc, v54, v41, vcc
	global_load_dwordx4 v[55:58], v[40:41], off offset:48
	global_load_dwordx4 v[59:62], v[40:41], off offset:32
	;; [unrolled: 1-line block ×3, first 2 shown]
	global_load_dwordx4 v[67:70], v[40:41], off
	s_waitcnt vmcnt(7)
	v_cvt_f64_f32_e32 v[42:43], v9
	v_cvt_f64_f32_e32 v[9:10], v10
	s_waitcnt vmcnt(0)
	v_fma_f64 v[40:41], v[42:43], v[67:68], v[50:51]
	v_fma_f64 v[40:41], -v[9:10], v[69:70], v[40:41]
	v_fma_f64 v[9:10], v[9:10], v[67:68], v[71:72]
	v_fma_f64 v[9:10], v[42:43], v[69:70], v[9:10]
	v_cvt_f64_f32_e32 v[42:43], v11
	v_cvt_f64_f32_e32 v[11:12], v12
	v_fma_f64 v[40:41], v[42:43], v[63:64], v[40:41]
	v_fma_f64 v[9:10], v[11:12], v[63:64], v[9:10]
	v_fma_f64 v[40:41], -v[11:12], v[65:66], v[40:41]
	v_cvt_f64_f32_e32 v[11:12], v36
	v_cvt_f64_f32_e32 v[36:37], v37
	v_fma_f64 v[9:10], v[42:43], v[65:66], v[9:10]
	v_fma_f64 v[40:41], v[11:12], v[59:60], v[40:41]
	;; [unrolled: 1-line block ×3, first 2 shown]
	v_fma_f64 v[40:41], -v[36:37], v[61:62], v[40:41]
	v_cvt_f64_f32_e32 v[36:37], v39
	v_fma_f64 v[9:10], v[11:12], v[61:62], v[9:10]
	v_cvt_f64_f32_e32 v[11:12], v38
	v_fma_f64 v[38:39], v[11:12], v[55:56], v[40:41]
	v_fma_f64 v[9:10], v[36:37], v[55:56], v[9:10]
	v_fma_f64 v[48:49], -v[36:37], v[57:58], v[38:39]
	v_fma_f64 v[50:51], v[11:12], v[57:58], v[9:10]
	v_cvt_f64_f32_e32 v[9:10], v17
	v_cvt_f64_f32_e32 v[11:12], v18
	v_fma_f64 v[17:18], v[9:10], v[67:68], v[73:74]
	v_fma_f64 v[17:18], -v[11:12], v[69:70], v[17:18]
	v_fma_f64 v[11:12], v[11:12], v[67:68], v[75:76]
	v_fma_f64 v[9:10], v[9:10], v[69:70], v[11:12]
	v_cvt_f64_f32_e32 v[11:12], v19
	v_cvt_f64_f32_e32 v[19:20], v20
	v_fma_f64 v[17:18], v[11:12], v[63:64], v[17:18]
	v_fma_f64 v[9:10], v[19:20], v[63:64], v[9:10]
	v_fma_f64 v[17:18], -v[19:20], v[65:66], v[17:18]
	v_fma_f64 v[9:10], v[11:12], v[65:66], v[9:10]
	v_cvt_f64_f32_e32 v[11:12], v13
	v_cvt_f64_f32_e32 v[13:14], v14
	v_fma_f64 v[17:18], v[11:12], v[59:60], v[17:18]
	v_fma_f64 v[9:10], v[13:14], v[59:60], v[9:10]
	v_fma_f64 v[17:18], -v[13:14], v[61:62], v[17:18]
	v_cvt_f64_f32_e32 v[13:14], v16
	v_fma_f64 v[9:10], v[11:12], v[61:62], v[9:10]
	v_cvt_f64_f32_e32 v[11:12], v15
	v_fma_f64 v[15:16], v[11:12], v[55:56], v[17:18]
	v_fma_f64 v[9:10], v[13:14], v[55:56], v[9:10]
	v_fma_f64 v[44:45], -v[13:14], v[57:58], v[15:16]
	v_fma_f64 v[46:47], v[11:12], v[57:58], v[9:10]
	global_load_dwordx4 v[9:12], v[34:35], off offset:112
	global_load_dwordx4 v[13:16], v[34:35], off offset:96
	;; [unrolled: 1-line block ×4, first 2 shown]
	s_waitcnt vmcnt(0)
	v_cvt_f64_f32_e32 v[40:41], v36
	v_cvt_f64_f32_e32 v[36:37], v37
	v_fma_f64 v[42:43], v[40:41], v[67:68], v[77:78]
	v_fma_f64 v[42:43], -v[36:37], v[69:70], v[42:43]
	v_fma_f64 v[36:37], v[36:37], v[67:68], v[79:80]
	v_fma_f64 v[36:37], v[40:41], v[69:70], v[36:37]
	v_cvt_f64_f32_e32 v[40:41], v38
	v_cvt_f64_f32_e32 v[38:39], v39
	v_fma_f64 v[42:43], v[40:41], v[63:64], v[42:43]
	v_fma_f64 v[36:37], v[38:39], v[63:64], v[36:37]
	v_fma_f64 v[42:43], -v[38:39], v[65:66], v[42:43]
	v_cvt_f64_f32_e32 v[38:39], v17
	v_cvt_f64_f32_e32 v[17:18], v18
	v_fma_f64 v[36:37], v[40:41], v[65:66], v[36:37]
	v_fma_f64 v[40:41], v[38:39], v[59:60], v[42:43]
	v_fma_f64 v[40:41], -v[17:18], v[61:62], v[40:41]
	v_fma_f64 v[17:18], v[17:18], v[59:60], v[36:37]
	v_cvt_f64_f32_e32 v[36:37], v19
	v_cvt_f64_f32_e32 v[19:20], v20
	v_fma_f64 v[17:18], v[38:39], v[61:62], v[17:18]
	v_fma_f64 v[38:39], v[36:37], v[55:56], v[40:41]
	;; [unrolled: 1-line block ×3, first 2 shown]
	v_fma_f64 v[40:41], -v[19:20], v[57:58], v[38:39]
	v_fma_f64 v[42:43], v[36:37], v[57:58], v[17:18]
	v_cvt_f64_f32_e32 v[17:18], v13
	v_cvt_f64_f32_e32 v[13:14], v14
	v_fma_f64 v[19:20], v[17:18], v[67:68], v[21:22]
	v_fma_f64 v[19:20], -v[13:14], v[69:70], v[19:20]
	v_fma_f64 v[13:14], v[13:14], v[67:68], v[81:82]
	v_fma_f64 v[13:14], v[17:18], v[69:70], v[13:14]
	v_cvt_f64_f32_e32 v[17:18], v15
	v_cvt_f64_f32_e32 v[15:16], v16
	v_fma_f64 v[19:20], v[17:18], v[63:64], v[19:20]
	v_fma_f64 v[13:14], v[15:16], v[63:64], v[13:14]
	v_fma_f64 v[19:20], -v[15:16], v[65:66], v[19:20]
	v_cvt_f64_f32_e32 v[15:16], v9
	v_cvt_f64_f32_e32 v[9:10], v10
	v_fma_f64 v[13:14], v[17:18], v[65:66], v[13:14]
	v_fma_f64 v[17:18], v[15:16], v[59:60], v[19:20]
	v_fma_f64 v[17:18], -v[9:10], v[61:62], v[17:18]
	v_fma_f64 v[9:10], v[9:10], v[59:60], v[13:14]
	v_cvt_f64_f32_e32 v[13:14], v11
	v_cvt_f64_f32_e32 v[11:12], v12
	v_fma_f64 v[9:10], v[15:16], v[61:62], v[9:10]
	v_fma_f64 v[15:16], v[13:14], v[55:56], v[17:18]
	;; [unrolled: 1-line block ×3, first 2 shown]
	v_fma_f64 v[36:37], -v[11:12], v[57:58], v[15:16]
	v_fma_f64 v[38:39], v[13:14], v[57:58], v[9:10]
	global_load_dword v9, v[23:24], off offset:192
	s_waitcnt vmcnt(0)
	v_subrev_u32_e32 v9, s16, v9
	v_lshlrev_b32_e32 v21, 2, v9
	v_ashrrev_i32_e32 v22, 31, v21
	global_load_dwordx4 v[9:12], v[34:35], off offset:2096
	global_load_dwordx4 v[13:16], v[34:35], off offset:2080
	;; [unrolled: 1-line block ×4, first 2 shown]
	v_lshlrev_b64 v[21:22], 4, v[21:22]
	v_add_co_u32_e32 v73, vcc, s6, v21
	v_addc_co_u32_e32 v74, vcc, v54, v22, vcc
	global_load_dwordx4 v[21:24], v[73:74], off offset:48
	global_load_dwordx4 v[59:62], v[73:74], off offset:32
	;; [unrolled: 1-line block ×3, first 2 shown]
	global_load_dwordx4 v[67:70], v[73:74], off
	v_add_co_u32_e32 v32, vcc, 0x2000, v32
	v_addc_co_u32_e32 v33, vcc, 0, v33, vcc
	s_waitcnt vmcnt(4)
	v_cvt_f64_f32_e32 v[71:72], v55
	v_cvt_f64_f32_e32 v[55:56], v56
	s_waitcnt vmcnt(0)
	v_fma_f64 v[48:49], v[71:72], v[67:68], v[48:49]
	v_fma_f64 v[50:51], v[55:56], v[67:68], v[50:51]
	v_fma_f64 v[48:49], -v[55:56], v[69:70], v[48:49]
	v_fma_f64 v[50:51], v[71:72], v[69:70], v[50:51]
	v_cvt_f64_f32_e32 v[55:56], v57
	v_cvt_f64_f32_e32 v[57:58], v58
	v_fma_f64 v[48:49], v[55:56], v[63:64], v[48:49]
	v_fma_f64 v[50:51], v[57:58], v[63:64], v[50:51]
	v_fma_f64 v[48:49], -v[57:58], v[65:66], v[48:49]
	v_fma_f64 v[50:51], v[55:56], v[65:66], v[50:51]
	v_cvt_f64_f32_e32 v[55:56], v17
	v_cvt_f64_f32_e32 v[17:18], v18
	v_fma_f64 v[48:49], v[55:56], v[59:60], v[48:49]
	v_fma_f64 v[48:49], -v[17:18], v[61:62], v[48:49]
	v_fma_f64 v[17:18], v[17:18], v[59:60], v[50:51]
	v_cvt_f64_f32_e32 v[50:51], v19
	v_fma_f64 v[17:18], v[55:56], v[61:62], v[17:18]
	v_cvt_f64_f32_e32 v[55:56], v20
	;; [unrolled: 2-line block ×3, first 2 shown]
	v_cvt_f64_f32_e32 v[13:14], v14
	v_fma_f64 v[44:45], v[48:49], v[67:68], v[44:45]
	v_fma_f64 v[17:18], v[55:56], v[21:22], v[17:18]
	v_fma_f64 v[19:20], -v[55:56], v[23:24], v[19:20]
	v_fma_f64 v[44:45], -v[13:14], v[69:70], v[44:45]
	v_fma_f64 v[13:14], v[13:14], v[67:68], v[46:47]
	v_cvt_f64_f32_e32 v[46:47], v15
	v_cvt_f64_f32_e32 v[15:16], v16
	v_fma_f64 v[17:18], v[50:51], v[23:24], v[17:18]
	v_fma_f64 v[44:45], v[46:47], v[63:64], v[44:45]
	;; [unrolled: 1-line block ×3, first 2 shown]
	v_fma_f64 v[44:45], -v[15:16], v[65:66], v[44:45]
	v_fma_f64 v[13:14], v[15:16], v[63:64], v[13:14]
	v_cvt_f64_f32_e32 v[15:16], v9
	v_cvt_f64_f32_e32 v[9:10], v10
	v_fma_f64 v[44:45], v[15:16], v[59:60], v[44:45]
	v_fma_f64 v[13:14], v[46:47], v[65:66], v[13:14]
	v_fma_f64 v[44:45], -v[9:10], v[61:62], v[44:45]
	v_fma_f64 v[9:10], v[9:10], v[59:60], v[13:14]
	v_cvt_f64_f32_e32 v[13:14], v11
	v_cvt_f64_f32_e32 v[11:12], v12
	v_fma_f64 v[9:10], v[15:16], v[61:62], v[9:10]
	v_fma_f64 v[15:16], v[13:14], v[21:22], v[44:45]
	;; [unrolled: 1-line block ×3, first 2 shown]
	v_fma_f64 v[15:16], -v[11:12], v[23:24], v[15:16]
	v_fma_f64 v[13:14], v[13:14], v[23:24], v[9:10]
	global_load_dwordx4 v[44:47], v[34:35], off offset:2160
	global_load_dwordx4 v[48:51], v[34:35], off offset:2144
	;; [unrolled: 1-line block ×4, first 2 shown]
	s_waitcnt vmcnt(0)
	v_cvt_f64_f32_e32 v[34:35], v55
	v_cvt_f64_f32_e32 v[55:56], v56
	v_fma_f64 v[40:41], v[34:35], v[67:68], v[40:41]
	v_fma_f64 v[42:43], v[55:56], v[67:68], v[42:43]
	v_fma_f64 v[40:41], -v[55:56], v[69:70], v[40:41]
	v_fma_f64 v[34:35], v[34:35], v[69:70], v[42:43]
	v_cvt_f64_f32_e32 v[42:43], v57
	v_cvt_f64_f32_e32 v[55:56], v58
	v_fma_f64 v[40:41], v[42:43], v[63:64], v[40:41]
	v_fma_f64 v[34:35], v[55:56], v[63:64], v[34:35]
	v_fma_f64 v[40:41], -v[55:56], v[65:66], v[40:41]
	v_fma_f64 v[34:35], v[42:43], v[65:66], v[34:35]
	v_cvt_f64_f32_e32 v[42:43], v9
	v_cvt_f64_f32_e32 v[9:10], v10
	v_fma_f64 v[40:41], v[42:43], v[59:60], v[40:41]
	v_fma_f64 v[40:41], -v[9:10], v[61:62], v[40:41]
	v_fma_f64 v[9:10], v[9:10], v[59:60], v[34:35]
	v_cvt_f64_f32_e32 v[34:35], v11
	v_fma_f64 v[9:10], v[42:43], v[61:62], v[9:10]
	v_cvt_f64_f32_e32 v[42:43], v12
	;; [unrolled: 2-line block ×3, first 2 shown]
	v_fma_f64 v[38:39], v[40:41], v[67:68], v[38:39]
	v_fma_f64 v[9:10], v[42:43], v[21:22], v[9:10]
	v_fma_f64 v[11:12], -v[42:43], v[23:24], v[11:12]
	v_cvt_f64_f32_e32 v[42:43], v47
	v_fma_f64 v[9:10], v[34:35], v[23:24], v[9:10]
	v_cvt_f64_f32_e32 v[34:35], v48
	v_fma_f64 v[36:37], v[34:35], v[67:68], v[36:37]
	v_fma_f64 v[34:35], v[34:35], v[69:70], v[38:39]
	v_cvt_f64_f32_e32 v[38:39], v50
	v_fma_f64 v[36:37], -v[40:41], v[69:70], v[36:37]
	v_cvt_f64_f32_e32 v[40:41], v51
	v_fma_f64 v[34:35], v[40:41], v[63:64], v[34:35]
	v_fma_f64 v[36:37], v[38:39], v[63:64], v[36:37]
	;; [unrolled: 1-line block ×3, first 2 shown]
	v_cvt_f64_f32_e32 v[38:39], v44
	v_fma_f64 v[36:37], -v[40:41], v[65:66], v[36:37]
	v_cvt_f64_f32_e32 v[40:41], v45
	v_fma_f64 v[34:35], v[40:41], v[59:60], v[34:35]
	v_fma_f64 v[36:37], v[38:39], v[59:60], v[36:37]
	;; [unrolled: 1-line block ×3, first 2 shown]
	v_fma_f64 v[36:37], -v[40:41], v[61:62], v[36:37]
	v_cvt_f64_f32_e32 v[40:41], v46
	v_fma_f64 v[34:35], v[40:41], v[21:22], v[36:37]
	v_fma_f64 v[21:22], v[42:43], v[21:22], v[38:39]
	v_fma_f64 v[34:35], -v[42:43], v[23:24], v[34:35]
	v_fma_f64 v[21:22], v[40:41], v[23:24], v[21:22]
	s_andn2_b64 exec, exec, s[14:15]
	s_cbranch_execnz .LBB167_19
; %bb.20:
	s_or_b64 exec, exec, s[14:15]
.LBB167_21:
	s_or_b64 exec, exec, s[10:11]
.LBB167_22:
	s_or_b64 exec, exec, s[8:9]
	s_cbranch_execz .LBB167_24
	s_branch .LBB167_35
.LBB167_23:
                                        ; implicit-def: $vgpr17_vgpr18
                                        ; implicit-def: $vgpr19_vgpr20
                                        ; implicit-def: $vgpr13_vgpr14
                                        ; implicit-def: $vgpr15_vgpr16
                                        ; implicit-def: $vgpr9_vgpr10
                                        ; implicit-def: $vgpr11_vgpr12
                                        ; implicit-def: $vgpr21_vgpr22
                                        ; implicit-def: $vgpr34_vgpr35
.LBB167_24:
	v_mov_b32_e32 v17, 0
	v_mov_b32_e32 v19, 0
	;; [unrolled: 1-line block ×16, first 2 shown]
	s_and_saveexec_b64 s[2:3], s[0:1]
	s_cbranch_execz .LBB167_34
; %bb.25:
	v_add_u32_e32 v9, v53, v0
	v_subrev_u32_e32 v9, s16, v9
	v_add_u32_e32 v9, 16, v9
	v_max_i32_e32 v9, v9, v52
	v_not_b32_e32 v10, v53
	v_add3_u32 v9, s16, v9, v10
	v_sub_u32_e32 v23, v9, v0
	v_and_b32_e32 v24, 48, v23
	v_mov_b32_e32 v34, 0
	v_mov_b32_e32 v21, 0
	;; [unrolled: 1-line block ×16, first 2 shown]
	v_cmp_ne_u32_e32 vcc, 48, v24
	s_and_saveexec_b64 s[8:9], vcc
	s_cbranch_execz .LBB167_29
; %bb.26:
	v_lshrrev_b32_e32 v9, 4, v23
	v_add_u32_e32 v9, 1, v9
	v_and_b32_e32 v9, 3, v9
	v_sub_u32_e32 v24, 0, v9
	v_mov_b32_e32 v17, 0
	v_mov_b32_e32 v19, 0
	;; [unrolled: 1-line block ×9, first 2 shown]
	s_mov_b64 s[10:11], 0
	v_mov_b32_e32 v30, s13
	v_mov_b32_e32 v20, 0
	;; [unrolled: 1-line block ×9, first 2 shown]
.LBB167_27:                             ; =>This Inner Loop Header: Depth=1
	global_load_dwordx4 v[36:39], v[28:29], off
	global_load_dwordx4 v[40:43], v[28:29], off offset:16
	global_load_dwordx4 v[44:47], v[28:29], off offset:32
	v_ashrrev_i32_e32 v27, 31, v26
	v_lshlrev_b64 v[32:33], 2, v[26:27]
	v_add_co_u32_e64 v24, s[0:1], 1, v24
	v_add_co_u32_e32 v32, vcc, s12, v32
	v_addc_co_u32_e32 v33, vcc, v30, v33, vcc
	global_load_dword v27, v[32:33], off
	s_or_b64 s[10:11], s[0:1], s[10:11]
	v_add_u32_e32 v26, 16, v26
	s_waitcnt vmcnt(3)
	v_cvt_f64_f32_e32 v[48:49], v36
	v_cvt_f64_f32_e32 v[50:51], v37
	;; [unrolled: 1-line block ×4, first 2 shown]
	global_load_dwordx4 v[36:39], v[28:29], off offset:48
	s_waitcnt vmcnt(3)
	v_cvt_f64_f32_e32 v[57:58], v40
	v_cvt_f64_f32_e32 v[40:41], v41
	;; [unrolled: 1-line block ×4, first 2 shown]
	s_waitcnt vmcnt(2)
	v_cvt_f64_f32_e32 v[61:62], v44
	v_cvt_f64_f32_e32 v[63:64], v46
	s_waitcnt vmcnt(1)
	v_subrev_u32_e32 v27, s16, v27
	v_lshlrev_b32_e32 v32, 2, v27
	v_ashrrev_i32_e32 v33, 31, v32
	v_lshlrev_b64 v[32:33], 4, v[32:33]
	v_cvt_f64_f32_e32 v[46:47], v47
	v_add_co_u32_e32 v32, vcc, s6, v32
	v_addc_co_u32_e32 v33, vcc, v31, v33, vcc
	v_cvt_f64_f32_e32 v[44:45], v45
	s_waitcnt vmcnt(0)
	v_cvt_f64_f32_e32 v[65:66], v36
	v_cvt_f64_f32_e32 v[67:68], v37
	v_cvt_f64_f32_e32 v[69:70], v38
	v_cvt_f64_f32_e32 v[71:72], v39
	global_load_dwordx4 v[36:39], v[32:33], off
	s_waitcnt vmcnt(0)
	v_fma_f64 v[17:18], v[50:51], v[36:37], v[17:18]
	v_fma_f64 v[11:12], v[57:58], v[36:37], v[11:12]
	;; [unrolled: 1-line block ×9, first 2 shown]
	v_fma_f64 v[40:41], -v[40:41], v[38:39], v[11:12]
	v_fma_f64 v[48:49], v[57:58], v[38:39], v[9:10]
	global_load_dwordx4 v[9:12], v[28:29], off offset:64
	v_fma_f64 v[19:20], -v[50:51], v[38:39], v[19:20]
	v_fma_f64 v[15:16], -v[55:56], v[38:39], v[15:16]
	v_fma_f64 v[13:14], v[53:54], v[38:39], v[13:14]
	v_fma_f64 v[34:35], -v[42:43], v[38:39], v[34:35]
	v_fma_f64 v[21:22], v[59:60], v[38:39], v[21:22]
	s_waitcnt vmcnt(0)
	v_cvt_f64_f32_e32 v[36:37], v9
	v_cvt_f64_f32_e32 v[38:39], v10
	;; [unrolled: 1-line block ×4, first 2 shown]
	global_load_dwordx4 v[9:12], v[28:29], off offset:80
	s_waitcnt vmcnt(0)
	v_cvt_f64_f32_e32 v[53:54], v9
	v_cvt_f64_f32_e32 v[55:56], v10
	;; [unrolled: 1-line block ×4, first 2 shown]
	global_load_dwordx4 v[9:12], v[32:33], off offset:16
	s_waitcnt vmcnt(0)
	v_fma_f64 v[19:20], v[61:62], v[9:10], v[19:20]
	v_fma_f64 v[15:16], v[63:64], v[9:10], v[15:16]
	v_fma_f64 v[13:14], v[46:47], v[9:10], v[13:14]
	v_fma_f64 v[17:18], v[44:45], v[9:10], v[17:18]
	v_fma_f64 v[34:35], v[69:70], v[9:10], v[34:35]
	v_fma_f64 v[19:20], -v[44:45], v[11:12], v[19:20]
	v_fma_f64 v[44:45], -v[46:47], v[11:12], v[15:16]
	v_fma_f64 v[46:47], v[63:64], v[11:12], v[13:14]
	v_fma_f64 v[13:14], v[65:66], v[9:10], v[40:41]
	;; [unrolled: 1-line block ×5, first 2 shown]
	v_fma_f64 v[34:35], -v[71:72], v[11:12], v[34:35]
	v_fma_f64 v[40:41], -v[67:68], v[11:12], v[13:14]
	v_fma_f64 v[48:49], v[65:66], v[11:12], v[15:16]
	global_load_dwordx4 v[13:16], v[28:29], off offset:96
	v_fma_f64 v[63:64], v[69:70], v[11:12], v[9:10]
	global_load_dwordx4 v[9:12], v[28:29], off offset:112
	v_add_co_u32_e32 v28, vcc, 0x800, v28
	v_addc_co_u32_e32 v29, vcc, 0, v29, vcc
	s_waitcnt vmcnt(1)
	v_cvt_f64_f32_e32 v[61:62], v13
	v_cvt_f64_f32_e32 v[13:14], v14
	s_waitcnt vmcnt(0)
	v_cvt_f64_f32_e32 v[67:68], v9
	v_cvt_f64_f32_e32 v[69:70], v10
	;; [unrolled: 1-line block ×4, first 2 shown]
	global_load_dwordx4 v[9:12], v[32:33], off offset:32
	v_cvt_f64_f32_e32 v[65:66], v15
	v_cvt_f64_f32_e32 v[15:16], v16
	s_waitcnt vmcnt(0)
	v_fma_f64 v[19:20], v[36:37], v[9:10], v[19:20]
	v_fma_f64 v[17:18], v[38:39], v[9:10], v[17:18]
	;; [unrolled: 1-line block ×3, first 2 shown]
	v_fma_f64 v[38:39], -v[38:39], v[11:12], v[19:20]
	v_fma_f64 v[19:20], v[42:43], v[9:10], v[44:45]
	v_fma_f64 v[17:18], v[36:37], v[11:12], v[17:18]
	;; [unrolled: 1-line block ×3, first 2 shown]
	v_fma_f64 v[36:37], -v[50:51], v[11:12], v[19:20]
	v_fma_f64 v[19:20], v[53:54], v[9:10], v[40:41]
	v_fma_f64 v[40:41], v[55:56], v[9:10], v[48:49]
	v_fma_f64 v[44:45], -v[55:56], v[11:12], v[19:20]
	global_load_dwordx4 v[19:22], v[32:33], off offset:48
	v_fma_f64 v[32:33], v[57:58], v[9:10], v[34:35]
	v_fma_f64 v[9:10], v[59:60], v[9:10], v[63:64]
	v_fma_f64 v[34:35], v[53:54], v[11:12], v[40:41]
	v_fma_f64 v[32:33], -v[59:60], v[11:12], v[32:33]
	v_fma_f64 v[9:10], v[57:58], v[11:12], v[9:10]
	s_waitcnt vmcnt(0)
	v_fma_f64 v[11:12], v[61:62], v[19:20], v[38:39]
	v_fma_f64 v[17:18], v[13:14], v[19:20], v[17:18]
	;; [unrolled: 1-line block ×8, first 2 shown]
	v_fma_f64 v[19:20], -v[13:14], v[21:22], v[11:12]
	v_fma_f64 v[17:18], v[61:62], v[21:22], v[17:18]
	v_fma_f64 v[15:16], -v[15:16], v[21:22], v[36:37]
	v_fma_f64 v[13:14], v[65:66], v[21:22], v[38:39]
	v_fma_f64 v[11:12], -v[69:70], v[21:22], v[40:41]
	v_fma_f64 v[9:10], v[67:68], v[21:22], v[34:35]
	v_fma_f64 v[34:35], -v[73:74], v[21:22], v[32:33]
	v_fma_f64 v[21:22], v[71:72], v[21:22], v[42:43]
	s_andn2_b64 exec, exec, s[10:11]
	s_cbranch_execnz .LBB167_27
; %bb.28:
	s_or_b64 exec, exec, s[10:11]
.LBB167_29:
	s_or_b64 exec, exec, s[8:9]
	v_cmp_lt_u32_e32 vcc, 47, v23
	s_and_saveexec_b64 s[8:9], vcc
	s_cbranch_execz .LBB167_33
; %bb.30:
	s_mov_b64 s[10:11], 0
	v_mov_b32_e32 v48, s13
	v_mov_b32_e32 v49, s7
	s_movk_i32 s7, 0x1000
.LBB167_31:                             ; =>This Inner Loop Header: Depth=1
	v_ashrrev_i32_e32 v27, 31, v26
	v_lshlrev_b64 v[23:24], 2, v[26:27]
	v_add_u32_e32 v26, 64, v26
	v_add_co_u32_e32 v23, vcc, s12, v23
	v_addc_co_u32_e32 v24, vcc, v48, v24, vcc
	global_load_dword v27, v[23:24], off
	global_load_dwordx4 v[30:33], v[28:29], off offset:48
	global_load_dwordx4 v[36:39], v[28:29], off offset:32
	;; [unrolled: 1-line block ×3, first 2 shown]
	global_load_dwordx4 v[44:47], v[28:29], off
	v_cmp_ge_i32_e64 s[0:1], v26, v52
	s_or_b64 s[10:11], s[0:1], s[10:11]
	s_waitcnt vmcnt(4)
	v_subrev_u32_e32 v27, s16, v27
	v_lshlrev_b32_e32 v50, 2, v27
	v_ashrrev_i32_e32 v51, 31, v50
	v_lshlrev_b64 v[50:51], 4, v[50:51]
	s_waitcnt vmcnt(0)
	v_cvt_f64_f32_e32 v[69:70], v44
	v_add_co_u32_e32 v50, vcc, s6, v50
	v_addc_co_u32_e32 v51, vcc, v49, v51, vcc
	global_load_dwordx4 v[53:56], v[50:51], off offset:48
	global_load_dwordx4 v[57:60], v[50:51], off offset:32
	;; [unrolled: 1-line block ×3, first 2 shown]
	global_load_dwordx4 v[65:68], v[50:51], off
	v_cvt_f64_f32_e32 v[44:45], v45
	s_waitcnt vmcnt(0)
	v_fma_f64 v[19:20], v[69:70], v[65:66], v[19:20]
	v_fma_f64 v[17:18], v[44:45], v[65:66], v[17:18]
	v_fma_f64 v[19:20], -v[44:45], v[67:68], v[19:20]
	v_cvt_f64_f32_e32 v[44:45], v46
	v_cvt_f64_f32_e32 v[46:47], v47
	v_fma_f64 v[17:18], v[69:70], v[67:68], v[17:18]
	v_fma_f64 v[15:16], v[44:45], v[65:66], v[15:16]
	;; [unrolled: 1-line block ×3, first 2 shown]
	v_fma_f64 v[15:16], -v[46:47], v[67:68], v[15:16]
	v_fma_f64 v[13:14], v[44:45], v[67:68], v[13:14]
	v_cvt_f64_f32_e32 v[44:45], v40
	v_cvt_f64_f32_e32 v[40:41], v41
	v_fma_f64 v[11:12], v[44:45], v[65:66], v[11:12]
	v_fma_f64 v[9:10], v[40:41], v[65:66], v[9:10]
	v_fma_f64 v[11:12], -v[40:41], v[67:68], v[11:12]
	v_cvt_f64_f32_e32 v[40:41], v42
	v_cvt_f64_f32_e32 v[42:43], v43
	v_fma_f64 v[9:10], v[44:45], v[67:68], v[9:10]
	v_fma_f64 v[34:35], v[40:41], v[65:66], v[34:35]
	;; [unrolled: 1-line block ×3, first 2 shown]
	v_fma_f64 v[34:35], -v[42:43], v[67:68], v[34:35]
	v_fma_f64 v[21:22], v[40:41], v[67:68], v[21:22]
	v_cvt_f64_f32_e32 v[40:41], v36
	v_cvt_f64_f32_e32 v[36:37], v37
	v_fma_f64 v[19:20], v[40:41], v[61:62], v[19:20]
	v_fma_f64 v[17:18], v[36:37], v[61:62], v[17:18]
	v_fma_f64 v[42:43], -v[36:37], v[63:64], v[19:20]
	v_fma_f64 v[36:37], v[40:41], v[63:64], v[17:18]
	v_cvt_f64_f32_e32 v[17:18], v38
	v_cvt_f64_f32_e32 v[19:20], v39
	v_fma_f64 v[15:16], v[17:18], v[61:62], v[15:16]
	v_fma_f64 v[13:14], v[19:20], v[61:62], v[13:14]
	v_fma_f64 v[38:39], -v[19:20], v[63:64], v[15:16]
	v_cvt_f64_f32_e32 v[15:16], v31
	v_fma_f64 v[40:41], v[17:18], v[63:64], v[13:14]
	v_cvt_f64_f32_e32 v[13:14], v30
	v_fma_f64 v[9:10], v[15:16], v[61:62], v[9:10]
	v_fma_f64 v[11:12], v[13:14], v[61:62], v[11:12]
	;; [unrolled: 1-line block ×3, first 2 shown]
	v_cvt_f64_f32_e32 v[9:10], v32
	v_fma_f64 v[44:45], -v[15:16], v[63:64], v[11:12]
	v_cvt_f64_f32_e32 v[11:12], v33
	v_fma_f64 v[13:14], v[9:10], v[61:62], v[34:35]
	v_fma_f64 v[34:35], -v[11:12], v[63:64], v[13:14]
	v_fma_f64 v[11:12], v[11:12], v[61:62], v[21:22]
	v_fma_f64 v[21:22], v[9:10], v[63:64], v[11:12]
	global_load_dwordx4 v[9:12], v[28:29], off offset:112
	global_load_dwordx4 v[13:16], v[28:29], off offset:96
	global_load_dwordx4 v[17:20], v[28:29], off offset:80
	global_load_dwordx4 v[30:33], v[28:29], off offset:64
	s_waitcnt vmcnt(0)
	v_cvt_f64_f32_e32 v[50:51], v30
	v_cvt_f64_f32_e32 v[30:31], v31
	v_fma_f64 v[42:43], v[50:51], v[57:58], v[42:43]
	v_fma_f64 v[42:43], -v[30:31], v[59:60], v[42:43]
	v_fma_f64 v[30:31], v[30:31], v[57:58], v[36:37]
	v_cvt_f64_f32_e32 v[36:37], v32
	v_cvt_f64_f32_e32 v[32:33], v33
	v_fma_f64 v[38:39], v[36:37], v[57:58], v[38:39]
	v_fma_f64 v[30:31], v[50:51], v[59:60], v[30:31]
	v_fma_f64 v[38:39], -v[32:33], v[59:60], v[38:39]
	v_fma_f64 v[32:33], v[32:33], v[57:58], v[40:41]
	v_fma_f64 v[32:33], v[36:37], v[59:60], v[32:33]
	v_cvt_f64_f32_e32 v[36:37], v17
	v_cvt_f64_f32_e32 v[17:18], v18
	v_fma_f64 v[40:41], v[36:37], v[57:58], v[44:45]
	v_fma_f64 v[40:41], -v[17:18], v[59:60], v[40:41]
	v_fma_f64 v[17:18], v[17:18], v[57:58], v[46:47]
	v_fma_f64 v[17:18], v[36:37], v[59:60], v[17:18]
	v_cvt_f64_f32_e32 v[36:37], v19
	v_cvt_f64_f32_e32 v[19:20], v20
	v_fma_f64 v[34:35], v[36:37], v[57:58], v[34:35]
	v_fma_f64 v[34:35], -v[19:20], v[59:60], v[34:35]
	v_fma_f64 v[19:20], v[19:20], v[57:58], v[21:22]
	v_cvt_f64_f32_e32 v[21:22], v13
	v_cvt_f64_f32_e32 v[13:14], v14
	v_fma_f64 v[19:20], v[36:37], v[59:60], v[19:20]
	v_fma_f64 v[36:37], v[21:22], v[53:54], v[42:43]
	v_fma_f64 v[46:47], -v[13:14], v[55:56], v[36:37]
	v_fma_f64 v[13:14], v[13:14], v[53:54], v[30:31]
	v_fma_f64 v[21:22], v[21:22], v[55:56], v[13:14]
	v_cvt_f64_f32_e32 v[13:14], v15
	v_cvt_f64_f32_e32 v[15:16], v16
	v_fma_f64 v[30:31], v[13:14], v[53:54], v[38:39]
	v_fma_f64 v[50:51], -v[15:16], v[55:56], v[30:31]
	v_fma_f64 v[15:16], v[15:16], v[53:54], v[32:33]
	v_fma_f64 v[57:58], v[13:14], v[55:56], v[15:16]
	v_cvt_f64_f32_e32 v[13:14], v9
	v_cvt_f64_f32_e32 v[9:10], v10
	;; [unrolled: 6-line block ×3, first 2 shown]
	v_fma_f64 v[13:14], v[9:10], v[53:54], v[34:35]
	v_fma_f64 v[63:64], -v[11:12], v[55:56], v[13:14]
	v_fma_f64 v[11:12], v[11:12], v[53:54], v[19:20]
	v_fma_f64 v[65:66], v[9:10], v[55:56], v[11:12]
	global_load_dword v9, v[23:24], off offset:64
	s_waitcnt vmcnt(0)
	v_subrev_u32_e32 v9, s16, v9
	v_lshlrev_b32_e32 v34, 2, v9
	v_ashrrev_i32_e32 v35, 31, v34
	global_load_dwordx4 v[9:12], v[28:29], off offset:2096
	global_load_dwordx4 v[13:16], v[28:29], off offset:2080
	;; [unrolled: 1-line block ×4, first 2 shown]
	v_lshlrev_b64 v[34:35], 4, v[34:35]
	v_add_co_u32_e32 v69, vcc, s6, v34
	v_addc_co_u32_e32 v70, vcc, v49, v35, vcc
	global_load_dwordx4 v[34:37], v[69:70], off offset:48
	global_load_dwordx4 v[38:41], v[69:70], off offset:32
	;; [unrolled: 1-line block ×3, first 2 shown]
	global_load_dwordx4 v[53:56], v[69:70], off
	s_waitcnt vmcnt(4)
	v_cvt_f64_f32_e32 v[67:68], v30
	v_cvt_f64_f32_e32 v[30:31], v31
	s_waitcnt vmcnt(0)
	v_fma_f64 v[46:47], v[67:68], v[53:54], v[46:47]
	v_fma_f64 v[21:22], v[30:31], v[53:54], v[21:22]
	v_fma_f64 v[46:47], -v[30:31], v[55:56], v[46:47]
	v_cvt_f64_f32_e32 v[30:31], v32
	v_cvt_f64_f32_e32 v[32:33], v33
	v_fma_f64 v[21:22], v[67:68], v[55:56], v[21:22]
	v_fma_f64 v[50:51], v[30:31], v[53:54], v[50:51]
	v_fma_f64 v[50:51], -v[32:33], v[55:56], v[50:51]
	v_fma_f64 v[32:33], v[32:33], v[53:54], v[57:58]
	v_fma_f64 v[30:31], v[30:31], v[55:56], v[32:33]
	v_cvt_f64_f32_e32 v[32:33], v17
	v_cvt_f64_f32_e32 v[17:18], v18
	v_fma_f64 v[57:58], v[32:33], v[53:54], v[59:60]
	v_fma_f64 v[57:58], -v[17:18], v[55:56], v[57:58]
	v_fma_f64 v[17:18], v[17:18], v[53:54], v[61:62]
	v_fma_f64 v[17:18], v[32:33], v[55:56], v[17:18]
	v_cvt_f64_f32_e32 v[32:33], v19
	v_cvt_f64_f32_e32 v[19:20], v20
	;; [unrolled: 6-line block ×6, first 2 shown]
	v_fma_f64 v[13:14], v[9:10], v[42:43], v[59:60]
	v_fma_f64 v[59:60], -v[11:12], v[44:45], v[13:14]
	v_fma_f64 v[11:12], v[11:12], v[42:43], v[19:20]
	v_fma_f64 v[42:43], v[9:10], v[44:45], v[11:12]
	global_load_dwordx4 v[9:12], v[28:29], off offset:2160
	global_load_dwordx4 v[13:16], v[28:29], off offset:2144
	;; [unrolled: 1-line block ×4, first 2 shown]
	s_waitcnt vmcnt(0)
	v_cvt_f64_f32_e32 v[44:45], v30
	v_cvt_f64_f32_e32 v[30:31], v31
	v_fma_f64 v[46:47], v[44:45], v[38:39], v[46:47]
	v_fma_f64 v[21:22], v[30:31], v[38:39], v[21:22]
	v_fma_f64 v[46:47], -v[30:31], v[40:41], v[46:47]
	v_cvt_f64_f32_e32 v[30:31], v32
	v_fma_f64 v[21:22], v[44:45], v[40:41], v[21:22]
	v_cvt_f64_f32_e32 v[32:33], v33
	v_fma_f64 v[44:45], v[30:31], v[38:39], v[50:51]
	v_fma_f64 v[44:45], -v[32:33], v[40:41], v[44:45]
	v_fma_f64 v[32:33], v[32:33], v[38:39], v[53:54]
	v_fma_f64 v[30:31], v[30:31], v[40:41], v[32:33]
	v_cvt_f64_f32_e32 v[32:33], v17
	v_cvt_f64_f32_e32 v[17:18], v18
	v_fma_f64 v[50:51], v[32:33], v[38:39], v[55:56]
	v_fma_f64 v[50:51], -v[17:18], v[40:41], v[50:51]
	v_fma_f64 v[17:18], v[17:18], v[38:39], v[57:58]
	v_fma_f64 v[17:18], v[32:33], v[40:41], v[17:18]
	v_cvt_f64_f32_e32 v[32:33], v19
	;; [unrolled: 6-line block ×4, first 2 shown]
	v_cvt_f64_f32_e32 v[15:16], v16
	v_fma_f64 v[32:33], v[13:14], v[34:35], v[44:45]
	v_fma_f64 v[59:60], -v[15:16], v[36:37], v[32:33]
	v_fma_f64 v[15:16], v[15:16], v[34:35], v[30:31]
	v_add_co_u32_e32 v30, vcc, s7, v28
	v_addc_co_u32_e32 v31, vcc, 0, v29, vcc
	v_fma_f64 v[61:62], v[13:14], v[36:37], v[15:16]
	v_cvt_f64_f32_e32 v[13:14], v9
	v_cvt_f64_f32_e32 v[9:10], v10
	v_fma_f64 v[15:16], v[13:14], v[34:35], v[50:51]
	v_fma_f64 v[50:51], -v[9:10], v[36:37], v[15:16]
	v_fma_f64 v[9:10], v[9:10], v[34:35], v[17:18]
	v_fma_f64 v[63:64], v[13:14], v[36:37], v[9:10]
	v_cvt_f64_f32_e32 v[9:10], v11
	v_cvt_f64_f32_e32 v[11:12], v12
	v_fma_f64 v[13:14], v[9:10], v[34:35], v[53:54]
	v_fma_f64 v[65:66], -v[11:12], v[36:37], v[13:14]
	v_fma_f64 v[11:12], v[11:12], v[34:35], v[19:20]
	v_fma_f64 v[67:68], v[9:10], v[36:37], v[11:12]
	global_load_dword v9, v[23:24], off offset:128
	s_waitcnt vmcnt(0)
	v_subrev_u32_e32 v9, s16, v9
	v_lshlrev_b32_e32 v36, 2, v9
	v_ashrrev_i32_e32 v37, 31, v36
	v_lshlrev_b64 v[36:37], 4, v[36:37]
	global_load_dwordx4 v[9:12], v[30:31], off
	global_load_dwordx4 v[13:16], v[30:31], off offset:48
	global_load_dwordx4 v[17:20], v[30:31], off offset:32
	global_load_dwordx4 v[32:35], v[30:31], off offset:16
	v_add_co_u32_e32 v71, vcc, s6, v36
	v_addc_co_u32_e32 v72, vcc, v49, v37, vcc
	global_load_dwordx4 v[53:56], v[71:72], off offset:48
	global_load_dwordx4 v[36:39], v[71:72], off offset:32
	;; [unrolled: 1-line block ×3, first 2 shown]
	global_load_dwordx4 v[44:47], v[71:72], off
	s_waitcnt vmcnt(7)
	v_cvt_f64_f32_e32 v[69:70], v9
	v_cvt_f64_f32_e32 v[9:10], v10
	s_waitcnt vmcnt(0)
	v_fma_f64 v[57:58], v[69:70], v[44:45], v[57:58]
	v_fma_f64 v[57:58], -v[9:10], v[46:47], v[57:58]
	v_fma_f64 v[9:10], v[9:10], v[44:45], v[21:22]
	v_cvt_f64_f32_e32 v[21:22], v11
	v_cvt_f64_f32_e32 v[11:12], v12
	v_fma_f64 v[59:60], v[21:22], v[44:45], v[59:60]
	v_fma_f64 v[9:10], v[69:70], v[46:47], v[9:10]
	v_fma_f64 v[59:60], -v[11:12], v[46:47], v[59:60]
	v_fma_f64 v[11:12], v[11:12], v[44:45], v[61:62]
	v_fma_f64 v[11:12], v[21:22], v[46:47], v[11:12]
	v_cvt_f64_f32_e32 v[21:22], v32
	v_cvt_f64_f32_e32 v[32:33], v33
	v_fma_f64 v[50:51], v[21:22], v[44:45], v[50:51]
	v_fma_f64 v[50:51], -v[32:33], v[46:47], v[50:51]
	v_fma_f64 v[32:33], v[32:33], v[44:45], v[63:64]
	v_fma_f64 v[21:22], v[21:22], v[46:47], v[32:33]
	v_cvt_f64_f32_e32 v[32:33], v34
	v_cvt_f64_f32_e32 v[34:35], v35
	;; [unrolled: 6-line block ×3, first 2 shown]
	v_fma_f64 v[44:45], v[34:35], v[40:41], v[57:58]
	v_fma_f64 v[9:10], v[17:18], v[40:41], v[9:10]
	v_fma_f64 v[44:45], -v[17:18], v[42:43], v[44:45]
	v_cvt_f64_f32_e32 v[17:18], v20
	v_fma_f64 v[46:47], v[34:35], v[42:43], v[9:10]
	v_cvt_f64_f32_e32 v[9:10], v19
	v_fma_f64 v[11:12], v[17:18], v[40:41], v[11:12]
	v_fma_f64 v[19:20], v[9:10], v[40:41], v[59:60]
	;; [unrolled: 1-line block ×3, first 2 shown]
	v_cvt_f64_f32_e32 v[9:10], v13
	v_cvt_f64_f32_e32 v[11:12], v14
	v_fma_f64 v[57:58], -v[17:18], v[42:43], v[19:20]
	v_fma_f64 v[13:14], v[9:10], v[40:41], v[50:51]
	v_fma_f64 v[50:51], -v[11:12], v[42:43], v[13:14]
	v_fma_f64 v[11:12], v[11:12], v[40:41], v[21:22]
	v_fma_f64 v[21:22], v[9:10], v[42:43], v[11:12]
	v_cvt_f64_f32_e32 v[9:10], v15
	v_cvt_f64_f32_e32 v[11:12], v16
	v_fma_f64 v[13:14], v[9:10], v[40:41], v[61:62]
	v_fma_f64 v[61:62], -v[11:12], v[42:43], v[13:14]
	v_fma_f64 v[11:12], v[11:12], v[40:41], v[32:33]
	v_fma_f64 v[40:41], v[9:10], v[42:43], v[11:12]
	global_load_dwordx4 v[9:12], v[30:31], off offset:112
	global_load_dwordx4 v[13:16], v[30:31], off offset:96
	;; [unrolled: 1-line block ×4, first 2 shown]
	s_waitcnt vmcnt(0)
	v_cvt_f64_f32_e32 v[42:43], v32
	v_cvt_f64_f32_e32 v[32:33], v33
	v_fma_f64 v[44:45], v[42:43], v[36:37], v[44:45]
	v_fma_f64 v[44:45], -v[32:33], v[38:39], v[44:45]
	v_fma_f64 v[32:33], v[32:33], v[36:37], v[46:47]
	v_fma_f64 v[32:33], v[42:43], v[38:39], v[32:33]
	v_cvt_f64_f32_e32 v[42:43], v34
	v_cvt_f64_f32_e32 v[34:35], v35
	v_fma_f64 v[46:47], v[42:43], v[36:37], v[57:58]
	v_fma_f64 v[57:58], -v[34:35], v[38:39], v[46:47]
	v_fma_f64 v[34:35], v[34:35], v[36:37], v[59:60]
	v_fma_f64 v[34:35], v[42:43], v[38:39], v[34:35]
	v_cvt_f64_f32_e32 v[42:43], v17
	v_cvt_f64_f32_e32 v[17:18], v18
	v_fma_f64 v[46:47], v[42:43], v[36:37], v[50:51]
	v_fma_f64 v[50:51], -v[17:18], v[38:39], v[46:47]
	v_fma_f64 v[17:18], v[17:18], v[36:37], v[21:22]
	v_cvt_f64_f32_e32 v[21:22], v19
	v_cvt_f64_f32_e32 v[19:20], v20
	v_fma_f64 v[17:18], v[42:43], v[38:39], v[17:18]
	v_fma_f64 v[42:43], v[21:22], v[36:37], v[61:62]
	v_fma_f64 v[59:60], -v[19:20], v[38:39], v[42:43]
	v_fma_f64 v[19:20], v[19:20], v[36:37], v[40:41]
	v_fma_f64 v[19:20], v[21:22], v[38:39], v[19:20]
	v_cvt_f64_f32_e32 v[21:22], v13
	v_cvt_f64_f32_e32 v[13:14], v14
	v_fma_f64 v[36:37], v[21:22], v[53:54], v[44:45]
	v_fma_f64 v[44:45], -v[13:14], v[55:56], v[36:37]
	v_fma_f64 v[13:14], v[13:14], v[53:54], v[32:33]
	v_fma_f64 v[46:47], v[21:22], v[55:56], v[13:14]
	v_cvt_f64_f32_e32 v[13:14], v15
	v_cvt_f64_f32_e32 v[15:16], v16
	v_fma_f64 v[21:22], v[13:14], v[53:54], v[57:58]
	v_fma_f64 v[40:41], -v[15:16], v[55:56], v[21:22]
	v_fma_f64 v[15:16], v[15:16], v[53:54], v[34:35]
	v_fma_f64 v[42:43], v[13:14], v[55:56], v[15:16]
	v_cvt_f64_f32_e32 v[13:14], v9
	v_cvt_f64_f32_e32 v[9:10], v10
	v_fma_f64 v[15:16], v[13:14], v[53:54], v[50:51]
	v_fma_f64 v[36:37], -v[9:10], v[55:56], v[15:16]
	v_fma_f64 v[9:10], v[9:10], v[53:54], v[17:18]
	v_fma_f64 v[38:39], v[13:14], v[55:56], v[9:10]
	v_cvt_f64_f32_e32 v[9:10], v11
	v_cvt_f64_f32_e32 v[11:12], v12
	v_fma_f64 v[13:14], v[9:10], v[53:54], v[59:60]
	v_fma_f64 v[32:33], -v[11:12], v[55:56], v[13:14]
	v_fma_f64 v[11:12], v[11:12], v[53:54], v[19:20]
	v_fma_f64 v[34:35], v[9:10], v[55:56], v[11:12]
	global_load_dword v9, v[23:24], off offset:192
	s_waitcnt vmcnt(0)
	v_subrev_u32_e32 v9, s16, v9
	v_lshlrev_b32_e32 v21, 2, v9
	v_ashrrev_i32_e32 v22, 31, v21
	global_load_dwordx4 v[9:12], v[30:31], off offset:2096
	global_load_dwordx4 v[13:16], v[30:31], off offset:2080
	;; [unrolled: 1-line block ×4, first 2 shown]
	v_lshlrev_b64 v[21:22], 4, v[21:22]
	v_add_co_u32_e32 v69, vcc, s6, v21
	v_addc_co_u32_e32 v70, vcc, v49, v22, vcc
	global_load_dwordx4 v[21:24], v[69:70], off offset:48
	global_load_dwordx4 v[57:60], v[69:70], off offset:32
	;; [unrolled: 1-line block ×3, first 2 shown]
	global_load_dwordx4 v[65:68], v[69:70], off
	v_add_co_u32_e32 v28, vcc, 0x2000, v28
	v_addc_co_u32_e32 v29, vcc, 0, v29, vcc
	s_waitcnt vmcnt(4)
	v_cvt_f64_f32_e32 v[50:51], v53
	v_cvt_f64_f32_e32 v[53:54], v54
	s_waitcnt vmcnt(0)
	v_fma_f64 v[44:45], v[50:51], v[65:66], v[44:45]
	v_fma_f64 v[46:47], v[53:54], v[65:66], v[46:47]
	v_fma_f64 v[44:45], -v[53:54], v[67:68], v[44:45]
	v_cvt_f64_f32_e32 v[53:54], v56
	v_fma_f64 v[46:47], v[50:51], v[67:68], v[46:47]
	v_cvt_f64_f32_e32 v[50:51], v55
	v_fma_f64 v[42:43], v[53:54], v[65:66], v[42:43]
	v_fma_f64 v[40:41], v[50:51], v[65:66], v[40:41]
	;; [unrolled: 1-line block ×3, first 2 shown]
	v_cvt_f64_f32_e32 v[50:51], v17
	v_cvt_f64_f32_e32 v[17:18], v18
	v_fma_f64 v[40:41], -v[53:54], v[67:68], v[40:41]
	v_fma_f64 v[36:37], v[50:51], v[65:66], v[36:37]
	v_fma_f64 v[36:37], -v[17:18], v[67:68], v[36:37]
	v_fma_f64 v[17:18], v[17:18], v[65:66], v[38:39]
	v_cvt_f64_f32_e32 v[38:39], v19
	v_cvt_f64_f32_e32 v[19:20], v20
	v_fma_f64 v[32:33], v[38:39], v[65:66], v[32:33]
	v_fma_f64 v[17:18], v[50:51], v[67:68], v[17:18]
	v_fma_f64 v[32:33], -v[19:20], v[67:68], v[32:33]
	v_fma_f64 v[19:20], v[19:20], v[65:66], v[34:35]
	v_cvt_f64_f32_e32 v[34:35], v13
	v_cvt_f64_f32_e32 v[13:14], v14
	v_fma_f64 v[19:20], v[38:39], v[67:68], v[19:20]
	v_fma_f64 v[38:39], v[34:35], v[61:62], v[44:45]
	v_fma_f64 v[38:39], -v[13:14], v[63:64], v[38:39]
	v_fma_f64 v[13:14], v[13:14], v[61:62], v[46:47]
	v_fma_f64 v[44:45], v[34:35], v[63:64], v[13:14]
	v_cvt_f64_f32_e32 v[13:14], v15
	v_cvt_f64_f32_e32 v[15:16], v16
	v_fma_f64 v[34:35], v[13:14], v[61:62], v[40:41]
	v_fma_f64 v[40:41], -v[15:16], v[63:64], v[34:35]
	v_fma_f64 v[15:16], v[15:16], v[61:62], v[42:43]
	v_fma_f64 v[42:43], v[13:14], v[63:64], v[15:16]
	v_cvt_f64_f32_e32 v[13:14], v9
	v_cvt_f64_f32_e32 v[9:10], v10
	;; [unrolled: 6-line block ×3, first 2 shown]
	v_fma_f64 v[13:14], v[9:10], v[61:62], v[32:33]
	v_fma_f64 v[50:51], -v[11:12], v[63:64], v[13:14]
	v_fma_f64 v[11:12], v[11:12], v[61:62], v[19:20]
	v_fma_f64 v[53:54], v[9:10], v[63:64], v[11:12]
	global_load_dwordx4 v[32:35], v[30:31], off offset:2160
	global_load_dwordx4 v[9:12], v[30:31], off offset:2144
	;; [unrolled: 1-line block ×4, first 2 shown]
	s_waitcnt vmcnt(0)
	v_cvt_f64_f32_e32 v[30:31], v17
	v_cvt_f64_f32_e32 v[17:18], v18
	v_fma_f64 v[38:39], v[30:31], v[57:58], v[38:39]
	v_fma_f64 v[38:39], -v[17:18], v[59:60], v[38:39]
	v_fma_f64 v[17:18], v[17:18], v[57:58], v[44:45]
	v_fma_f64 v[17:18], v[30:31], v[59:60], v[17:18]
	v_cvt_f64_f32_e32 v[30:31], v19
	v_cvt_f64_f32_e32 v[19:20], v20
	v_fma_f64 v[40:41], v[30:31], v[57:58], v[40:41]
	v_fma_f64 v[40:41], -v[19:20], v[59:60], v[40:41]
	v_fma_f64 v[19:20], v[19:20], v[57:58], v[42:43]
	v_fma_f64 v[30:31], v[30:31], v[59:60], v[19:20]
	;; [unrolled: 6-line block ×5, first 2 shown]
	v_cvt_f64_f32_e32 v[9:10], v11
	v_cvt_f64_f32_e32 v[11:12], v12
	v_fma_f64 v[13:14], v[9:10], v[21:22], v[40:41]
	v_fma_f64 v[15:16], -v[11:12], v[23:24], v[13:14]
	v_fma_f64 v[11:12], v[11:12], v[21:22], v[30:31]
	v_cvt_f64_f32_e32 v[30:31], v33
	v_fma_f64 v[13:14], v[9:10], v[23:24], v[11:12]
	v_cvt_f64_f32_e32 v[9:10], v32
	v_cvt_f64_f32_e32 v[32:33], v35
	v_fma_f64 v[11:12], v[9:10], v[21:22], v[36:37]
	v_fma_f64 v[11:12], -v[30:31], v[23:24], v[11:12]
	v_fma_f64 v[30:31], v[30:31], v[21:22], v[42:43]
	v_fma_f64 v[9:10], v[9:10], v[23:24], v[30:31]
	v_cvt_f64_f32_e32 v[30:31], v34
	v_fma_f64 v[34:35], v[30:31], v[21:22], v[44:45]
	v_fma_f64 v[21:22], v[32:33], v[21:22], v[46:47]
	v_fma_f64 v[34:35], -v[32:33], v[23:24], v[34:35]
	v_fma_f64 v[21:22], v[30:31], v[23:24], v[21:22]
	s_andn2_b64 exec, exec, s[10:11]
	s_cbranch_execnz .LBB167_31
; %bb.32:
	s_or_b64 exec, exec, s[10:11]
.LBB167_33:
	s_or_b64 exec, exec, s[8:9]
.LBB167_34:
	s_or_b64 exec, exec, s[2:3]
.LBB167_35:
	v_mov_b32_dpp v23, v19 row_shr:1 row_mask:0xf bank_mask:0xf
	v_mov_b32_dpp v24, v20 row_shr:1 row_mask:0xf bank_mask:0xf
	v_add_f64 v[19:20], v[19:20], v[23:24]
	v_mov_b32_dpp v23, v17 row_shr:1 row_mask:0xf bank_mask:0xf
	v_mov_b32_dpp v24, v18 row_shr:1 row_mask:0xf bank_mask:0xf
	v_add_f64 v[17:18], v[17:18], v[23:24]
	;; [unrolled: 3-line block ×3, first 2 shown]
	v_mov_b32_dpp v32, v9 row_shr:1 row_mask:0xf bank_mask:0xf
	v_mov_b32_dpp v26, v19 row_shr:2 row_mask:0xf bank_mask:0xf
	;; [unrolled: 1-line block ×3, first 2 shown]
	v_add_f64 v[19:20], v[19:20], v[26:27]
	v_mov_b32_dpp v26, v17 row_shr:2 row_mask:0xf bank_mask:0xf
	v_mov_b32_dpp v27, v18 row_shr:2 row_mask:0xf bank_mask:0xf
	v_add_f64 v[17:18], v[17:18], v[26:27]
	v_mov_b32_dpp v26, v13 row_shr:1 row_mask:0xf bank_mask:0xf
	v_mov_b32_dpp v27, v14 row_shr:1 row_mask:0xf bank_mask:0xf
	;; [unrolled: 3-line block ×3, first 2 shown]
	v_add_f64 v[15:16], v[15:16], v[26:27]
	v_mov_b32_dpp v33, v10 row_shr:1 row_mask:0xf bank_mask:0xf
	v_add_f64 v[9:10], v[9:10], v[32:33]
	v_mov_b32_dpp v32, v34 row_shr:1 row_mask:0xf bank_mask:0xf
	v_mov_b32_dpp v33, v35 row_shr:1 row_mask:0xf bank_mask:0xf
	;; [unrolled: 1-line block ×4, first 2 shown]
	v_add_f64 v[23:24], v[23:24], v[26:27]
	v_mov_b32_dpp v26, v11 row_shr:1 row_mask:0xf bank_mask:0xf
	v_mov_b32_dpp v27, v12 row_shr:1 row_mask:0xf bank_mask:0xf
	v_add_f64 v[26:27], v[11:12], v[26:27]
	v_add_f64 v[32:33], v[34:35], v[32:33]
	v_mov_b32_dpp v34, v21 row_shr:1 row_mask:0xf bank_mask:0xf
	v_mov_b32_dpp v35, v22 row_shr:1 row_mask:0xf bank_mask:0xf
	v_add_f64 v[34:35], v[21:22], v[34:35]
	v_mov_b32_dpp v13, v19 row_shr:4 row_mask:0xf bank_mask:0xe
	v_mov_b32_dpp v14, v20 row_shr:4 row_mask:0xf bank_mask:0xe
	;; [unrolled: 3-line block ×4, first 2 shown]
	v_mov_b32_dpp v36, v9 row_shr:2 row_mask:0xf bank_mask:0xf
	v_mov_b32_dpp v37, v10 row_shr:2 row_mask:0xf bank_mask:0xf
	v_add_f64 v[30:31], v[26:27], v[19:20]
	v_add_f64 v[36:37], v[9:10], v[36:37]
	v_mov_b32_dpp v9, v32 row_shr:2 row_mask:0xf bank_mask:0xf
	v_mov_b32_dpp v10, v33 row_shr:2 row_mask:0xf bank_mask:0xf
	v_add_f64 v[32:33], v[32:33], v[9:10]
	v_mov_b32_dpp v9, v34 row_shr:2 row_mask:0xf bank_mask:0xf
	v_mov_b32_dpp v10, v35 row_shr:2 row_mask:0xf bank_mask:0xf
	;; [unrolled: 3-line block ×3, first 2 shown]
	v_mov_b32_dpp v17, v15 row_shr:4 row_mask:0xf bank_mask:0xe
	v_mov_b32_dpp v18, v16 row_shr:4 row_mask:0xf bank_mask:0xe
	v_add_f64 v[9:10], v[30:31], v[20:21]
	v_mov_b32_dpp v30, v32 row_shr:4 row_mask:0xf bank_mask:0xe
	v_mov_b32_dpp v31, v33 row_shr:4 row_mask:0xf bank_mask:0xe
	v_add_f64 v[15:16], v[15:16], v[17:18]
	v_mov_b32_dpp v17, v23 row_shr:4 row_mask:0xf bank_mask:0xe
	v_mov_b32_dpp v18, v24 row_shr:4 row_mask:0xf bank_mask:0xe
	;; [unrolled: 1-line block ×4, first 2 shown]
	v_add_f64 v[30:31], v[32:33], v[30:31]
	v_mov_b32_dpp v32, v34 row_shr:4 row_mask:0xf bank_mask:0xe
	v_mov_b32_dpp v33, v35 row_shr:4 row_mask:0xf bank_mask:0xe
	v_add_f64 v[17:18], v[23:24], v[17:18]
	v_add_f64 v[21:22], v[36:37], v[20:21]
	;; [unrolled: 1-line block ×3, first 2 shown]
	v_mov_b32_dpp v28, v13 row_shr:8 row_mask:0xf bank_mask:0xc
	v_mov_b32_dpp v29, v14 row_shr:8 row_mask:0xf bank_mask:0xc
	;; [unrolled: 1-line block ×16, first 2 shown]
	v_cmp_eq_u32_e32 vcc, 15, v0
	s_and_b64 exec, exec, vcc
	s_cbranch_execz .LBB167_8
; %bb.36:
	v_add_f64 v[11:12], v[11:12], v[26:27]
	v_add_f64 v[15:16], v[15:16], v[23:24]
	;; [unrolled: 1-line block ×8, first 2 shown]
	v_mul_f64 v[26:27], v[11:12], -v[7:8]
	v_mul_f64 v[11:12], v[5:6], v[11:12]
	v_mul_f64 v[28:29], v[17:18], -v[7:8]
	v_mul_f64 v[30:31], v[5:6], v[17:18]
	v_mul_f64 v[32:33], v[9:10], -v[7:8]
	v_mul_f64 v[34:35], v[5:6], v[9:10]
	v_mul_f64 v[36:37], v[19:20], -v[7:8]
	v_mul_f64 v[38:39], v[5:6], v[19:20]
	v_cmp_eq_f64_e32 vcc, 0, v[1:2]
	v_cmp_eq_f64_e64 s[0:1], 0, v[3:4]
	v_fma_f64 v[17:18], v[5:6], v[13:14], v[26:27]
	v_fma_f64 v[19:20], v[7:8], v[13:14], v[11:12]
	;; [unrolled: 1-line block ×8, first 2 shown]
	s_load_dwordx2 s[2:3], s[4:5], 0x60
	s_and_b64 s[0:1], vcc, s[0:1]
	v_lshlrev_b32_e32 v21, 2, v25
	s_and_saveexec_b64 s[4:5], s[0:1]
	s_xor_b64 s[0:1], exec, s[4:5]
	s_cbranch_execz .LBB167_38
; %bb.37:
	v_ashrrev_i32_e32 v22, 31, v21
	v_lshlrev_b64 v[0:1], 4, v[21:22]
	s_waitcnt lgkmcnt(0)
	v_mov_b32_e32 v2, s3
	v_add_co_u32_e32 v0, vcc, s2, v0
	v_addc_co_u32_e32 v1, vcc, v2, v1, vcc
	global_store_dwordx4 v[0:1], v[17:20], off
	global_store_dwordx4 v[0:1], v[13:16], off offset:16
	global_store_dwordx4 v[0:1], v[9:12], off offset:32
	;; [unrolled: 1-line block ×3, first 2 shown]
                                        ; implicit-def: $vgpr3_vgpr4
                                        ; implicit-def: $vgpr17_vgpr18
                                        ; implicit-def: $vgpr21
                                        ; implicit-def: $vgpr13_vgpr14
                                        ; implicit-def: $vgpr9_vgpr10
                                        ; implicit-def: $vgpr5_vgpr6
.LBB167_38:
	s_andn2_saveexec_b64 s[0:1], s[0:1]
	s_cbranch_execz .LBB167_8
; %bb.39:
	v_ashrrev_i32_e32 v22, 31, v21
	v_lshlrev_b64 v[21:22], 4, v[21:22]
	s_waitcnt lgkmcnt(0)
	v_mov_b32_e32 v0, s3
	v_add_co_u32_e32 v37, vcc, s2, v21
	v_addc_co_u32_e32 v38, vcc, v0, v22, vcc
	global_load_dwordx4 v[21:24], v[37:38], off
	global_load_dwordx4 v[25:28], v[37:38], off offset:16
	global_load_dwordx4 v[29:32], v[37:38], off offset:32
	;; [unrolled: 1-line block ×3, first 2 shown]
	s_waitcnt vmcnt(3)
	v_fma_f64 v[17:18], v[1:2], v[21:22], v[17:18]
	v_fma_f64 v[19:20], v[3:4], v[21:22], v[19:20]
	s_waitcnt vmcnt(2)
	v_fma_f64 v[13:14], v[1:2], v[25:26], v[13:14]
	v_fma_f64 v[15:16], v[3:4], v[25:26], v[15:16]
	;; [unrolled: 3-line block ×4, first 2 shown]
	v_fma_f64 v[5:6], -v[3:4], v[23:24], v[17:18]
	v_fma_f64 v[7:8], v[1:2], v[23:24], v[19:20]
	v_fma_f64 v[9:10], -v[3:4], v[27:28], v[13:14]
	v_fma_f64 v[11:12], v[1:2], v[27:28], v[15:16]
	;; [unrolled: 2-line block ×4, first 2 shown]
	global_store_dwordx4 v[37:38], v[5:8], off
	global_store_dwordx4 v[37:38], v[9:12], off offset:16
	global_store_dwordx4 v[37:38], v[13:16], off offset:32
	global_store_dwordx4 v[37:38], v[17:20], off offset:48
	s_endpgm
	.section	.rodata,"a",@progbits
	.p2align	6, 0x0
	.amdhsa_kernel _ZN9rocsparseL18bsrxmvn_4x4_kernelILj128ELj16E21rocsparse_complex_numIdEiiS1_IfES2_S2_EEvT3_20rocsparse_direction_NS_24const_host_device_scalarIT1_EES4_PKS4_PKT2_SD_SA_PKT4_PKT5_S8_PT6_21rocsparse_index_base_b
		.amdhsa_group_segment_fixed_size 0
		.amdhsa_private_segment_fixed_size 0
		.amdhsa_kernarg_size 112
		.amdhsa_user_sgpr_count 6
		.amdhsa_user_sgpr_private_segment_buffer 1
		.amdhsa_user_sgpr_dispatch_ptr 0
		.amdhsa_user_sgpr_queue_ptr 0
		.amdhsa_user_sgpr_kernarg_segment_ptr 1
		.amdhsa_user_sgpr_dispatch_id 0
		.amdhsa_user_sgpr_flat_scratch_init 0
		.amdhsa_user_sgpr_private_segment_size 0
		.amdhsa_uses_dynamic_stack 0
		.amdhsa_system_sgpr_private_segment_wavefront_offset 0
		.amdhsa_system_sgpr_workgroup_id_x 1
		.amdhsa_system_sgpr_workgroup_id_y 0
		.amdhsa_system_sgpr_workgroup_id_z 0
		.amdhsa_system_sgpr_workgroup_info 0
		.amdhsa_system_vgpr_workitem_id 0
		.amdhsa_next_free_vgpr 83
		.amdhsa_next_free_sgpr 18
		.amdhsa_reserve_vcc 1
		.amdhsa_reserve_flat_scratch 0
		.amdhsa_float_round_mode_32 0
		.amdhsa_float_round_mode_16_64 0
		.amdhsa_float_denorm_mode_32 3
		.amdhsa_float_denorm_mode_16_64 3
		.amdhsa_dx10_clamp 1
		.amdhsa_ieee_mode 1
		.amdhsa_fp16_overflow 0
		.amdhsa_exception_fp_ieee_invalid_op 0
		.amdhsa_exception_fp_denorm_src 0
		.amdhsa_exception_fp_ieee_div_zero 0
		.amdhsa_exception_fp_ieee_overflow 0
		.amdhsa_exception_fp_ieee_underflow 0
		.amdhsa_exception_fp_ieee_inexact 0
		.amdhsa_exception_int_div_zero 0
	.end_amdhsa_kernel
	.section	.text._ZN9rocsparseL18bsrxmvn_4x4_kernelILj128ELj16E21rocsparse_complex_numIdEiiS1_IfES2_S2_EEvT3_20rocsparse_direction_NS_24const_host_device_scalarIT1_EES4_PKS4_PKT2_SD_SA_PKT4_PKT5_S8_PT6_21rocsparse_index_base_b,"axG",@progbits,_ZN9rocsparseL18bsrxmvn_4x4_kernelILj128ELj16E21rocsparse_complex_numIdEiiS1_IfES2_S2_EEvT3_20rocsparse_direction_NS_24const_host_device_scalarIT1_EES4_PKS4_PKT2_SD_SA_PKT4_PKT5_S8_PT6_21rocsparse_index_base_b,comdat
.Lfunc_end167:
	.size	_ZN9rocsparseL18bsrxmvn_4x4_kernelILj128ELj16E21rocsparse_complex_numIdEiiS1_IfES2_S2_EEvT3_20rocsparse_direction_NS_24const_host_device_scalarIT1_EES4_PKS4_PKT2_SD_SA_PKT4_PKT5_S8_PT6_21rocsparse_index_base_b, .Lfunc_end167-_ZN9rocsparseL18bsrxmvn_4x4_kernelILj128ELj16E21rocsparse_complex_numIdEiiS1_IfES2_S2_EEvT3_20rocsparse_direction_NS_24const_host_device_scalarIT1_EES4_PKS4_PKT2_SD_SA_PKT4_PKT5_S8_PT6_21rocsparse_index_base_b
                                        ; -- End function
	.set _ZN9rocsparseL18bsrxmvn_4x4_kernelILj128ELj16E21rocsparse_complex_numIdEiiS1_IfES2_S2_EEvT3_20rocsparse_direction_NS_24const_host_device_scalarIT1_EES4_PKS4_PKT2_SD_SA_PKT4_PKT5_S8_PT6_21rocsparse_index_base_b.num_vgpr, 83
	.set _ZN9rocsparseL18bsrxmvn_4x4_kernelILj128ELj16E21rocsparse_complex_numIdEiiS1_IfES2_S2_EEvT3_20rocsparse_direction_NS_24const_host_device_scalarIT1_EES4_PKS4_PKT2_SD_SA_PKT4_PKT5_S8_PT6_21rocsparse_index_base_b.num_agpr, 0
	.set _ZN9rocsparseL18bsrxmvn_4x4_kernelILj128ELj16E21rocsparse_complex_numIdEiiS1_IfES2_S2_EEvT3_20rocsparse_direction_NS_24const_host_device_scalarIT1_EES4_PKS4_PKT2_SD_SA_PKT4_PKT5_S8_PT6_21rocsparse_index_base_b.numbered_sgpr, 18
	.set _ZN9rocsparseL18bsrxmvn_4x4_kernelILj128ELj16E21rocsparse_complex_numIdEiiS1_IfES2_S2_EEvT3_20rocsparse_direction_NS_24const_host_device_scalarIT1_EES4_PKS4_PKT2_SD_SA_PKT4_PKT5_S8_PT6_21rocsparse_index_base_b.num_named_barrier, 0
	.set _ZN9rocsparseL18bsrxmvn_4x4_kernelILj128ELj16E21rocsparse_complex_numIdEiiS1_IfES2_S2_EEvT3_20rocsparse_direction_NS_24const_host_device_scalarIT1_EES4_PKS4_PKT2_SD_SA_PKT4_PKT5_S8_PT6_21rocsparse_index_base_b.private_seg_size, 0
	.set _ZN9rocsparseL18bsrxmvn_4x4_kernelILj128ELj16E21rocsparse_complex_numIdEiiS1_IfES2_S2_EEvT3_20rocsparse_direction_NS_24const_host_device_scalarIT1_EES4_PKS4_PKT2_SD_SA_PKT4_PKT5_S8_PT6_21rocsparse_index_base_b.uses_vcc, 1
	.set _ZN9rocsparseL18bsrxmvn_4x4_kernelILj128ELj16E21rocsparse_complex_numIdEiiS1_IfES2_S2_EEvT3_20rocsparse_direction_NS_24const_host_device_scalarIT1_EES4_PKS4_PKT2_SD_SA_PKT4_PKT5_S8_PT6_21rocsparse_index_base_b.uses_flat_scratch, 0
	.set _ZN9rocsparseL18bsrxmvn_4x4_kernelILj128ELj16E21rocsparse_complex_numIdEiiS1_IfES2_S2_EEvT3_20rocsparse_direction_NS_24const_host_device_scalarIT1_EES4_PKS4_PKT2_SD_SA_PKT4_PKT5_S8_PT6_21rocsparse_index_base_b.has_dyn_sized_stack, 0
	.set _ZN9rocsparseL18bsrxmvn_4x4_kernelILj128ELj16E21rocsparse_complex_numIdEiiS1_IfES2_S2_EEvT3_20rocsparse_direction_NS_24const_host_device_scalarIT1_EES4_PKS4_PKT2_SD_SA_PKT4_PKT5_S8_PT6_21rocsparse_index_base_b.has_recursion, 0
	.set _ZN9rocsparseL18bsrxmvn_4x4_kernelILj128ELj16E21rocsparse_complex_numIdEiiS1_IfES2_S2_EEvT3_20rocsparse_direction_NS_24const_host_device_scalarIT1_EES4_PKS4_PKT2_SD_SA_PKT4_PKT5_S8_PT6_21rocsparse_index_base_b.has_indirect_call, 0
	.section	.AMDGPU.csdata,"",@progbits
; Kernel info:
; codeLenInByte = 10628
; TotalNumSgprs: 22
; NumVgprs: 83
; ScratchSize: 0
; MemoryBound: 0
; FloatMode: 240
; IeeeMode: 1
; LDSByteSize: 0 bytes/workgroup (compile time only)
; SGPRBlocks: 2
; VGPRBlocks: 20
; NumSGPRsForWavesPerEU: 22
; NumVGPRsForWavesPerEU: 83
; Occupancy: 3
; WaveLimiterHint : 1
; COMPUTE_PGM_RSRC2:SCRATCH_EN: 0
; COMPUTE_PGM_RSRC2:USER_SGPR: 6
; COMPUTE_PGM_RSRC2:TRAP_HANDLER: 0
; COMPUTE_PGM_RSRC2:TGID_X_EN: 1
; COMPUTE_PGM_RSRC2:TGID_Y_EN: 0
; COMPUTE_PGM_RSRC2:TGID_Z_EN: 0
; COMPUTE_PGM_RSRC2:TIDIG_COMP_CNT: 0
	.section	.text._ZN9rocsparseL18bsrxmvn_4x4_kernelILj128ELj32E21rocsparse_complex_numIdEiiS1_IfES2_S2_EEvT3_20rocsparse_direction_NS_24const_host_device_scalarIT1_EES4_PKS4_PKT2_SD_SA_PKT4_PKT5_S8_PT6_21rocsparse_index_base_b,"axG",@progbits,_ZN9rocsparseL18bsrxmvn_4x4_kernelILj128ELj32E21rocsparse_complex_numIdEiiS1_IfES2_S2_EEvT3_20rocsparse_direction_NS_24const_host_device_scalarIT1_EES4_PKS4_PKT2_SD_SA_PKT4_PKT5_S8_PT6_21rocsparse_index_base_b,comdat
	.globl	_ZN9rocsparseL18bsrxmvn_4x4_kernelILj128ELj32E21rocsparse_complex_numIdEiiS1_IfES2_S2_EEvT3_20rocsparse_direction_NS_24const_host_device_scalarIT1_EES4_PKS4_PKT2_SD_SA_PKT4_PKT5_S8_PT6_21rocsparse_index_base_b ; -- Begin function _ZN9rocsparseL18bsrxmvn_4x4_kernelILj128ELj32E21rocsparse_complex_numIdEiiS1_IfES2_S2_EEvT3_20rocsparse_direction_NS_24const_host_device_scalarIT1_EES4_PKS4_PKT2_SD_SA_PKT4_PKT5_S8_PT6_21rocsparse_index_base_b
	.p2align	8
	.type	_ZN9rocsparseL18bsrxmvn_4x4_kernelILj128ELj32E21rocsparse_complex_numIdEiiS1_IfES2_S2_EEvT3_20rocsparse_direction_NS_24const_host_device_scalarIT1_EES4_PKS4_PKT2_SD_SA_PKT4_PKT5_S8_PT6_21rocsparse_index_base_b,@function
_ZN9rocsparseL18bsrxmvn_4x4_kernelILj128ELj32E21rocsparse_complex_numIdEiiS1_IfES2_S2_EEvT3_20rocsparse_direction_NS_24const_host_device_scalarIT1_EES4_PKS4_PKT2_SD_SA_PKT4_PKT5_S8_PT6_21rocsparse_index_base_b: ; @_ZN9rocsparseL18bsrxmvn_4x4_kernelILj128ELj32E21rocsparse_complex_numIdEiiS1_IfES2_S2_EEvT3_20rocsparse_direction_NS_24const_host_device_scalarIT1_EES4_PKS4_PKT2_SD_SA_PKT4_PKT5_S8_PT6_21rocsparse_index_base_b
; %bb.0:
	s_load_dwordx2 s[0:1], s[4:5], 0x8
	s_load_dwordx2 s[16:17], s[4:5], 0x68
	s_add_u32 s7, s4, 8
	s_addc_u32 s8, s5, 0
	s_add_u32 s9, s4, 0x50
	s_addc_u32 s10, s5, 0
	s_waitcnt lgkmcnt(0)
	s_bitcmp1_b32 s17, 0
	s_cselect_b32 s1, s8, s1
	s_cselect_b32 s0, s7, s0
	v_mov_b32_e32 v1, s0
	v_mov_b32_e32 v2, s1
	flat_load_dwordx4 v[5:8], v[1:2]
	s_load_dwordx2 s[2:3], s[4:5], 0x50
	s_waitcnt lgkmcnt(0)
	s_cselect_b32 s0, s10, s3
	s_cselect_b32 s1, s9, s2
	v_mov_b32_e32 v1, s1
	v_mov_b32_e32 v2, s0
	flat_load_dwordx4 v[1:4], v[1:2]
	s_waitcnt vmcnt(0)
	v_cmp_eq_f64_e32 vcc, 0, v[5:6]
	v_cmp_eq_f64_e64 s[0:1], 0, v[7:8]
	s_and_b64 s[8:9], vcc, s[0:1]
	s_mov_b64 s[0:1], -1
	s_and_saveexec_b64 s[2:3], s[8:9]
	s_cbranch_execz .LBB168_2
; %bb.1:
	s_waitcnt lgkmcnt(0)
	v_cmp_neq_f64_e32 vcc, 1.0, v[1:2]
	v_cmp_neq_f64_e64 s[0:1], 0, v[3:4]
	s_or_b64 s[0:1], vcc, s[0:1]
	s_orn2_b64 s[0:1], s[0:1], exec
.LBB168_2:
	s_or_b64 exec, exec, s[2:3]
	s_and_saveexec_b64 s[2:3], s[0:1]
	s_cbranch_execz .LBB168_8
; %bb.3:
	s_load_dwordx2 s[8:9], s[4:5], 0x20
	s_load_dwordx2 s[0:1], s[4:5], 0x0
	v_lshrrev_b32_e32 v9, 5, v0
	v_lshl_or_b32 v21, s6, 2, v9
	s_mov_b64 s[2:3], 0
	s_waitcnt lgkmcnt(0)
	s_cmp_lg_u64 s[8:9], 0
	s_cbranch_scc0 .LBB168_9
; %bb.4:
	s_load_dword s6, s[4:5], 0x18
                                        ; implicit-def: $vgpr9
	s_waitcnt lgkmcnt(0)
	v_cmp_gt_i32_e32 vcc, s6, v21
	s_and_saveexec_b64 s[6:7], vcc
	s_xor_b64 s[6:7], exec, s[6:7]
	s_cbranch_execz .LBB168_6
; %bb.5:
	v_ashrrev_i32_e32 v22, 31, v21
	v_lshlrev_b64 v[9:10], 2, v[21:22]
	v_mov_b32_e32 v11, s9
	v_add_co_u32_e32 v9, vcc, s8, v9
	v_addc_co_u32_e32 v10, vcc, v11, v10, vcc
	global_load_dword v9, v[9:10], off
	s_mov_b64 s[2:3], exec
	s_waitcnt vmcnt(0)
	v_subrev_u32_e32 v9, s16, v9
.LBB168_6:
	s_or_b64 exec, exec, s[6:7]
	s_branch .LBB168_10
.LBB168_7:
	v_cmp_gt_i32_e32 vcc, s0, v21
	s_andn2_b64 s[2:3], s[2:3], exec
	s_and_b64 s[6:7], vcc, exec
	s_or_b64 s[2:3], s[2:3], s[6:7]
	s_and_b64 exec, exec, s[2:3]
	s_cbranch_execnz .LBB168_11
.LBB168_8:
	s_endpgm
.LBB168_9:
                                        ; implicit-def: $vgpr9
	s_cbranch_execnz .LBB168_7
.LBB168_10:
	v_mov_b32_e32 v21, v9
	s_and_b64 exec, exec, s[2:3]
	s_cbranch_execz .LBB168_8
.LBB168_11:
	s_load_dwordx8 s[8:15], s[4:5], 0x28
	v_ashrrev_i32_e32 v22, 31, v21
	v_lshlrev_b64 v[9:10], 2, v[21:22]
	v_and_b32_e32 v0, 31, v0
	s_load_dwordx2 s[6:7], s[4:5], 0x48
	s_waitcnt lgkmcnt(0)
	v_mov_b32_e32 v12, s9
	v_add_co_u32_e32 v11, vcc, s8, v9
	v_addc_co_u32_e32 v12, vcc, v12, v10, vcc
	global_load_dword v45, v[11:12], off
	v_add_co_u32_e32 v11, vcc, 4, v11
	v_addc_co_u32_e32 v12, vcc, 0, v12, vcc
	v_mov_b32_e32 v13, s11
	v_add_co_u32_e32 v9, vcc, s10, v9
	s_cmp_eq_u64 s[10:11], 0
	v_addc_co_u32_e32 v10, vcc, v13, v10, vcc
	s_cselect_b64 vcc, -1, 0
	v_cndmask_b32_e32 v10, v10, v12, vcc
	v_cndmask_b32_e32 v9, v9, v11, vcc
	global_load_dword v10, v[9:10], off
	v_mov_b32_e32 v13, s15
	s_cmp_eq_u32 s1, 1
	s_waitcnt vmcnt(1)
	v_subrev_u32_e32 v9, s16, v45
	v_add_u32_e32 v9, v9, v0
	s_waitcnt vmcnt(0)
	v_subrev_u32_e32 v44, s16, v10
	v_ashrrev_i32_e32 v10, 31, v9
	v_lshlrev_b64 v[11:12], 7, v[9:10]
	v_cmp_lt_i32_e64 s[0:1], v9, v44
	v_add_co_u32_e32 v11, vcc, s14, v11
	v_addc_co_u32_e32 v12, vcc, v13, v12, vcc
	s_cbranch_scc1 .LBB168_23
; %bb.12:
	v_mov_b32_e32 v26, 0
	v_mov_b32_e32 v32, 0
	;; [unrolled: 1-line block ×16, first 2 shown]
	s_and_saveexec_b64 s[8:9], s[0:1]
	s_cbranch_execz .LBB168_22
; %bb.13:
	v_add_u32_e32 v10, v45, v0
	v_subrev_u32_e32 v10, s16, v10
	v_add_u32_e32 v10, 32, v10
	v_max_i32_e32 v10, v10, v44
	v_not_b32_e32 v13, v45
	v_add3_u32 v10, s16, v10, v13
	v_sub_u32_e32 v10, v10, v0
	s_movk_i32 s2, 0x60
	v_and_b32_e32 v13, 0x60, v10
	v_mov_b32_e32 v19, 0
	v_mov_b32_e32 v17, 0
	;; [unrolled: 1-line block ×9, first 2 shown]
	v_cmp_ne_u32_e32 vcc, s2, v13
	v_mov_b32_e32 v20, 0
	v_mov_b32_e32 v18, 0
	;; [unrolled: 1-line block ×10, first 2 shown]
	s_and_saveexec_b64 s[10:11], vcc
	s_cbranch_execz .LBB168_17
; %bb.14:
	v_lshrrev_b32_e32 v13, 5, v10
	v_add_u32_e32 v13, 1, v13
	v_and_b32_e32 v13, 3, v13
	v_mov_b32_e32 v26, 0
	v_mov_b32_e32 v32, 0
	;; [unrolled: 1-line block ×9, first 2 shown]
	v_sub_u32_e32 v34, 0, v13
	v_mov_b32_e32 v27, 0
	s_mov_b64 s[14:15], 0
	v_mov_b32_e32 v35, s13
	v_mov_b32_e32 v36, s7
	;; [unrolled: 1-line block ×11, first 2 shown]
.LBB168_15:                             ; =>This Inner Loop Header: Depth=1
	v_ashrrev_i32_e32 v14, 31, v13
	v_lshlrev_b64 v[41:42], 2, v[13:14]
	global_load_dwordx4 v[37:40], v[15:16], off
	global_load_dwordx4 v[50:53], v[15:16], off offset:32
	v_add_co_u32_e32 v41, vcc, s12, v41
	v_addc_co_u32_e32 v42, vcc, v35, v42, vcc
	global_load_dword v14, v[41:42], off
	v_add_co_u32_e64 v34, s[2:3], 1, v34
	s_or_b64 s[14:15], s[2:3], s[14:15]
	v_add_u32_e32 v13, 32, v13
	s_waitcnt vmcnt(2)
	v_cvt_f64_f32_e32 v[41:42], v37
	v_cvt_f64_f32_e32 v[37:38], v38
	s_waitcnt vmcnt(0)
	v_subrev_u32_e32 v14, s16, v14
	v_lshlrev_b32_e32 v46, 2, v14
	v_ashrrev_i32_e32 v47, 31, v46
	v_lshlrev_b64 v[46:47], 4, v[46:47]
	v_add_co_u32_e32 v54, vcc, s6, v46
	v_addc_co_u32_e32 v55, vcc, v36, v47, vcc
	global_load_dwordx4 v[46:49], v[54:55], off
	s_waitcnt vmcnt(0)
	v_fma_f64 v[32:33], v[41:42], v[46:47], v[32:33]
	v_fma_f64 v[26:27], v[37:38], v[46:47], v[26:27]
	v_fma_f64 v[32:33], -v[37:38], v[48:49], v[32:33]
	v_fma_f64 v[37:38], v[41:42], v[48:49], v[26:27]
	v_cvt_f64_f32_e32 v[26:27], v50
	v_cvt_f64_f32_e32 v[41:42], v51
	v_fma_f64 v[30:31], v[26:27], v[46:47], v[30:31]
	v_fma_f64 v[28:29], v[41:42], v[46:47], v[28:29]
	v_fma_f64 v[30:31], -v[41:42], v[48:49], v[30:31]
	v_fma_f64 v[41:42], v[26:27], v[48:49], v[28:29]
	global_load_dwordx4 v[26:29], v[15:16], off offset:64
	s_waitcnt vmcnt(0)
	v_cvt_f64_f32_e32 v[50:51], v26
	v_cvt_f64_f32_e32 v[26:27], v27
	;; [unrolled: 1-line block ×4, first 2 shown]
	v_fma_f64 v[24:25], v[50:51], v[46:47], v[24:25]
	v_fma_f64 v[22:23], v[26:27], v[46:47], v[22:23]
	v_fma_f64 v[26:27], -v[26:27], v[48:49], v[24:25]
	v_fma_f64 v[50:51], v[50:51], v[48:49], v[22:23]
	global_load_dwordx4 v[22:25], v[15:16], off offset:96
	s_waitcnt vmcnt(0)
	v_cvt_f64_f32_e32 v[56:57], v22
	v_cvt_f64_f32_e32 v[22:23], v23
	;; [unrolled: 1-line block ×4, first 2 shown]
	v_fma_f64 v[19:20], v[56:57], v[46:47], v[19:20]
	v_fma_f64 v[17:18], v[22:23], v[46:47], v[17:18]
	v_fma_f64 v[22:23], -v[22:23], v[48:49], v[19:20]
	v_fma_f64 v[46:47], v[56:57], v[48:49], v[17:18]
	global_load_dwordx4 v[17:20], v[54:55], off offset:16
	v_cvt_f64_f32_e32 v[48:49], v39
	v_cvt_f64_f32_e32 v[39:40], v40
	;; [unrolled: 1-line block ×4, first 2 shown]
	s_waitcnt vmcnt(0)
	v_fma_f64 v[32:33], v[48:49], v[17:18], v[32:33]
	v_fma_f64 v[22:23], v[60:61], v[17:18], v[22:23]
	;; [unrolled: 1-line block ×5, first 2 shown]
	v_fma_f64 v[32:33], -v[39:40], v[19:20], v[32:33]
	v_fma_f64 v[39:40], v[52:53], v[17:18], v[41:42]
	v_fma_f64 v[41:42], v[28:29], v[17:18], v[50:51]
	;; [unrolled: 1-line block ×3, first 2 shown]
	v_fma_f64 v[46:47], -v[24:25], v[19:20], v[22:23]
	global_load_dwordx4 v[22:25], v[15:16], off offset:16
	v_fma_f64 v[37:38], v[48:49], v[19:20], v[37:38]
	v_fma_f64 v[30:31], -v[52:53], v[19:20], v[30:31]
	v_fma_f64 v[48:49], -v[28:29], v[19:20], v[26:27]
	v_fma_f64 v[39:40], v[56:57], v[19:20], v[39:40]
	v_fma_f64 v[41:42], v[58:59], v[19:20], v[41:42]
	;; [unrolled: 1-line block ×3, first 2 shown]
	global_load_dwordx4 v[17:20], v[54:55], off offset:32
	s_waitcnt vmcnt(1)
	v_cvt_f64_f32_e32 v[26:27], v22
	v_cvt_f64_f32_e32 v[22:23], v23
	s_waitcnt vmcnt(0)
	v_fma_f64 v[28:29], v[26:27], v[17:18], v[32:33]
	v_fma_f64 v[32:33], v[22:23], v[17:18], v[37:38]
	v_fma_f64 v[22:23], -v[22:23], v[19:20], v[28:29]
	v_fma_f64 v[52:53], v[26:27], v[19:20], v[32:33]
	global_load_dwordx4 v[26:29], v[15:16], off offset:48
	s_waitcnt vmcnt(0)
	v_cvt_f64_f32_e32 v[32:33], v26
	v_cvt_f64_f32_e32 v[26:27], v27
	v_fma_f64 v[30:31], v[32:33], v[17:18], v[30:31]
	v_fma_f64 v[37:38], v[26:27], v[17:18], v[39:40]
	v_fma_f64 v[56:57], -v[26:27], v[19:20], v[30:31]
	v_fma_f64 v[58:59], v[32:33], v[19:20], v[37:38]
	global_load_dwordx4 v[30:33], v[15:16], off offset:80
	s_waitcnt vmcnt(0)
	v_cvt_f64_f32_e32 v[26:27], v30
	v_cvt_f64_f32_e32 v[30:31], v31
	;; [unrolled: 1-line block ×4, first 2 shown]
	v_fma_f64 v[37:38], v[26:27], v[17:18], v[48:49]
	v_fma_f64 v[39:40], v[30:31], v[17:18], v[41:42]
	v_fma_f64 v[41:42], -v[30:31], v[19:20], v[37:38]
	v_fma_f64 v[48:49], v[26:27], v[19:20], v[39:40]
	global_load_dwordx4 v[37:40], v[15:16], off offset:112
	v_add_co_u32_e32 v15, vcc, 0x1000, v15
	v_addc_co_u32_e32 v16, vcc, 0, v16, vcc
	s_waitcnt vmcnt(0)
	v_cvt_f64_f32_e32 v[26:27], v37
	v_cvt_f64_f32_e32 v[37:38], v38
	;; [unrolled: 1-line block ×4, first 2 shown]
	v_fma_f64 v[30:31], v[26:27], v[17:18], v[46:47]
	v_fma_f64 v[17:18], v[37:38], v[17:18], v[50:51]
	v_cvt_f64_f32_e32 v[50:51], v28
	v_cvt_f64_f32_e32 v[28:29], v29
	v_fma_f64 v[46:47], -v[37:38], v[19:20], v[30:31]
	global_load_dwordx4 v[37:40], v[54:55], off offset:48
	v_fma_f64 v[17:18], v[26:27], v[19:20], v[17:18]
	v_cvt_f64_f32_e32 v[19:20], v24
	v_cvt_f64_f32_e32 v[24:25], v25
	s_waitcnt vmcnt(0)
	v_fma_f64 v[22:23], v[19:20], v[37:38], v[22:23]
	v_fma_f64 v[26:27], v[24:25], v[37:38], v[52:53]
	v_fma_f64 v[17:18], v[66:67], v[37:38], v[17:18]
	v_fma_f64 v[32:33], -v[24:25], v[39:40], v[22:23]
	v_fma_f64 v[26:27], v[19:20], v[39:40], v[26:27]
	v_fma_f64 v[19:20], v[50:51], v[37:38], v[56:57]
	v_fma_f64 v[22:23], v[28:29], v[37:38], v[58:59]
	v_fma_f64 v[17:18], v[64:65], v[39:40], v[17:18]
	v_fma_f64 v[30:31], -v[28:29], v[39:40], v[19:20]
	v_fma_f64 v[28:29], v[50:51], v[39:40], v[22:23]
	;; [unrolled: 5-line block ×3, first 2 shown]
	v_fma_f64 v[19:20], -v[66:67], v[39:40], v[41:42]
	s_andn2_b64 exec, exec, s[14:15]
	s_cbranch_execnz .LBB168_15
; %bb.16:
	s_or_b64 exec, exec, s[14:15]
.LBB168_17:
	s_or_b64 exec, exec, s[10:11]
	s_movk_i32 s2, 0x5f
	v_cmp_lt_u32_e32 vcc, s2, v10
	s_and_saveexec_b64 s[10:11], vcc
	s_cbranch_execz .LBB168_21
; %bb.18:
	s_mov_b64 s[14:15], 0
	v_mov_b32_e32 v10, s13
	v_mov_b32_e32 v46, s7
	s_movk_i32 s17, 0x1000
	s_movk_i32 s18, 0x2000
	;; [unrolled: 1-line block ×3, first 2 shown]
.LBB168_19:                             ; =>This Inner Loop Header: Depth=1
	v_ashrrev_i32_e32 v14, 31, v13
	v_lshlrev_b64 v[34:35], 2, v[13:14]
	v_add_u32_e32 v13, 0x80, v13
	v_add_co_u32_e32 v34, vcc, s12, v34
	v_addc_co_u32_e32 v35, vcc, v10, v35, vcc
	global_load_dword v14, v[34:35], off
	global_load_dwordx4 v[36:39], v[15:16], off offset:48
	global_load_dwordx4 v[40:43], v[15:16], off offset:32
	;; [unrolled: 1-line block ×3, first 2 shown]
	global_load_dwordx4 v[51:54], v[15:16], off
	v_cmp_ge_i32_e64 s[2:3], v13, v44
	s_or_b64 s[14:15], s[2:3], s[14:15]
	s_waitcnt vmcnt(4)
	v_subrev_u32_e32 v14, s16, v14
	v_lshlrev_b32_e32 v55, 2, v14
	v_ashrrev_i32_e32 v56, 31, v55
	v_lshlrev_b64 v[55:56], 4, v[55:56]
	s_waitcnt vmcnt(0)
	v_cvt_f64_f32_e32 v[71:72], v51
	v_add_co_u32_e32 v73, vcc, s6, v55
	v_addc_co_u32_e32 v74, vcc, v46, v56, vcc
	global_load_dwordx4 v[55:58], v[73:74], off offset:48
	global_load_dwordx4 v[59:62], v[73:74], off offset:32
	;; [unrolled: 1-line block ×3, first 2 shown]
	global_load_dwordx4 v[67:70], v[73:74], off
	v_cvt_f64_f32_e32 v[51:52], v52
	s_waitcnt vmcnt(0)
	v_fma_f64 v[32:33], v[71:72], v[67:68], v[32:33]
	v_fma_f64 v[26:27], v[51:52], v[67:68], v[26:27]
	v_fma_f64 v[32:33], -v[51:52], v[69:70], v[32:33]
	v_fma_f64 v[26:27], v[71:72], v[69:70], v[26:27]
	v_cvt_f64_f32_e32 v[51:52], v53
	v_cvt_f64_f32_e32 v[53:54], v54
	v_fma_f64 v[32:33], v[51:52], v[63:64], v[32:33]
	v_fma_f64 v[26:27], v[53:54], v[63:64], v[26:27]
	v_fma_f64 v[32:33], -v[53:54], v[65:66], v[32:33]
	v_fma_f64 v[26:27], v[51:52], v[65:66], v[26:27]
	v_cvt_f64_f32_e32 v[51:52], v47
	v_cvt_f64_f32_e32 v[47:48], v48
	;; [unrolled: 6-line block ×7, first 2 shown]
	v_fma_f64 v[30:31], v[28:29], v[55:56], v[30:31]
	v_fma_f64 v[26:27], v[32:33], v[55:56], v[26:27]
	v_fma_f64 v[75:76], -v[32:33], v[57:58], v[30:31]
	v_fma_f64 v[77:78], v[28:29], v[57:58], v[26:27]
	global_load_dwordx4 v[26:29], v[15:16], off offset:112
	global_load_dwordx4 v[30:33], v[15:16], off offset:96
	;; [unrolled: 1-line block ×4, first 2 shown]
	global_load_dword v14, v[34:35], off offset:128
	s_waitcnt vmcnt(1)
	v_cvt_f64_f32_e32 v[47:48], v40
	v_cvt_f64_f32_e32 v[40:41], v41
	s_waitcnt vmcnt(0)
	v_subrev_u32_e32 v14, s16, v14
	v_fma_f64 v[24:25], v[47:48], v[67:68], v[24:25]
	v_fma_f64 v[22:23], v[40:41], v[67:68], v[22:23]
	v_fma_f64 v[24:25], -v[40:41], v[69:70], v[24:25]
	v_fma_f64 v[22:23], v[47:48], v[69:70], v[22:23]
	v_cvt_f64_f32_e32 v[40:41], v42
	v_cvt_f64_f32_e32 v[42:43], v43
	v_fma_f64 v[24:25], v[40:41], v[63:64], v[24:25]
	v_fma_f64 v[22:23], v[42:43], v[63:64], v[22:23]
	v_fma_f64 v[24:25], -v[42:43], v[65:66], v[24:25]
	v_fma_f64 v[22:23], v[40:41], v[65:66], v[22:23]
	v_cvt_f64_f32_e32 v[40:41], v36
	v_cvt_f64_f32_e32 v[36:37], v37
	;; [unrolled: 6-line block ×3, first 2 shown]
	v_lshlrev_b32_e32 v40, 2, v14
	v_ashrrev_i32_e32 v41, 31, v40
	v_lshlrev_b64 v[40:41], 4, v[40:41]
	v_fma_f64 v[24:25], v[36:37], v[55:56], v[24:25]
	v_fma_f64 v[22:23], v[38:39], v[55:56], v[22:23]
	v_fma_f64 v[79:80], -v[38:39], v[57:58], v[24:25]
	v_fma_f64 v[81:82], v[36:37], v[57:58], v[22:23]
	v_cvt_f64_f32_e32 v[22:23], v30
	v_cvt_f64_f32_e32 v[24:25], v31
	v_fma_f64 v[19:20], v[22:23], v[67:68], v[19:20]
	v_fma_f64 v[17:18], v[24:25], v[67:68], v[17:18]
	v_fma_f64 v[19:20], -v[24:25], v[69:70], v[19:20]
	v_fma_f64 v[17:18], v[22:23], v[69:70], v[17:18]
	v_cvt_f64_f32_e32 v[22:23], v32
	v_cvt_f64_f32_e32 v[24:25], v33
	;; [unrolled: 6-line block ×4, first 2 shown]
	v_add_co_u32_e32 v61, vcc, s17, v15
	v_addc_co_u32_e32 v62, vcc, 0, v16, vcc
	v_fma_f64 v[19:20], v[22:23], v[55:56], v[19:20]
	v_fma_f64 v[17:18], v[24:25], v[55:56], v[17:18]
	v_add_co_u32_e32 v26, vcc, s18, v15
	v_addc_co_u32_e32 v27, vcc, 0, v16, vcc
	v_add_co_u32_e32 v65, vcc, s6, v40
	v_fma_f64 v[32:33], -v[24:25], v[57:58], v[19:20]
	v_fma_f64 v[59:60], v[22:23], v[57:58], v[17:18]
	global_load_dwordx4 v[17:20], v[26:27], off offset:-4096
	global_load_dwordx4 v[22:25], v[61:62], off offset:48
	global_load_dwordx4 v[28:31], v[61:62], off offset:32
	global_load_dwordx4 v[36:39], v[61:62], off offset:16
	v_addc_co_u32_e32 v66, vcc, v46, v41, vcc
	global_load_dwordx4 v[40:43], v[65:66], off offset:48
	global_load_dwordx4 v[47:50], v[65:66], off offset:32
	;; [unrolled: 1-line block ×3, first 2 shown]
	global_load_dwordx4 v[55:58], v[65:66], off
	s_waitcnt vmcnt(7)
	v_cvt_f64_f32_e32 v[63:64], v17
	v_cvt_f64_f32_e32 v[17:18], v18
	s_waitcnt vmcnt(0)
	v_fma_f64 v[65:66], v[63:64], v[55:56], v[71:72]
	v_fma_f64 v[65:66], -v[17:18], v[57:58], v[65:66]
	v_fma_f64 v[17:18], v[17:18], v[55:56], v[73:74]
	v_fma_f64 v[17:18], v[63:64], v[57:58], v[17:18]
	v_cvt_f64_f32_e32 v[63:64], v19
	v_cvt_f64_f32_e32 v[19:20], v20
	v_fma_f64 v[65:66], v[63:64], v[51:52], v[65:66]
	v_fma_f64 v[17:18], v[19:20], v[51:52], v[17:18]
	v_fma_f64 v[65:66], -v[19:20], v[53:54], v[65:66]
	v_cvt_f64_f32_e32 v[19:20], v36
	v_cvt_f64_f32_e32 v[36:37], v37
	v_fma_f64 v[17:18], v[63:64], v[53:54], v[17:18]
	v_fma_f64 v[63:64], v[19:20], v[47:48], v[65:66]
	;; [unrolled: 1-line block ×3, first 2 shown]
	v_fma_f64 v[63:64], -v[36:37], v[49:50], v[63:64]
	v_cvt_f64_f32_e32 v[36:37], v39
	v_fma_f64 v[17:18], v[19:20], v[49:50], v[17:18]
	v_cvt_f64_f32_e32 v[19:20], v38
	v_fma_f64 v[38:39], v[19:20], v[40:41], v[63:64]
	v_fma_f64 v[17:18], v[36:37], v[40:41], v[17:18]
	v_fma_f64 v[63:64], -v[36:37], v[42:43], v[38:39]
	v_fma_f64 v[65:66], v[19:20], v[42:43], v[17:18]
	v_cvt_f64_f32_e32 v[17:18], v28
	v_cvt_f64_f32_e32 v[19:20], v29
	v_fma_f64 v[28:29], v[17:18], v[55:56], v[75:76]
	v_fma_f64 v[28:29], -v[19:20], v[57:58], v[28:29]
	v_fma_f64 v[19:20], v[19:20], v[55:56], v[77:78]
	v_fma_f64 v[17:18], v[17:18], v[57:58], v[19:20]
	v_cvt_f64_f32_e32 v[19:20], v30
	v_cvt_f64_f32_e32 v[30:31], v31
	v_fma_f64 v[28:29], v[19:20], v[51:52], v[28:29]
	v_fma_f64 v[17:18], v[30:31], v[51:52], v[17:18]
	v_fma_f64 v[28:29], -v[30:31], v[53:54], v[28:29]
	v_fma_f64 v[17:18], v[19:20], v[53:54], v[17:18]
	v_cvt_f64_f32_e32 v[19:20], v22
	v_cvt_f64_f32_e32 v[22:23], v23
	v_fma_f64 v[28:29], v[19:20], v[47:48], v[28:29]
	v_fma_f64 v[17:18], v[22:23], v[47:48], v[17:18]
	v_fma_f64 v[28:29], -v[22:23], v[49:50], v[28:29]
	v_cvt_f64_f32_e32 v[22:23], v25
	v_fma_f64 v[17:18], v[19:20], v[49:50], v[17:18]
	v_cvt_f64_f32_e32 v[19:20], v24
	v_fma_f64 v[24:25], v[19:20], v[40:41], v[28:29]
	v_fma_f64 v[17:18], v[22:23], v[40:41], v[17:18]
	v_fma_f64 v[67:68], -v[22:23], v[42:43], v[24:25]
	v_fma_f64 v[69:70], v[19:20], v[42:43], v[17:18]
	global_load_dwordx4 v[17:20], v[61:62], off offset:112
	global_load_dwordx4 v[22:25], v[61:62], off offset:96
	;; [unrolled: 1-line block ×4, first 2 shown]
	global_load_dword v14, v[34:35], off offset:256
	s_waitcnt vmcnt(1)
	v_cvt_f64_f32_e32 v[61:62], v36
	v_cvt_f64_f32_e32 v[36:37], v37
	s_waitcnt vmcnt(0)
	v_subrev_u32_e32 v14, s16, v14
	v_fma_f64 v[71:72], v[61:62], v[55:56], v[79:80]
	v_fma_f64 v[71:72], -v[36:37], v[57:58], v[71:72]
	v_fma_f64 v[36:37], v[36:37], v[55:56], v[81:82]
	v_fma_f64 v[36:37], v[61:62], v[57:58], v[36:37]
	v_cvt_f64_f32_e32 v[61:62], v38
	v_cvt_f64_f32_e32 v[38:39], v39
	v_fma_f64 v[71:72], v[61:62], v[51:52], v[71:72]
	v_fma_f64 v[36:37], v[38:39], v[51:52], v[36:37]
	v_fma_f64 v[71:72], -v[38:39], v[53:54], v[71:72]
	v_cvt_f64_f32_e32 v[38:39], v28
	v_cvt_f64_f32_e32 v[28:29], v29
	v_fma_f64 v[36:37], v[61:62], v[53:54], v[36:37]
	v_fma_f64 v[61:62], v[38:39], v[47:48], v[71:72]
	v_fma_f64 v[61:62], -v[28:29], v[49:50], v[61:62]
	v_fma_f64 v[28:29], v[28:29], v[47:48], v[36:37]
	v_cvt_f64_f32_e32 v[36:37], v30
	v_cvt_f64_f32_e32 v[30:31], v31
	v_fma_f64 v[28:29], v[38:39], v[49:50], v[28:29]
	v_fma_f64 v[38:39], v[36:37], v[40:41], v[61:62]
	v_fma_f64 v[28:29], v[30:31], v[40:41], v[28:29]
	v_fma_f64 v[71:72], -v[30:31], v[42:43], v[38:39]
	v_fma_f64 v[73:74], v[36:37], v[42:43], v[28:29]
	v_cvt_f64_f32_e32 v[28:29], v22
	v_cvt_f64_f32_e32 v[22:23], v23
	v_fma_f64 v[30:31], v[28:29], v[55:56], v[32:33]
	v_fma_f64 v[30:31], -v[22:23], v[57:58], v[30:31]
	v_fma_f64 v[22:23], v[22:23], v[55:56], v[59:60]
	v_fma_f64 v[22:23], v[28:29], v[57:58], v[22:23]
	v_cvt_f64_f32_e32 v[28:29], v24
	v_cvt_f64_f32_e32 v[24:25], v25
	v_fma_f64 v[30:31], v[28:29], v[51:52], v[30:31]
	v_fma_f64 v[22:23], v[24:25], v[51:52], v[22:23]
	v_fma_f64 v[30:31], -v[24:25], v[53:54], v[30:31]
	v_cvt_f64_f32_e32 v[24:25], v17
	v_cvt_f64_f32_e32 v[17:18], v18
	v_fma_f64 v[22:23], v[28:29], v[53:54], v[22:23]
	v_fma_f64 v[28:29], v[24:25], v[47:48], v[30:31]
	v_fma_f64 v[28:29], -v[17:18], v[49:50], v[28:29]
	v_fma_f64 v[17:18], v[17:18], v[47:48], v[22:23]
	v_cvt_f64_f32_e32 v[22:23], v19
	v_cvt_f64_f32_e32 v[19:20], v20
	v_fma_f64 v[17:18], v[24:25], v[49:50], v[17:18]
	v_fma_f64 v[24:25], v[22:23], v[40:41], v[28:29]
	;; [unrolled: 1-line block ×3, first 2 shown]
	v_lshlrev_b32_e32 v40, 2, v14
	v_ashrrev_i32_e32 v41, 31, v40
	v_lshlrev_b64 v[40:41], 4, v[40:41]
	v_fma_f64 v[32:33], -v[19:20], v[42:43], v[24:25]
	v_add_co_u32_e32 v40, vcc, s6, v40
	v_addc_co_u32_e32 v41, vcc, v46, v41, vcc
	v_fma_f64 v[75:76], v[22:23], v[42:43], v[17:18]
	global_load_dwordx4 v[17:20], v[26:27], off
	global_load_dwordx4 v[28:31], v[26:27], off offset:48
	global_load_dwordx4 v[36:39], v[26:27], off offset:32
	;; [unrolled: 1-line block ×6, first 2 shown]
	global_load_dwordx4 v[59:62], v[40:41], off
	s_waitcnt vmcnt(7)
	v_cvt_f64_f32_e32 v[42:43], v17
	v_cvt_f64_f32_e32 v[17:18], v18
	s_waitcnt vmcnt(0)
	v_fma_f64 v[40:41], v[42:43], v[59:60], v[63:64]
	v_fma_f64 v[40:41], -v[17:18], v[61:62], v[40:41]
	v_fma_f64 v[17:18], v[17:18], v[59:60], v[65:66]
	v_fma_f64 v[17:18], v[42:43], v[61:62], v[17:18]
	v_cvt_f64_f32_e32 v[42:43], v19
	v_cvt_f64_f32_e32 v[19:20], v20
	v_fma_f64 v[40:41], v[42:43], v[55:56], v[40:41]
	v_fma_f64 v[17:18], v[19:20], v[55:56], v[17:18]
	v_fma_f64 v[40:41], -v[19:20], v[57:58], v[40:41]
	v_cvt_f64_f32_e32 v[19:20], v22
	v_cvt_f64_f32_e32 v[22:23], v23
	v_fma_f64 v[17:18], v[42:43], v[57:58], v[17:18]
	v_fma_f64 v[40:41], v[19:20], v[51:52], v[40:41]
	;; [unrolled: 1-line block ×3, first 2 shown]
	v_fma_f64 v[40:41], -v[22:23], v[53:54], v[40:41]
	v_fma_f64 v[17:18], v[19:20], v[53:54], v[17:18]
	v_cvt_f64_f32_e32 v[19:20], v24
	v_cvt_f64_f32_e32 v[24:25], v25
	v_fma_f64 v[22:23], v[19:20], v[47:48], v[40:41]
	v_fma_f64 v[17:18], v[24:25], v[47:48], v[17:18]
	v_fma_f64 v[22:23], -v[24:25], v[49:50], v[22:23]
	v_fma_f64 v[24:25], v[19:20], v[49:50], v[17:18]
	v_cvt_f64_f32_e32 v[17:18], v36
	v_cvt_f64_f32_e32 v[19:20], v37
	v_fma_f64 v[36:37], v[17:18], v[59:60], v[67:68]
	v_fma_f64 v[36:37], -v[19:20], v[61:62], v[36:37]
	v_fma_f64 v[19:20], v[19:20], v[59:60], v[69:70]
	v_fma_f64 v[17:18], v[17:18], v[61:62], v[19:20]
	v_cvt_f64_f32_e32 v[19:20], v38
	v_cvt_f64_f32_e32 v[38:39], v39
	v_fma_f64 v[36:37], v[19:20], v[55:56], v[36:37]
	v_fma_f64 v[17:18], v[38:39], v[55:56], v[17:18]
	v_fma_f64 v[36:37], -v[38:39], v[57:58], v[36:37]
	v_fma_f64 v[17:18], v[19:20], v[57:58], v[17:18]
	v_cvt_f64_f32_e32 v[19:20], v28
	v_cvt_f64_f32_e32 v[28:29], v29
	v_fma_f64 v[36:37], v[19:20], v[51:52], v[36:37]
	v_fma_f64 v[17:18], v[28:29], v[51:52], v[17:18]
	v_fma_f64 v[36:37], -v[28:29], v[53:54], v[36:37]
	v_cvt_f64_f32_e32 v[28:29], v30
	v_cvt_f64_f32_e32 v[30:31], v31
	v_fma_f64 v[19:20], v[19:20], v[53:54], v[17:18]
	v_fma_f64 v[17:18], v[28:29], v[47:48], v[36:37]
	;; [unrolled: 1-line block ×3, first 2 shown]
	v_fma_f64 v[17:18], -v[30:31], v[49:50], v[17:18]
	v_fma_f64 v[19:20], v[28:29], v[49:50], v[19:20]
	global_load_dwordx4 v[28:31], v[26:27], off offset:112
	global_load_dwordx4 v[36:39], v[26:27], off offset:96
	;; [unrolled: 1-line block ×4, first 2 shown]
	global_load_dword v14, v[34:35], off offset:384
	s_waitcnt vmcnt(1)
	v_cvt_f64_f32_e32 v[26:27], v63
	v_cvt_f64_f32_e32 v[63:64], v64
	s_waitcnt vmcnt(0)
	v_subrev_u32_e32 v14, s16, v14
	v_fma_f64 v[67:68], v[26:27], v[59:60], v[71:72]
	v_add_co_u32_e32 v71, vcc, s19, v15
	v_addc_co_u32_e32 v72, vcc, 0, v16, vcc
	v_fma_f64 v[67:68], -v[63:64], v[61:62], v[67:68]
	v_fma_f64 v[63:64], v[63:64], v[59:60], v[73:74]
	v_fma_f64 v[26:27], v[26:27], v[61:62], v[63:64]
	v_cvt_f64_f32_e32 v[63:64], v65
	v_cvt_f64_f32_e32 v[65:66], v66
	v_fma_f64 v[67:68], v[63:64], v[55:56], v[67:68]
	v_fma_f64 v[26:27], v[65:66], v[55:56], v[26:27]
	v_fma_f64 v[67:68], -v[65:66], v[57:58], v[67:68]
	v_fma_f64 v[26:27], v[63:64], v[57:58], v[26:27]
	v_cvt_f64_f32_e32 v[63:64], v40
	v_cvt_f64_f32_e32 v[40:41], v41
	v_fma_f64 v[65:66], v[63:64], v[51:52], v[67:68]
	v_fma_f64 v[26:27], v[40:41], v[51:52], v[26:27]
	v_fma_f64 v[65:66], -v[40:41], v[53:54], v[65:66]
	;; [unrolled: 6-line block ×3, first 2 shown]
	v_fma_f64 v[42:43], v[63:64], v[49:50], v[26:27]
	v_cvt_f64_f32_e32 v[26:27], v36
	v_cvt_f64_f32_e32 v[36:37], v37
	v_fma_f64 v[32:33], v[26:27], v[59:60], v[32:33]
	v_fma_f64 v[32:33], -v[36:37], v[61:62], v[32:33]
	v_fma_f64 v[36:37], v[36:37], v[59:60], v[75:76]
	v_fma_f64 v[26:27], v[26:27], v[61:62], v[36:37]
	v_cvt_f64_f32_e32 v[36:37], v38
	v_cvt_f64_f32_e32 v[38:39], v39
	v_fma_f64 v[32:33], v[36:37], v[55:56], v[32:33]
	v_fma_f64 v[26:27], v[38:39], v[55:56], v[26:27]
	v_fma_f64 v[32:33], -v[38:39], v[57:58], v[32:33]
	v_fma_f64 v[26:27], v[36:37], v[57:58], v[26:27]
	v_cvt_f64_f32_e32 v[36:37], v28
	v_cvt_f64_f32_e32 v[28:29], v29
	v_fma_f64 v[32:33], v[36:37], v[51:52], v[32:33]
	v_fma_f64 v[26:27], v[28:29], v[51:52], v[26:27]
	v_fma_f64 v[32:33], -v[28:29], v[53:54], v[32:33]
	v_cvt_f64_f32_e32 v[28:29], v30
	v_cvt_f64_f32_e32 v[30:31], v31
	v_fma_f64 v[26:27], v[36:37], v[53:54], v[26:27]
	v_fma_f64 v[32:33], v[28:29], v[47:48], v[32:33]
	v_fma_f64 v[26:27], v[30:31], v[47:48], v[26:27]
	v_fma_f64 v[36:37], -v[30:31], v[49:50], v[32:33]
	v_fma_f64 v[38:39], v[28:29], v[49:50], v[26:27]
	global_load_dwordx4 v[27:30], v[71:72], off
	global_load_dwordx4 v[47:50], v[71:72], off offset:48
	global_load_dwordx4 v[51:54], v[71:72], off offset:32
	;; [unrolled: 1-line block ×3, first 2 shown]
	v_lshlrev_b32_e32 v26, 2, v14
	s_waitcnt vmcnt(3)
	v_cvt_f64_f32_e32 v[73:74], v27
	v_ashrrev_i32_e32 v27, 31, v26
	v_lshlrev_b64 v[26:27], 4, v[26:27]
	v_cvt_f64_f32_e32 v[75:76], v28
	v_add_co_u32_e32 v26, vcc, s6, v26
	v_addc_co_u32_e32 v27, vcc, v46, v27, vcc
	global_load_dwordx4 v[55:58], v[26:27], off offset:48
	global_load_dwordx4 v[59:62], v[26:27], off offset:32
	global_load_dwordx4 v[63:66], v[26:27], off offset:16
	global_load_dwordx4 v[67:70], v[26:27], off
	v_cvt_f64_f32_e32 v[26:27], v29
	v_cvt_f64_f32_e32 v[28:29], v30
	v_add_co_u32_e32 v15, vcc, 0x4000, v15
	v_addc_co_u32_e32 v16, vcc, 0, v16, vcc
	s_waitcnt vmcnt(0)
	v_fma_f64 v[22:23], v[73:74], v[67:68], v[22:23]
	v_fma_f64 v[24:25], v[75:76], v[67:68], v[24:25]
	v_fma_f64 v[22:23], -v[75:76], v[69:70], v[22:23]
	v_fma_f64 v[24:25], v[73:74], v[69:70], v[24:25]
	v_fma_f64 v[22:23], v[26:27], v[63:64], v[22:23]
	;; [unrolled: 1-line block ×3, first 2 shown]
	v_fma_f64 v[22:23], -v[28:29], v[65:66], v[22:23]
	v_fma_f64 v[24:25], v[26:27], v[65:66], v[24:25]
	v_cvt_f64_f32_e32 v[26:27], v31
	v_cvt_f64_f32_e32 v[28:29], v32
	v_fma_f64 v[22:23], v[26:27], v[59:60], v[22:23]
	v_fma_f64 v[24:25], v[28:29], v[59:60], v[24:25]
	v_fma_f64 v[22:23], -v[28:29], v[61:62], v[22:23]
	v_fma_f64 v[24:25], v[26:27], v[61:62], v[24:25]
	v_cvt_f64_f32_e32 v[26:27], v33
	v_cvt_f64_f32_e32 v[28:29], v34
	v_fma_f64 v[22:23], v[26:27], v[55:56], v[22:23]
	v_fma_f64 v[32:33], -v[28:29], v[57:58], v[22:23]
	v_fma_f64 v[22:23], v[28:29], v[55:56], v[24:25]
	v_cvt_f64_f32_e32 v[24:25], v52
	v_fma_f64 v[19:20], v[24:25], v[67:68], v[19:20]
	v_fma_f64 v[26:27], v[26:27], v[57:58], v[22:23]
	v_cvt_f64_f32_e32 v[22:23], v51
	v_fma_f64 v[17:18], v[22:23], v[67:68], v[17:18]
	v_fma_f64 v[19:20], v[22:23], v[69:70], v[19:20]
	v_cvt_f64_f32_e32 v[22:23], v53
	v_fma_f64 v[17:18], -v[24:25], v[69:70], v[17:18]
	v_cvt_f64_f32_e32 v[24:25], v54
	v_fma_f64 v[19:20], v[24:25], v[63:64], v[19:20]
	v_fma_f64 v[17:18], v[22:23], v[63:64], v[17:18]
	v_fma_f64 v[19:20], v[22:23], v[65:66], v[19:20]
	v_cvt_f64_f32_e32 v[22:23], v47
	v_fma_f64 v[17:18], -v[24:25], v[65:66], v[17:18]
	v_cvt_f64_f32_e32 v[24:25], v48
	v_fma_f64 v[19:20], v[24:25], v[59:60], v[19:20]
	v_fma_f64 v[17:18], v[22:23], v[59:60], v[17:18]
	v_fma_f64 v[19:20], v[22:23], v[61:62], v[19:20]
	v_cvt_f64_f32_e32 v[22:23], v49
	v_fma_f64 v[17:18], -v[24:25], v[61:62], v[17:18]
	v_cvt_f64_f32_e32 v[24:25], v50
	v_fma_f64 v[17:18], v[22:23], v[55:56], v[17:18]
	v_fma_f64 v[30:31], -v[24:25], v[57:58], v[17:18]
	v_fma_f64 v[17:18], v[24:25], v[55:56], v[19:20]
	v_fma_f64 v[28:29], v[22:23], v[57:58], v[17:18]
	global_load_dwordx4 v[17:20], v[71:72], off offset:112
	global_load_dwordx4 v[47:50], v[71:72], off offset:96
	;; [unrolled: 1-line block ×4, first 2 shown]
	s_waitcnt vmcnt(0)
	v_cvt_f64_f32_e32 v[34:35], v51
	v_cvt_f64_f32_e32 v[51:52], v52
	v_fma_f64 v[40:41], v[34:35], v[67:68], v[40:41]
	v_fma_f64 v[42:43], v[51:52], v[67:68], v[42:43]
	v_fma_f64 v[40:41], -v[51:52], v[69:70], v[40:41]
	v_fma_f64 v[34:35], v[34:35], v[69:70], v[42:43]
	v_cvt_f64_f32_e32 v[42:43], v53
	v_cvt_f64_f32_e32 v[51:52], v54
	v_fma_f64 v[40:41], v[42:43], v[63:64], v[40:41]
	v_fma_f64 v[34:35], v[51:52], v[63:64], v[34:35]
	v_fma_f64 v[40:41], -v[51:52], v[65:66], v[40:41]
	v_fma_f64 v[34:35], v[42:43], v[65:66], v[34:35]
	v_cvt_f64_f32_e32 v[42:43], v22
	v_cvt_f64_f32_e32 v[22:23], v23
	v_fma_f64 v[40:41], v[42:43], v[59:60], v[40:41]
	v_fma_f64 v[40:41], -v[22:23], v[61:62], v[40:41]
	v_fma_f64 v[22:23], v[22:23], v[59:60], v[34:35]
	v_cvt_f64_f32_e32 v[34:35], v24
	v_fma_f64 v[22:23], v[42:43], v[61:62], v[22:23]
	v_cvt_f64_f32_e32 v[42:43], v25
	;; [unrolled: 2-line block ×3, first 2 shown]
	v_fma_f64 v[38:39], v[40:41], v[67:68], v[38:39]
	v_fma_f64 v[22:23], v[42:43], v[55:56], v[22:23]
	v_fma_f64 v[24:25], -v[42:43], v[57:58], v[24:25]
	v_fma_f64 v[22:23], v[34:35], v[57:58], v[22:23]
	v_cvt_f64_f32_e32 v[34:35], v47
	v_fma_f64 v[36:37], v[34:35], v[67:68], v[36:37]
	v_fma_f64 v[34:35], v[34:35], v[69:70], v[38:39]
	v_cvt_f64_f32_e32 v[38:39], v49
	v_fma_f64 v[36:37], -v[40:41], v[69:70], v[36:37]
	v_cvt_f64_f32_e32 v[40:41], v50
	v_fma_f64 v[34:35], v[40:41], v[63:64], v[34:35]
	v_fma_f64 v[36:37], v[38:39], v[63:64], v[36:37]
	;; [unrolled: 1-line block ×3, first 2 shown]
	v_cvt_f64_f32_e32 v[38:39], v17
	v_cvt_f64_f32_e32 v[17:18], v18
	v_fma_f64 v[36:37], -v[40:41], v[65:66], v[36:37]
	v_fma_f64 v[36:37], v[38:39], v[59:60], v[36:37]
	v_fma_f64 v[36:37], -v[17:18], v[61:62], v[36:37]
	v_fma_f64 v[17:18], v[17:18], v[59:60], v[34:35]
	v_cvt_f64_f32_e32 v[34:35], v19
	v_fma_f64 v[17:18], v[38:39], v[61:62], v[17:18]
	v_cvt_f64_f32_e32 v[38:39], v20
	v_fma_f64 v[19:20], v[34:35], v[55:56], v[36:37]
	v_fma_f64 v[17:18], v[38:39], v[55:56], v[17:18]
	v_fma_f64 v[19:20], -v[38:39], v[57:58], v[19:20]
	v_fma_f64 v[17:18], v[34:35], v[57:58], v[17:18]
	s_andn2_b64 exec, exec, s[14:15]
	s_cbranch_execnz .LBB168_19
; %bb.20:
	s_or_b64 exec, exec, s[14:15]
.LBB168_21:
	s_or_b64 exec, exec, s[10:11]
.LBB168_22:
	s_or_b64 exec, exec, s[8:9]
	s_cbranch_execz .LBB168_24
	s_branch .LBB168_35
.LBB168_23:
                                        ; implicit-def: $vgpr26_vgpr27
                                        ; implicit-def: $vgpr32_vgpr33
                                        ; implicit-def: $vgpr28_vgpr29
                                        ; implicit-def: $vgpr30_vgpr31
                                        ; implicit-def: $vgpr22_vgpr23
                                        ; implicit-def: $vgpr24_vgpr25
                                        ; implicit-def: $vgpr17_vgpr18
                                        ; implicit-def: $vgpr19_vgpr20
.LBB168_24:
	v_mov_b32_e32 v26, 0
	v_mov_b32_e32 v32, 0
	;; [unrolled: 1-line block ×16, first 2 shown]
	s_and_saveexec_b64 s[2:3], s[0:1]
	s_cbranch_execz .LBB168_34
; %bb.25:
	v_add_u32_e32 v10, v45, v0
	v_subrev_u32_e32 v10, s16, v10
	v_add_u32_e32 v10, 32, v10
	v_max_i32_e32 v10, v10, v44
	v_not_b32_e32 v13, v45
	v_add3_u32 v10, s16, v10, v13
	v_sub_u32_e32 v13, v10, v0
	s_movk_i32 s0, 0x60
	v_and_b32_e32 v10, 0x60, v13
	v_mov_b32_e32 v19, 0
	v_mov_b32_e32 v17, 0
	;; [unrolled: 1-line block ×16, first 2 shown]
	v_cmp_ne_u32_e32 vcc, s0, v10
	s_and_saveexec_b64 s[8:9], vcc
	s_cbranch_execz .LBB168_29
; %bb.26:
	v_lshrrev_b32_e32 v10, 5, v13
	v_add_u32_e32 v10, 1, v10
	v_and_b32_e32 v10, 3, v10
	v_mov_b32_e32 v26, 0
	v_mov_b32_e32 v32, 0
	;; [unrolled: 1-line block ×8, first 2 shown]
	v_sub_u32_e32 v14, 0, v10
	v_mov_b32_e32 v27, 0
	s_mov_b64 s[10:11], 0
	v_mov_b32_e32 v15, s13
	v_mov_b32_e32 v33, 0
	v_mov_b32_e32 v29, 0
	v_mov_b32_e32 v31, 0
	v_mov_b32_e32 v23, 0
	v_mov_b32_e32 v25, 0
	v_mov_b32_e32 v18, 0
	v_mov_b32_e32 v20, 0
	v_mov_b32_e32 v16, s7
.LBB168_27:                             ; =>This Inner Loop Header: Depth=1
	global_load_dwordx4 v[34:37], v[11:12], off
	global_load_dwordx4 v[38:41], v[11:12], off offset:16
	global_load_dwordx4 v[45:48], v[11:12], off offset:32
	v_ashrrev_i32_e32 v10, 31, v9
	v_lshlrev_b64 v[42:43], 2, v[9:10]
	v_add_co_u32_e64 v14, s[0:1], 1, v14
	v_add_co_u32_e32 v42, vcc, s12, v42
	v_addc_co_u32_e32 v43, vcc, v15, v43, vcc
	global_load_dword v10, v[42:43], off
	s_or_b64 s[10:11], s[0:1], s[10:11]
	v_add_u32_e32 v9, 32, v9
	s_waitcnt vmcnt(3)
	v_cvt_f64_f32_e32 v[49:50], v34
	v_cvt_f64_f32_e32 v[51:52], v35
	;; [unrolled: 1-line block ×4, first 2 shown]
	global_load_dwordx4 v[34:37], v[11:12], off offset:48
	s_waitcnt vmcnt(3)
	v_cvt_f64_f32_e32 v[57:58], v38
	v_cvt_f64_f32_e32 v[38:39], v39
	v_cvt_f64_f32_e32 v[59:60], v40
	v_cvt_f64_f32_e32 v[40:41], v41
	s_waitcnt vmcnt(2)
	v_cvt_f64_f32_e32 v[61:62], v45
	v_cvt_f64_f32_e32 v[45:46], v46
	s_waitcnt vmcnt(1)
	v_subrev_u32_e32 v10, s16, v10
	v_cvt_f64_f32_e32 v[63:64], v47
	v_cvt_f64_f32_e32 v[47:48], v48
	s_waitcnt vmcnt(0)
	v_cvt_f64_f32_e32 v[65:66], v34
	v_lshlrev_b32_e32 v34, 2, v10
	v_cvt_f64_f32_e32 v[67:68], v35
	v_ashrrev_i32_e32 v35, 31, v34
	v_lshlrev_b64 v[34:35], 4, v[34:35]
	v_cvt_f64_f32_e32 v[69:70], v36
	v_add_co_u32_e32 v42, vcc, s6, v34
	v_addc_co_u32_e32 v43, vcc, v16, v35, vcc
	v_cvt_f64_f32_e32 v[71:72], v37
	global_load_dwordx4 v[34:37], v[42:43], off
	s_waitcnt vmcnt(0)
	v_fma_f64 v[32:33], v[49:50], v[34:35], v[32:33]
	v_fma_f64 v[26:27], v[51:52], v[34:35], v[26:27]
	;; [unrolled: 1-line block ×8, first 2 shown]
	v_fma_f64 v[32:33], -v[51:52], v[36:37], v[32:33]
	v_fma_f64 v[26:27], v[49:50], v[36:37], v[26:27]
	v_fma_f64 v[30:31], -v[55:56], v[36:37], v[30:31]
	v_fma_f64 v[28:29], v[53:54], v[36:37], v[28:29]
	v_fma_f64 v[38:39], -v[38:39], v[36:37], v[24:25]
	v_fma_f64 v[49:50], v[57:58], v[36:37], v[22:23]
	global_load_dwordx4 v[22:25], v[11:12], off offset:64
	v_fma_f64 v[34:35], -v[40:41], v[36:37], v[19:20]
	v_fma_f64 v[36:37], v[59:60], v[36:37], v[17:18]
	global_load_dwordx4 v[17:20], v[11:12], off offset:80
	s_waitcnt vmcnt(1)
	v_cvt_f64_f32_e32 v[40:41], v22
	v_cvt_f64_f32_e32 v[51:52], v23
	;; [unrolled: 1-line block ×3, first 2 shown]
	s_waitcnt vmcnt(0)
	v_cvt_f64_f32_e32 v[57:58], v17
	v_cvt_f64_f32_e32 v[59:60], v18
	;; [unrolled: 1-line block ×4, first 2 shown]
	global_load_dwordx4 v[17:20], v[42:43], off offset:16
	v_cvt_f64_f32_e32 v[55:56], v25
	s_waitcnt vmcnt(0)
	v_fma_f64 v[22:23], v[61:62], v[17:18], v[32:33]
	v_fma_f64 v[24:25], v[45:46], v[17:18], v[26:27]
	;; [unrolled: 1-line block ×3, first 2 shown]
	v_fma_f64 v[26:27], -v[45:46], v[19:20], v[22:23]
	v_fma_f64 v[32:33], v[61:62], v[19:20], v[24:25]
	v_fma_f64 v[22:23], v[63:64], v[17:18], v[30:31]
	;; [unrolled: 1-line block ×3, first 2 shown]
	v_fma_f64 v[28:29], -v[47:48], v[19:20], v[22:23]
	v_fma_f64 v[30:31], v[63:64], v[19:20], v[24:25]
	v_fma_f64 v[22:23], v[65:66], v[17:18], v[38:39]
	;; [unrolled: 1-line block ×4, first 2 shown]
	v_fma_f64 v[36:37], -v[71:72], v[19:20], v[34:35]
	v_fma_f64 v[38:39], -v[67:68], v[19:20], v[22:23]
	v_fma_f64 v[45:46], v[65:66], v[19:20], v[24:25]
	global_load_dwordx4 v[22:25], v[11:12], off offset:96
	v_fma_f64 v[49:50], v[69:70], v[19:20], v[17:18]
	global_load_dwordx4 v[17:20], v[11:12], off offset:112
	v_add_co_u32_e32 v11, vcc, 0x1000, v11
	v_addc_co_u32_e32 v12, vcc, 0, v12, vcc
	s_waitcnt vmcnt(1)
	v_cvt_f64_f32_e32 v[47:48], v22
	v_cvt_f64_f32_e32 v[22:23], v23
	s_waitcnt vmcnt(0)
	v_cvt_f64_f32_e32 v[63:64], v17
	v_cvt_f64_f32_e32 v[65:66], v18
	;; [unrolled: 1-line block ×4, first 2 shown]
	global_load_dwordx4 v[17:20], v[42:43], off offset:32
	v_cvt_f64_f32_e32 v[61:62], v24
	v_cvt_f64_f32_e32 v[24:25], v25
	s_waitcnt vmcnt(0)
	v_fma_f64 v[32:33], v[51:52], v[17:18], v[32:33]
	v_fma_f64 v[26:27], v[40:41], v[17:18], v[26:27]
	;; [unrolled: 1-line block ×9, first 2 shown]
	v_fma_f64 v[26:27], -v[51:52], v[19:20], v[26:27]
	v_fma_f64 v[28:29], -v[55:56], v[19:20], v[28:29]
	v_fma_f64 v[30:31], v[53:54], v[19:20], v[30:31]
	v_fma_f64 v[36:37], -v[75:76], v[19:20], v[36:37]
	v_fma_f64 v[45:46], -v[59:60], v[19:20], v[32:33]
	global_load_dwordx4 v[32:35], v[42:43], off offset:48
	v_fma_f64 v[38:39], v[57:58], v[19:20], v[38:39]
	v_fma_f64 v[17:18], v[73:74], v[19:20], v[17:18]
	s_waitcnt vmcnt(0)
	v_fma_f64 v[19:20], v[47:48], v[32:33], v[26:27]
	v_fma_f64 v[26:27], v[22:23], v[32:33], v[40:41]
	;; [unrolled: 1-line block ×8, first 2 shown]
	v_fma_f64 v[32:33], -v[22:23], v[34:35], v[19:20]
	v_fma_f64 v[26:27], v[47:48], v[34:35], v[26:27]
	v_fma_f64 v[30:31], -v[24:25], v[34:35], v[28:29]
	v_fma_f64 v[28:29], v[61:62], v[34:35], v[40:41]
	;; [unrolled: 2-line block ×4, first 2 shown]
	s_andn2_b64 exec, exec, s[10:11]
	s_cbranch_execnz .LBB168_27
; %bb.28:
	s_or_b64 exec, exec, s[10:11]
.LBB168_29:
	s_or_b64 exec, exec, s[8:9]
	s_movk_i32 s0, 0x5f
	v_cmp_lt_u32_e32 vcc, s0, v13
	s_and_saveexec_b64 s[8:9], vcc
	s_cbranch_execz .LBB168_33
; %bb.30:
	s_mov_b64 s[10:11], 0
	v_mov_b32_e32 v34, s13
	v_mov_b32_e32 v35, s7
	s_movk_i32 s7, 0x1000
	s_movk_i32 s13, 0x2000
	s_movk_i32 s14, 0x3000
.LBB168_31:                             ; =>This Inner Loop Header: Depth=1
	v_ashrrev_i32_e32 v10, 31, v9
	v_lshlrev_b64 v[13:14], 2, v[9:10]
	v_add_u32_e32 v9, 0x80, v9
	v_add_co_u32_e32 v13, vcc, s12, v13
	v_addc_co_u32_e32 v14, vcc, v34, v14, vcc
	global_load_dword v10, v[13:14], off
	global_load_dwordx4 v[36:39], v[11:12], off offset:48
	global_load_dwordx4 v[40:43], v[11:12], off offset:32
	;; [unrolled: 1-line block ×3, first 2 shown]
	global_load_dwordx4 v[49:52], v[11:12], off
	v_cmp_ge_i32_e64 s[0:1], v9, v44
	s_or_b64 s[10:11], s[0:1], s[10:11]
	s_waitcnt vmcnt(4)
	v_subrev_u32_e32 v10, s16, v10
	v_lshlrev_b32_e32 v15, 2, v10
	v_ashrrev_i32_e32 v16, 31, v15
	v_lshlrev_b64 v[15:16], 4, v[15:16]
	s_waitcnt vmcnt(0)
	v_cvt_f64_f32_e32 v[69:70], v49
	v_add_co_u32_e32 v15, vcc, s6, v15
	v_addc_co_u32_e32 v16, vcc, v35, v16, vcc
	global_load_dwordx4 v[53:56], v[15:16], off offset:48
	global_load_dwordx4 v[57:60], v[15:16], off offset:32
	;; [unrolled: 1-line block ×3, first 2 shown]
	global_load_dwordx4 v[65:68], v[15:16], off
	v_cvt_f64_f32_e32 v[49:50], v50
	s_waitcnt vmcnt(0)
	v_fma_f64 v[15:16], v[69:70], v[65:66], v[32:33]
	v_fma_f64 v[26:27], v[49:50], v[65:66], v[26:27]
	v_cvt_f64_f32_e32 v[32:33], v51
	v_fma_f64 v[30:31], v[32:33], v[65:66], v[30:31]
	v_fma_f64 v[15:16], -v[49:50], v[67:68], v[15:16]
	v_cvt_f64_f32_e32 v[49:50], v52
	v_fma_f64 v[26:27], v[69:70], v[67:68], v[26:27]
	v_fma_f64 v[28:29], v[49:50], v[65:66], v[28:29]
	v_fma_f64 v[30:31], -v[49:50], v[67:68], v[30:31]
	v_fma_f64 v[28:29], v[32:33], v[67:68], v[28:29]
	v_cvt_f64_f32_e32 v[32:33], v45
	v_cvt_f64_f32_e32 v[45:46], v46
	v_fma_f64 v[24:25], v[32:33], v[65:66], v[24:25]
	v_fma_f64 v[22:23], v[45:46], v[65:66], v[22:23]
	v_fma_f64 v[24:25], -v[45:46], v[67:68], v[24:25]
	v_cvt_f64_f32_e32 v[45:46], v48
	v_fma_f64 v[22:23], v[32:33], v[67:68], v[22:23]
	v_cvt_f64_f32_e32 v[32:33], v47
	v_fma_f64 v[17:18], v[45:46], v[65:66], v[17:18]
	v_fma_f64 v[19:20], v[32:33], v[65:66], v[19:20]
	v_fma_f64 v[17:18], v[32:33], v[67:68], v[17:18]
	v_cvt_f64_f32_e32 v[32:33], v40
	v_cvt_f64_f32_e32 v[40:41], v41
	v_fma_f64 v[19:20], -v[45:46], v[67:68], v[19:20]
	v_fma_f64 v[15:16], v[32:33], v[61:62], v[15:16]
	v_fma_f64 v[45:46], -v[40:41], v[63:64], v[15:16]
	v_fma_f64 v[15:16], v[40:41], v[61:62], v[26:27]
	v_cvt_f64_f32_e32 v[26:27], v43
	v_fma_f64 v[40:41], v[32:33], v[63:64], v[15:16]
	v_cvt_f64_f32_e32 v[15:16], v42
	v_fma_f64 v[30:31], v[15:16], v[61:62], v[30:31]
	v_fma_f64 v[42:43], -v[26:27], v[63:64], v[30:31]
	v_fma_f64 v[26:27], v[26:27], v[61:62], v[28:29]
	v_fma_f64 v[47:48], v[15:16], v[63:64], v[26:27]
	v_cvt_f64_f32_e32 v[26:27], v37
	v_cvt_f64_f32_e32 v[15:16], v36
	v_fma_f64 v[22:23], v[26:27], v[61:62], v[22:23]
	v_fma_f64 v[24:25], v[15:16], v[61:62], v[24:25]
	;; [unrolled: 1-line block ×3, first 2 shown]
	v_cvt_f64_f32_e32 v[15:16], v38
	v_cvt_f64_f32_e32 v[22:23], v39
	v_fma_f64 v[36:37], -v[26:27], v[63:64], v[24:25]
	v_fma_f64 v[19:20], v[15:16], v[61:62], v[19:20]
	v_fma_f64 v[17:18], v[22:23], v[61:62], v[17:18]
	v_fma_f64 v[19:20], -v[22:23], v[63:64], v[19:20]
	v_fma_f64 v[38:39], v[15:16], v[63:64], v[17:18]
	global_load_dwordx4 v[15:18], v[11:12], off offset:112
	global_load_dwordx4 v[22:25], v[11:12], off offset:96
	;; [unrolled: 1-line block ×4, first 2 shown]
	global_load_dword v10, v[13:14], off offset:128
	s_waitcnt vmcnt(1)
	v_cvt_f64_f32_e32 v[51:52], v30
	v_cvt_f64_f32_e32 v[30:31], v31
	s_waitcnt vmcnt(0)
	v_subrev_u32_e32 v10, s16, v10
	v_fma_f64 v[45:46], v[51:52], v[57:58], v[45:46]
	v_fma_f64 v[45:46], -v[30:31], v[59:60], v[45:46]
	v_fma_f64 v[30:31], v[30:31], v[57:58], v[40:41]
	v_cvt_f64_f32_e32 v[40:41], v32
	v_cvt_f64_f32_e32 v[32:33], v33
	v_fma_f64 v[42:43], v[40:41], v[57:58], v[42:43]
	v_fma_f64 v[30:31], v[51:52], v[59:60], v[30:31]
	v_fma_f64 v[42:43], -v[32:33], v[59:60], v[42:43]
	v_fma_f64 v[32:33], v[32:33], v[57:58], v[47:48]
	v_fma_f64 v[32:33], v[40:41], v[59:60], v[32:33]
	v_cvt_f64_f32_e32 v[40:41], v26
	v_cvt_f64_f32_e32 v[26:27], v27
	v_fma_f64 v[36:37], v[40:41], v[57:58], v[36:37]
	v_fma_f64 v[36:37], -v[26:27], v[59:60], v[36:37]
	v_fma_f64 v[26:27], v[26:27], v[57:58], v[49:50]
	v_fma_f64 v[26:27], v[40:41], v[59:60], v[26:27]
	v_cvt_f64_f32_e32 v[40:41], v28
	v_cvt_f64_f32_e32 v[28:29], v29
	v_fma_f64 v[19:20], v[40:41], v[57:58], v[19:20]
	v_fma_f64 v[19:20], -v[28:29], v[59:60], v[19:20]
	v_fma_f64 v[28:29], v[28:29], v[57:58], v[38:39]
	v_cvt_f64_f32_e32 v[38:39], v22
	v_cvt_f64_f32_e32 v[22:23], v23
	v_fma_f64 v[28:29], v[40:41], v[59:60], v[28:29]
	v_fma_f64 v[40:41], v[38:39], v[53:54], v[45:46]
	v_fma_f64 v[57:58], -v[22:23], v[55:56], v[40:41]
	v_fma_f64 v[22:23], v[22:23], v[53:54], v[30:31]
	v_fma_f64 v[59:60], v[38:39], v[55:56], v[22:23]
	v_cvt_f64_f32_e32 v[22:23], v24
	v_cvt_f64_f32_e32 v[24:25], v25
	v_fma_f64 v[30:31], v[22:23], v[53:54], v[42:43]
	v_fma_f64 v[61:62], -v[24:25], v[55:56], v[30:31]
	v_fma_f64 v[24:25], v[24:25], v[53:54], v[32:33]
	v_fma_f64 v[63:64], v[22:23], v[55:56], v[24:25]
	v_cvt_f64_f32_e32 v[22:23], v15
	v_cvt_f64_f32_e32 v[15:16], v16
	v_fma_f64 v[24:25], v[22:23], v[53:54], v[36:37]
	v_lshlrev_b32_e32 v36, 2, v10
	v_ashrrev_i32_e32 v37, 31, v36
	v_lshlrev_b64 v[36:37], 4, v[36:37]
	v_fma_f64 v[65:66], -v[15:16], v[55:56], v[24:25]
	v_fma_f64 v[15:16], v[15:16], v[53:54], v[26:27]
	v_fma_f64 v[67:68], v[22:23], v[55:56], v[15:16]
	v_cvt_f64_f32_e32 v[15:16], v17
	v_cvt_f64_f32_e32 v[17:18], v18
	v_fma_f64 v[19:20], v[15:16], v[53:54], v[19:20]
	v_fma_f64 v[69:70], -v[17:18], v[55:56], v[19:20]
	v_fma_f64 v[17:18], v[17:18], v[53:54], v[28:29]
	v_fma_f64 v[53:54], v[15:16], v[55:56], v[17:18]
	v_add_co_u32_e32 v55, vcc, s7, v11
	v_addc_co_u32_e32 v56, vcc, 0, v12, vcc
	v_add_co_u32_e32 v15, vcc, s13, v11
	v_addc_co_u32_e32 v16, vcc, 0, v12, vcc
	v_add_co_u32_e32 v73, vcc, s6, v36
	global_load_dwordx4 v[17:20], v[15:16], off offset:-4096
	global_load_dwordx4 v[22:25], v[55:56], off offset:48
	global_load_dwordx4 v[26:29], v[55:56], off offset:32
	;; [unrolled: 1-line block ×3, first 2 shown]
	v_addc_co_u32_e32 v74, vcc, v35, v37, vcc
	global_load_dwordx4 v[36:39], v[73:74], off offset:48
	global_load_dwordx4 v[40:43], v[73:74], off offset:32
	global_load_dwordx4 v[45:48], v[73:74], off offset:16
	global_load_dwordx4 v[49:52], v[73:74], off
	s_waitcnt vmcnt(7)
	v_cvt_f64_f32_e32 v[71:72], v17
	v_cvt_f64_f32_e32 v[17:18], v18
	s_waitcnt vmcnt(0)
	v_fma_f64 v[57:58], v[71:72], v[49:50], v[57:58]
	v_fma_f64 v[57:58], -v[17:18], v[51:52], v[57:58]
	v_fma_f64 v[17:18], v[17:18], v[49:50], v[59:60]
	v_cvt_f64_f32_e32 v[59:60], v19
	v_cvt_f64_f32_e32 v[19:20], v20
	v_fma_f64 v[61:62], v[59:60], v[49:50], v[61:62]
	v_fma_f64 v[17:18], v[71:72], v[51:52], v[17:18]
	v_fma_f64 v[61:62], -v[19:20], v[51:52], v[61:62]
	v_fma_f64 v[19:20], v[19:20], v[49:50], v[63:64]
	v_fma_f64 v[19:20], v[59:60], v[51:52], v[19:20]
	v_cvt_f64_f32_e32 v[59:60], v30
	v_cvt_f64_f32_e32 v[30:31], v31
	v_fma_f64 v[63:64], v[59:60], v[49:50], v[65:66]
	v_fma_f64 v[63:64], -v[30:31], v[51:52], v[63:64]
	v_fma_f64 v[30:31], v[30:31], v[49:50], v[67:68]
	v_fma_f64 v[30:31], v[59:60], v[51:52], v[30:31]
	v_cvt_f64_f32_e32 v[59:60], v32
	v_cvt_f64_f32_e32 v[32:33], v33
	v_fma_f64 v[65:66], v[59:60], v[49:50], v[69:70]
	v_fma_f64 v[65:66], -v[32:33], v[51:52], v[65:66]
	v_fma_f64 v[32:33], v[32:33], v[49:50], v[53:54]
	v_cvt_f64_f32_e32 v[49:50], v26
	v_cvt_f64_f32_e32 v[26:27], v27
	v_fma_f64 v[17:18], v[26:27], v[45:46], v[17:18]
	v_fma_f64 v[32:33], v[59:60], v[51:52], v[32:33]
	;; [unrolled: 1-line block ×4, first 2 shown]
	v_cvt_f64_f32_e32 v[17:18], v28
	v_fma_f64 v[51:52], -v[26:27], v[47:48], v[51:52]
	v_cvt_f64_f32_e32 v[26:27], v29
	v_fma_f64 v[28:29], v[17:18], v[45:46], v[61:62]
	v_fma_f64 v[19:20], v[26:27], v[45:46], v[19:20]
	v_fma_f64 v[53:54], -v[26:27], v[47:48], v[28:29]
	v_fma_f64 v[57:58], v[17:18], v[47:48], v[19:20]
	v_cvt_f64_f32_e32 v[17:18], v22
	v_cvt_f64_f32_e32 v[19:20], v23
	v_fma_f64 v[22:23], v[17:18], v[45:46], v[63:64]
	v_fma_f64 v[59:60], -v[19:20], v[47:48], v[22:23]
	v_fma_f64 v[19:20], v[19:20], v[45:46], v[30:31]
	v_fma_f64 v[61:62], v[17:18], v[47:48], v[19:20]
	v_cvt_f64_f32_e32 v[17:18], v24
	v_cvt_f64_f32_e32 v[19:20], v25
	v_fma_f64 v[22:23], v[17:18], v[45:46], v[65:66]
	v_fma_f64 v[63:64], -v[19:20], v[47:48], v[22:23]
	v_fma_f64 v[19:20], v[19:20], v[45:46], v[32:33]
	v_fma_f64 v[45:46], v[17:18], v[47:48], v[19:20]
	global_load_dwordx4 v[17:20], v[55:56], off offset:112
	global_load_dwordx4 v[22:25], v[55:56], off offset:96
	;; [unrolled: 1-line block ×4, first 2 shown]
	global_load_dword v10, v[13:14], off offset:256
	s_waitcnt vmcnt(1)
	v_cvt_f64_f32_e32 v[47:48], v30
	v_cvt_f64_f32_e32 v[30:31], v31
	s_waitcnt vmcnt(0)
	v_subrev_u32_e32 v10, s16, v10
	v_fma_f64 v[51:52], v[47:48], v[40:41], v[51:52]
	v_fma_f64 v[51:52], -v[30:31], v[42:43], v[51:52]
	v_fma_f64 v[30:31], v[30:31], v[40:41], v[49:50]
	v_fma_f64 v[30:31], v[47:48], v[42:43], v[30:31]
	v_cvt_f64_f32_e32 v[47:48], v32
	v_cvt_f64_f32_e32 v[32:33], v33
	v_fma_f64 v[49:50], v[47:48], v[40:41], v[53:54]
	v_fma_f64 v[49:50], -v[32:33], v[42:43], v[49:50]
	v_fma_f64 v[32:33], v[32:33], v[40:41], v[57:58]
	v_fma_f64 v[32:33], v[47:48], v[42:43], v[32:33]
	v_cvt_f64_f32_e32 v[47:48], v26
	v_cvt_f64_f32_e32 v[26:27], v27
	;; [unrolled: 6-line block ×3, first 2 shown]
	v_fma_f64 v[55:56], v[47:48], v[40:41], v[63:64]
	v_fma_f64 v[55:56], -v[28:29], v[42:43], v[55:56]
	v_fma_f64 v[28:29], v[28:29], v[40:41], v[45:46]
	v_cvt_f64_f32_e32 v[40:41], v22
	v_cvt_f64_f32_e32 v[22:23], v23
	v_fma_f64 v[28:29], v[47:48], v[42:43], v[28:29]
	v_fma_f64 v[42:43], v[40:41], v[36:37], v[51:52]
	v_fma_f64 v[57:58], -v[22:23], v[38:39], v[42:43]
	v_fma_f64 v[22:23], v[22:23], v[36:37], v[30:31]
	v_fma_f64 v[59:60], v[40:41], v[38:39], v[22:23]
	v_cvt_f64_f32_e32 v[22:23], v24
	v_cvt_f64_f32_e32 v[24:25], v25
	v_fma_f64 v[30:31], v[22:23], v[36:37], v[49:50]
	v_fma_f64 v[61:62], -v[24:25], v[38:39], v[30:31]
	v_fma_f64 v[24:25], v[24:25], v[36:37], v[32:33]
	v_fma_f64 v[63:64], v[22:23], v[38:39], v[24:25]
	v_cvt_f64_f32_e32 v[22:23], v17
	v_cvt_f64_f32_e32 v[17:18], v18
	;; [unrolled: 6-line block ×3, first 2 shown]
	v_fma_f64 v[22:23], v[17:18], v[36:37], v[55:56]
	v_fma_f64 v[55:56], -v[19:20], v[38:39], v[22:23]
	v_fma_f64 v[19:20], v[19:20], v[36:37], v[28:29]
	v_lshlrev_b32_e32 v36, 2, v10
	v_ashrrev_i32_e32 v37, 31, v36
	v_lshlrev_b64 v[36:37], 4, v[36:37]
	v_add_co_u32_e32 v71, vcc, s6, v36
	v_addc_co_u32_e32 v72, vcc, v35, v37, vcc
	v_fma_f64 v[67:68], v[17:18], v[38:39], v[19:20]
	global_load_dwordx4 v[17:20], v[15:16], off
	global_load_dwordx4 v[22:25], v[15:16], off offset:48
	global_load_dwordx4 v[26:29], v[15:16], off offset:32
	;; [unrolled: 1-line block ×6, first 2 shown]
	global_load_dwordx4 v[49:52], v[71:72], off
	s_waitcnt vmcnt(7)
	v_cvt_f64_f32_e32 v[69:70], v17
	v_cvt_f64_f32_e32 v[17:18], v18
	s_waitcnt vmcnt(0)
	v_fma_f64 v[57:58], v[69:70], v[49:50], v[57:58]
	v_fma_f64 v[57:58], -v[17:18], v[51:52], v[57:58]
	v_fma_f64 v[17:18], v[17:18], v[49:50], v[59:60]
	v_cvt_f64_f32_e32 v[59:60], v19
	v_cvt_f64_f32_e32 v[19:20], v20
	v_fma_f64 v[61:62], v[59:60], v[49:50], v[61:62]
	v_fma_f64 v[17:18], v[69:70], v[51:52], v[17:18]
	v_fma_f64 v[61:62], -v[19:20], v[51:52], v[61:62]
	v_fma_f64 v[19:20], v[19:20], v[49:50], v[63:64]
	v_fma_f64 v[19:20], v[59:60], v[51:52], v[19:20]
	v_cvt_f64_f32_e32 v[59:60], v30
	v_cvt_f64_f32_e32 v[30:31], v31
	v_fma_f64 v[53:54], v[59:60], v[49:50], v[53:54]
	v_fma_f64 v[53:54], -v[30:31], v[51:52], v[53:54]
	v_fma_f64 v[30:31], v[30:31], v[49:50], v[65:66]
	v_fma_f64 v[30:31], v[59:60], v[51:52], v[30:31]
	v_cvt_f64_f32_e32 v[59:60], v32
	v_cvt_f64_f32_e32 v[32:33], v33
	v_fma_f64 v[55:56], v[59:60], v[49:50], v[55:56]
	v_fma_f64 v[55:56], -v[32:33], v[51:52], v[55:56]
	v_fma_f64 v[32:33], v[32:33], v[49:50], v[67:68]
	v_cvt_f64_f32_e32 v[49:50], v26
	v_cvt_f64_f32_e32 v[26:27], v27
	v_fma_f64 v[17:18], v[26:27], v[45:46], v[17:18]
	v_fma_f64 v[32:33], v[59:60], v[51:52], v[32:33]
	;; [unrolled: 1-line block ×4, first 2 shown]
	v_cvt_f64_f32_e32 v[17:18], v28
	v_fma_f64 v[51:52], -v[26:27], v[47:48], v[51:52]
	v_cvt_f64_f32_e32 v[26:27], v29
	v_fma_f64 v[28:29], v[17:18], v[45:46], v[61:62]
	v_fma_f64 v[19:20], v[26:27], v[45:46], v[19:20]
	v_fma_f64 v[57:58], -v[26:27], v[47:48], v[28:29]
	v_fma_f64 v[59:60], v[17:18], v[47:48], v[19:20]
	v_cvt_f64_f32_e32 v[17:18], v22
	v_cvt_f64_f32_e32 v[19:20], v23
	v_fma_f64 v[22:23], v[17:18], v[45:46], v[53:54]
	v_fma_f64 v[53:54], -v[19:20], v[47:48], v[22:23]
	v_fma_f64 v[19:20], v[19:20], v[45:46], v[30:31]
	v_fma_f64 v[30:31], v[17:18], v[47:48], v[19:20]
	v_cvt_f64_f32_e32 v[17:18], v24
	v_cvt_f64_f32_e32 v[19:20], v25
	v_fma_f64 v[22:23], v[17:18], v[45:46], v[55:56]
	v_fma_f64 v[55:56], -v[19:20], v[47:48], v[22:23]
	v_fma_f64 v[19:20], v[19:20], v[45:46], v[32:33]
	v_fma_f64 v[32:33], v[17:18], v[47:48], v[19:20]
	global_load_dwordx4 v[45:48], v[15:16], off offset:112
	global_load_dwordx4 v[17:20], v[15:16], off offset:96
	;; [unrolled: 1-line block ×4, first 2 shown]
	global_load_dword v10, v[13:14], off offset:384
	s_waitcnt vmcnt(1)
	v_cvt_f64_f32_e32 v[15:16], v26
	v_cvt_f64_f32_e32 v[26:27], v27
	s_waitcnt vmcnt(0)
	v_subrev_u32_e32 v10, s16, v10
	v_lshlrev_b32_e32 v13, 2, v10
	v_fma_f64 v[51:52], v[15:16], v[40:41], v[51:52]
	v_ashrrev_i32_e32 v14, 31, v13
	v_lshlrev_b64 v[13:14], 4, v[13:14]
	v_fma_f64 v[51:52], -v[26:27], v[42:43], v[51:52]
	v_fma_f64 v[26:27], v[26:27], v[40:41], v[49:50]
	v_fma_f64 v[15:16], v[15:16], v[42:43], v[26:27]
	v_cvt_f64_f32_e32 v[26:27], v28
	v_cvt_f64_f32_e32 v[28:29], v29
	v_fma_f64 v[49:50], v[26:27], v[40:41], v[57:58]
	v_fma_f64 v[49:50], -v[28:29], v[42:43], v[49:50]
	v_fma_f64 v[28:29], v[28:29], v[40:41], v[59:60]
	v_fma_f64 v[26:27], v[26:27], v[42:43], v[28:29]
	v_cvt_f64_f32_e32 v[28:29], v22
	v_cvt_f64_f32_e32 v[22:23], v23
	v_fma_f64 v[53:54], v[28:29], v[40:41], v[53:54]
	;; [unrolled: 6-line block ×3, first 2 shown]
	v_fma_f64 v[55:56], -v[24:25], v[42:43], v[30:31]
	v_fma_f64 v[24:25], v[24:25], v[40:41], v[32:33]
	v_cvt_f64_f32_e32 v[40:41], v48
	v_fma_f64 v[32:33], v[28:29], v[42:43], v[24:25]
	v_cvt_f64_f32_e32 v[24:25], v17
	v_cvt_f64_f32_e32 v[17:18], v18
	v_fma_f64 v[28:29], v[24:25], v[36:37], v[51:52]
	v_fma_f64 v[15:16], v[17:18], v[36:37], v[15:16]
	;; [unrolled: 1-line block ×3, first 2 shown]
	v_fma_f64 v[28:29], -v[17:18], v[38:39], v[28:29]
	v_fma_f64 v[30:31], v[24:25], v[38:39], v[15:16]
	v_cvt_f64_f32_e32 v[15:16], v19
	v_cvt_f64_f32_e32 v[17:18], v20
	v_fma_f64 v[19:20], v[15:16], v[36:37], v[49:50]
	v_fma_f64 v[24:25], -v[17:18], v[38:39], v[19:20]
	v_fma_f64 v[17:18], v[17:18], v[36:37], v[26:27]
	v_fma_f64 v[26:27], v[15:16], v[38:39], v[17:18]
	v_cvt_f64_f32_e32 v[15:16], v45
	v_cvt_f64_f32_e32 v[17:18], v46
	v_fma_f64 v[19:20], v[15:16], v[36:37], v[53:54]
	v_fma_f64 v[19:20], -v[17:18], v[38:39], v[19:20]
	v_fma_f64 v[17:18], v[17:18], v[36:37], v[22:23]
	v_fma_f64 v[22:23], v[15:16], v[38:39], v[17:18]
	v_cvt_f64_f32_e32 v[17:18], v47
	v_fma_f64 v[15:16], v[17:18], v[36:37], v[55:56]
	v_fma_f64 v[17:18], v[17:18], v[38:39], v[32:33]
	v_add_co_u32_e32 v32, vcc, s14, v11
	v_addc_co_u32_e32 v33, vcc, 0, v12, vcc
	v_add_co_u32_e32 v13, vcc, s6, v13
	v_fma_f64 v[15:16], -v[40:41], v[38:39], v[15:16]
	global_load_dwordx4 v[36:39], v[32:33], off
	global_load_dwordx4 v[40:43], v[32:33], off offset:48
	global_load_dwordx4 v[45:48], v[32:33], off offset:32
	;; [unrolled: 1-line block ×3, first 2 shown]
	v_addc_co_u32_e32 v14, vcc, v35, v14, vcc
	global_load_dwordx4 v[53:56], v[13:14], off offset:48
	global_load_dwordx4 v[57:60], v[13:14], off offset:32
	;; [unrolled: 1-line block ×3, first 2 shown]
	global_load_dwordx4 v[65:68], v[13:14], off
	v_add_co_u32_e32 v11, vcc, 0x4000, v11
	v_addc_co_u32_e32 v12, vcc, 0, v12, vcc
	s_waitcnt vmcnt(7)
	v_cvt_f64_f32_e32 v[69:70], v36
	v_cvt_f64_f32_e32 v[36:37], v37
	s_waitcnt vmcnt(0)
	v_fma_f64 v[13:14], v[69:70], v[65:66], v[28:29]
	v_fma_f64 v[28:29], v[36:37], v[65:66], v[30:31]
	v_cvt_f64_f32_e32 v[30:31], v38
	v_fma_f64 v[24:25], v[30:31], v[65:66], v[24:25]
	v_fma_f64 v[13:14], -v[36:37], v[67:68], v[13:14]
	v_cvt_f64_f32_e32 v[36:37], v39
	v_fma_f64 v[28:29], v[69:70], v[67:68], v[28:29]
	v_fma_f64 v[26:27], v[36:37], v[65:66], v[26:27]
	v_fma_f64 v[24:25], -v[36:37], v[67:68], v[24:25]
	v_cvt_f64_f32_e32 v[36:37], v50
	v_fma_f64 v[22:23], v[36:37], v[65:66], v[22:23]
	v_fma_f64 v[26:27], v[30:31], v[67:68], v[26:27]
	v_cvt_f64_f32_e32 v[30:31], v49
	v_fma_f64 v[19:20], v[30:31], v[65:66], v[19:20]
	v_fma_f64 v[22:23], v[30:31], v[67:68], v[22:23]
	v_cvt_f64_f32_e32 v[30:31], v51
	v_fma_f64 v[15:16], v[30:31], v[65:66], v[15:16]
	v_fma_f64 v[19:20], -v[36:37], v[67:68], v[19:20]
	v_cvt_f64_f32_e32 v[36:37], v52
	v_fma_f64 v[17:18], v[36:37], v[65:66], v[17:18]
	v_fma_f64 v[15:16], -v[36:37], v[67:68], v[15:16]
	v_cvt_f64_f32_e32 v[36:37], v46
	v_fma_f64 v[17:18], v[30:31], v[67:68], v[17:18]
	v_cvt_f64_f32_e32 v[30:31], v45
	v_fma_f64 v[13:14], v[30:31], v[61:62], v[13:14]
	v_fma_f64 v[38:39], -v[36:37], v[63:64], v[13:14]
	v_fma_f64 v[13:14], v[36:37], v[61:62], v[28:29]
	v_cvt_f64_f32_e32 v[28:29], v48
	v_fma_f64 v[30:31], v[30:31], v[63:64], v[13:14]
	v_cvt_f64_f32_e32 v[13:14], v47
	v_fma_f64 v[24:25], v[13:14], v[61:62], v[24:25]
	v_fma_f64 v[36:37], -v[28:29], v[63:64], v[24:25]
	v_fma_f64 v[24:25], v[28:29], v[61:62], v[26:27]
	v_fma_f64 v[45:46], v[13:14], v[63:64], v[24:25]
	v_cvt_f64_f32_e32 v[13:14], v40
	v_cvt_f64_f32_e32 v[24:25], v41
	v_fma_f64 v[19:20], v[13:14], v[61:62], v[19:20]
	v_fma_f64 v[40:41], -v[24:25], v[63:64], v[19:20]
	v_fma_f64 v[19:20], v[24:25], v[61:62], v[22:23]
	v_fma_f64 v[47:48], v[13:14], v[63:64], v[19:20]
	v_cvt_f64_f32_e32 v[13:14], v42
	v_cvt_f64_f32_e32 v[19:20], v43
	v_fma_f64 v[15:16], v[13:14], v[61:62], v[15:16]
	v_fma_f64 v[42:43], -v[19:20], v[63:64], v[15:16]
	v_fma_f64 v[15:16], v[19:20], v[61:62], v[17:18]
	v_fma_f64 v[49:50], v[13:14], v[63:64], v[15:16]
	global_load_dwordx4 v[13:16], v[32:33], off offset:112
	global_load_dwordx4 v[17:20], v[32:33], off offset:96
	;; [unrolled: 1-line block ×4, first 2 shown]
	s_waitcnt vmcnt(0)
	v_cvt_f64_f32_e32 v[32:33], v26
	v_cvt_f64_f32_e32 v[26:27], v27
	v_fma_f64 v[38:39], v[32:33], v[57:58], v[38:39]
	v_fma_f64 v[38:39], -v[26:27], v[59:60], v[38:39]
	v_fma_f64 v[26:27], v[26:27], v[57:58], v[30:31]
	v_cvt_f64_f32_e32 v[30:31], v28
	v_cvt_f64_f32_e32 v[28:29], v29
	v_fma_f64 v[26:27], v[32:33], v[59:60], v[26:27]
	v_fma_f64 v[32:33], v[30:31], v[57:58], v[36:37]
	v_fma_f64 v[36:37], -v[28:29], v[59:60], v[32:33]
	v_fma_f64 v[28:29], v[28:29], v[57:58], v[45:46]
	v_fma_f64 v[28:29], v[30:31], v[59:60], v[28:29]
	v_cvt_f64_f32_e32 v[30:31], v22
	v_cvt_f64_f32_e32 v[22:23], v23
	v_fma_f64 v[32:33], v[30:31], v[57:58], v[40:41]
	v_fma_f64 v[40:41], -v[22:23], v[59:60], v[32:33]
	v_fma_f64 v[22:23], v[22:23], v[57:58], v[47:48]
	v_fma_f64 v[22:23], v[30:31], v[59:60], v[22:23]
	v_cvt_f64_f32_e32 v[30:31], v24
	v_cvt_f64_f32_e32 v[24:25], v25
	;; [unrolled: 6-line block ×6, first 2 shown]
	v_fma_f64 v[17:18], v[13:14], v[53:54], v[42:43]
	v_fma_f64 v[19:20], -v[15:16], v[55:56], v[17:18]
	v_fma_f64 v[15:16], v[15:16], v[53:54], v[45:46]
	v_fma_f64 v[17:18], v[13:14], v[55:56], v[15:16]
	s_andn2_b64 exec, exec, s[10:11]
	s_cbranch_execnz .LBB168_31
; %bb.32:
	s_or_b64 exec, exec, s[10:11]
.LBB168_33:
	s_or_b64 exec, exec, s[8:9]
.LBB168_34:
	s_or_b64 exec, exec, s[2:3]
.LBB168_35:
	v_mov_b32_dpp v9, v32 row_shr:1 row_mask:0xf bank_mask:0xf
	v_mov_b32_dpp v10, v33 row_shr:1 row_mask:0xf bank_mask:0xf
	v_add_f64 v[9:10], v[32:33], v[9:10]
	v_mov_b32_dpp v11, v26 row_shr:1 row_mask:0xf bank_mask:0xf
	v_mov_b32_dpp v12, v27 row_shr:1 row_mask:0xf bank_mask:0xf
	v_add_f64 v[11:12], v[26:27], v[11:12]
	v_mov_b32_dpp v13, v30 row_shr:1 row_mask:0xf bank_mask:0xf
	v_mov_b32_dpp v16, v29 row_shr:1 row_mask:0xf bank_mask:0xf
	v_cmp_eq_u32_e32 vcc, 31, v0
	v_mov_b32_dpp v14, v9 row_shr:2 row_mask:0xf bank_mask:0xf
	v_mov_b32_dpp v15, v10 row_shr:2 row_mask:0xf bank_mask:0xf
	v_add_f64 v[9:10], v[9:10], v[14:15]
	v_mov_b32_dpp v14, v31 row_shr:1 row_mask:0xf bank_mask:0xf
	v_mov_b32_dpp v26, v11 row_shr:2 row_mask:0xf bank_mask:0xf
	;; [unrolled: 1-line block ×4, first 2 shown]
	v_add_f64 v[13:14], v[30:31], v[13:14]
	v_add_f64 v[11:12], v[11:12], v[26:27]
	;; [unrolled: 1-line block ×3, first 2 shown]
	v_mov_b32_dpp v26, v9 row_shr:4 row_mask:0xf bank_mask:0xe
	v_mov_b32_dpp v27, v10 row_shr:4 row_mask:0xf bank_mask:0xe
	v_add_f64 v[9:10], v[9:10], v[26:27]
	v_mov_b32_dpp v26, v13 row_shr:2 row_mask:0xf bank_mask:0xf
	v_mov_b32_dpp v27, v14 row_shr:2 row_mask:0xf bank_mask:0xf
	;; [unrolled: 1-line block ×4, first 2 shown]
	v_add_f64 v[11:12], v[11:12], v[28:29]
	v_add_f64 v[13:14], v[13:14], v[26:27]
	v_mov_b32_dpp v27, v15 row_shr:2 row_mask:0xf bank_mask:0xf
	v_mov_b32_dpp v28, v16 row_shr:2 row_mask:0xf bank_mask:0xf
	v_add_f64 v[15:16], v[15:16], v[27:28]
	v_mov_b32_dpp v26, v9 row_shr:8 row_mask:0xf bank_mask:0xc
	v_mov_b32_dpp v27, v10 row_shr:8 row_mask:0xf bank_mask:0xc
	;; [unrolled: 3-line block ×3, first 2 shown]
	v_mov_b32_dpp v29, v14 row_shr:4 row_mask:0xf bank_mask:0xe
	v_add_f64 v[13:14], v[13:14], v[28:29]
	v_mov_b32_dpp v28, v15 row_shr:4 row_mask:0xf bank_mask:0xe
	v_mov_b32_dpp v29, v16 row_shr:4 row_mask:0xf bank_mask:0xe
	v_add_f64 v[15:16], v[15:16], v[28:29]
	v_mov_b32_dpp v28, v24 row_shr:1 row_mask:0xf bank_mask:0xf
	;; [unrolled: 3-line block ×3, first 2 shown]
	v_add_f64 v[11:12], v[11:12], v[26:27]
	v_mov_b32_dpp v26, v13 row_shr:8 row_mask:0xf bank_mask:0xc
	v_mov_b32_dpp v27, v14 row_shr:8 row_mask:0xf bank_mask:0xc
	v_add_f64 v[13:14], v[13:14], v[26:27]
	v_mov_b32_dpp v26, v15 row_shr:8 row_mask:0xf bank_mask:0xc
	v_mov_b32_dpp v27, v16 row_shr:8 row_mask:0xf bank_mask:0xc
	v_add_f64 v[15:16], v[15:16], v[26:27]
	v_mov_b32_dpp v26, v24 row_shr:2 row_mask:0xf bank_mask:0xf
	v_mov_b32_dpp v27, v25 row_shr:2 row_mask:0xf bank_mask:0xf
	v_add_f64 v[32:33], v[24:25], v[26:27]
	v_mov_b32_dpp v30, v9 row_bcast:15 row_mask:0xa bank_mask:0xf
	v_mov_b32_dpp v31, v10 row_bcast:15 row_mask:0xa bank_mask:0xf
	;; [unrolled: 1-line block ×7, first 2 shown]
	v_mov_b32_dpp v34, v32 row_shr:4 row_mask:0xf bank_mask:0xe
	v_mov_b32_dpp v35, v33 row_shr:4 row_mask:0xf bank_mask:0xe
	v_add_f64 v[32:33], v[32:33], v[34:35]
	v_mov_b32_dpp v34, v22 row_shr:1 row_mask:0xf bank_mask:0xf
	v_mov_b32_dpp v35, v23 row_shr:1 row_mask:0xf bank_mask:0xf
	v_add_f64 v[22:23], v[22:23], v[34:35]
	;; [unrolled: 3-line block ×4, first 2 shown]
	v_mov_b32_dpp v34, v32 row_shr:8 row_mask:0xf bank_mask:0xc
	v_mov_b32_dpp v35, v22 row_shr:2 row_mask:0xf bank_mask:0xf
	;; [unrolled: 1-line block ×3, first 2 shown]
	v_add_f64 v[22:23], v[22:23], v[35:36]
	v_mov_b32_dpp v35, v19 row_shr:2 row_mask:0xf bank_mask:0xf
	v_mov_b32_dpp v36, v20 row_shr:2 row_mask:0xf bank_mask:0xf
	v_add_f64 v[19:20], v[19:20], v[35:36]
	v_mov_b32_dpp v35, v17 row_shr:2 row_mask:0xf bank_mask:0xf
	v_mov_b32_dpp v36, v18 row_shr:2 row_mask:0xf bank_mask:0xf
	;; [unrolled: 3-line block ×3, first 2 shown]
	v_mov_b32_dpp v37, v23 row_shr:4 row_mask:0xf bank_mask:0xe
	v_add_f64 v[22:23], v[22:23], v[36:37]
	v_mov_b32_dpp v36, v19 row_shr:4 row_mask:0xf bank_mask:0xe
	v_mov_b32_dpp v37, v20 row_shr:4 row_mask:0xf bank_mask:0xe
	v_add_f64 v[36:37], v[19:20], v[36:37]
	v_mov_b32_dpp v19, v17 row_shr:4 row_mask:0xf bank_mask:0xe
	v_mov_b32_dpp v20, v18 row_shr:4 row_mask:0xf bank_mask:0xe
	v_add_f64 v[38:39], v[17:18], v[19:20]
	v_add_f64 v[17:18], v[32:33], v[34:35]
	v_mov_b32_dpp v19, v22 row_shr:8 row_mask:0xf bank_mask:0xc
	v_mov_b32_dpp v20, v23 row_shr:8 row_mask:0xf bank_mask:0xc
	v_add_f64 v[19:20], v[22:23], v[19:20]
	v_mov_b32_dpp v22, v36 row_shr:8 row_mask:0xf bank_mask:0xc
	v_mov_b32_dpp v23, v37 row_shr:8 row_mask:0xf bank_mask:0xc
	;; [unrolled: 3-line block ×3, first 2 shown]
	v_add_f64 v[32:33], v[38:39], v[32:33]
	v_mov_b32_dpp v25, v16 row_bcast:15 row_mask:0xa bank_mask:0xf
	v_mov_b32_dpp v40, v17 row_bcast:15 row_mask:0xa bank_mask:0xf
	;; [unrolled: 1-line block ×9, first 2 shown]
	s_and_b64 exec, exec, vcc
	s_cbranch_execz .LBB168_8
; %bb.36:
	v_add_f64 v[11:12], v[11:12], v[28:29]
	v_add_f64 v[26:27], v[13:14], v[26:27]
	;; [unrolled: 1-line block ×8, first 2 shown]
	v_mul_f64 v[19:20], v[11:12], -v[7:8]
	v_mul_f64 v[11:12], v[5:6], v[11:12]
	v_mul_f64 v[28:29], v[13:14], -v[7:8]
	v_mul_f64 v[30:31], v[5:6], v[13:14]
	v_mul_f64 v[32:33], v[15:16], -v[7:8]
	v_mul_f64 v[34:35], v[5:6], v[15:16]
	v_mul_f64 v[36:37], v[17:18], -v[7:8]
	v_mul_f64 v[38:39], v[5:6], v[17:18]
	v_cmp_eq_f64_e32 vcc, 0, v[1:2]
	v_cmp_eq_f64_e64 s[0:1], 0, v[3:4]
	v_fma_f64 v[17:18], v[5:6], v[9:10], v[19:20]
	v_fma_f64 v[19:20], v[7:8], v[9:10], v[11:12]
	;; [unrolled: 1-line block ×8, first 2 shown]
	s_load_dwordx2 s[2:3], s[4:5], 0x60
	s_and_b64 s[0:1], vcc, s[0:1]
	v_lshlrev_b32_e32 v21, 2, v21
	s_and_saveexec_b64 s[4:5], s[0:1]
	s_xor_b64 s[0:1], exec, s[4:5]
	s_cbranch_execz .LBB168_38
; %bb.37:
	v_ashrrev_i32_e32 v22, 31, v21
	v_lshlrev_b64 v[0:1], 4, v[21:22]
	s_waitcnt lgkmcnt(0)
	v_mov_b32_e32 v2, s3
	v_add_co_u32_e32 v0, vcc, s2, v0
	v_addc_co_u32_e32 v1, vcc, v2, v1, vcc
	global_store_dwordx4 v[0:1], v[17:20], off
	global_store_dwordx4 v[0:1], v[13:16], off offset:16
	global_store_dwordx4 v[0:1], v[9:12], off offset:32
	;; [unrolled: 1-line block ×3, first 2 shown]
                                        ; implicit-def: $vgpr3_vgpr4
                                        ; implicit-def: $vgpr17_vgpr18
                                        ; implicit-def: $vgpr21
                                        ; implicit-def: $vgpr13_vgpr14
                                        ; implicit-def: $vgpr9_vgpr10
                                        ; implicit-def: $vgpr5_vgpr6
.LBB168_38:
	s_andn2_saveexec_b64 s[0:1], s[0:1]
	s_cbranch_execz .LBB168_8
; %bb.39:
	v_ashrrev_i32_e32 v22, 31, v21
	v_lshlrev_b64 v[21:22], 4, v[21:22]
	s_waitcnt lgkmcnt(0)
	v_mov_b32_e32 v0, s3
	v_add_co_u32_e32 v37, vcc, s2, v21
	v_addc_co_u32_e32 v38, vcc, v0, v22, vcc
	global_load_dwordx4 v[21:24], v[37:38], off
	global_load_dwordx4 v[25:28], v[37:38], off offset:16
	global_load_dwordx4 v[29:32], v[37:38], off offset:32
	;; [unrolled: 1-line block ×3, first 2 shown]
	s_waitcnt vmcnt(3)
	v_fma_f64 v[17:18], v[1:2], v[21:22], v[17:18]
	v_fma_f64 v[19:20], v[3:4], v[21:22], v[19:20]
	s_waitcnt vmcnt(2)
	v_fma_f64 v[13:14], v[1:2], v[25:26], v[13:14]
	v_fma_f64 v[15:16], v[3:4], v[25:26], v[15:16]
	;; [unrolled: 3-line block ×4, first 2 shown]
	v_fma_f64 v[5:6], -v[3:4], v[23:24], v[17:18]
	v_fma_f64 v[7:8], v[1:2], v[23:24], v[19:20]
	v_fma_f64 v[9:10], -v[3:4], v[27:28], v[13:14]
	v_fma_f64 v[11:12], v[1:2], v[27:28], v[15:16]
	;; [unrolled: 2-line block ×4, first 2 shown]
	global_store_dwordx4 v[37:38], v[5:8], off
	global_store_dwordx4 v[37:38], v[9:12], off offset:16
	global_store_dwordx4 v[37:38], v[13:16], off offset:32
	;; [unrolled: 1-line block ×3, first 2 shown]
	s_endpgm
	.section	.rodata,"a",@progbits
	.p2align	6, 0x0
	.amdhsa_kernel _ZN9rocsparseL18bsrxmvn_4x4_kernelILj128ELj32E21rocsparse_complex_numIdEiiS1_IfES2_S2_EEvT3_20rocsparse_direction_NS_24const_host_device_scalarIT1_EES4_PKS4_PKT2_SD_SA_PKT4_PKT5_S8_PT6_21rocsparse_index_base_b
		.amdhsa_group_segment_fixed_size 0
		.amdhsa_private_segment_fixed_size 0
		.amdhsa_kernarg_size 112
		.amdhsa_user_sgpr_count 6
		.amdhsa_user_sgpr_private_segment_buffer 1
		.amdhsa_user_sgpr_dispatch_ptr 0
		.amdhsa_user_sgpr_queue_ptr 0
		.amdhsa_user_sgpr_kernarg_segment_ptr 1
		.amdhsa_user_sgpr_dispatch_id 0
		.amdhsa_user_sgpr_flat_scratch_init 0
		.amdhsa_user_sgpr_private_segment_size 0
		.amdhsa_uses_dynamic_stack 0
		.amdhsa_system_sgpr_private_segment_wavefront_offset 0
		.amdhsa_system_sgpr_workgroup_id_x 1
		.amdhsa_system_sgpr_workgroup_id_y 0
		.amdhsa_system_sgpr_workgroup_id_z 0
		.amdhsa_system_sgpr_workgroup_info 0
		.amdhsa_system_vgpr_workitem_id 0
		.amdhsa_next_free_vgpr 83
		.amdhsa_next_free_sgpr 20
		.amdhsa_reserve_vcc 1
		.amdhsa_reserve_flat_scratch 0
		.amdhsa_float_round_mode_32 0
		.amdhsa_float_round_mode_16_64 0
		.amdhsa_float_denorm_mode_32 3
		.amdhsa_float_denorm_mode_16_64 3
		.amdhsa_dx10_clamp 1
		.amdhsa_ieee_mode 1
		.amdhsa_fp16_overflow 0
		.amdhsa_exception_fp_ieee_invalid_op 0
		.amdhsa_exception_fp_denorm_src 0
		.amdhsa_exception_fp_ieee_div_zero 0
		.amdhsa_exception_fp_ieee_overflow 0
		.amdhsa_exception_fp_ieee_underflow 0
		.amdhsa_exception_fp_ieee_inexact 0
		.amdhsa_exception_int_div_zero 0
	.end_amdhsa_kernel
	.section	.text._ZN9rocsparseL18bsrxmvn_4x4_kernelILj128ELj32E21rocsparse_complex_numIdEiiS1_IfES2_S2_EEvT3_20rocsparse_direction_NS_24const_host_device_scalarIT1_EES4_PKS4_PKT2_SD_SA_PKT4_PKT5_S8_PT6_21rocsparse_index_base_b,"axG",@progbits,_ZN9rocsparseL18bsrxmvn_4x4_kernelILj128ELj32E21rocsparse_complex_numIdEiiS1_IfES2_S2_EEvT3_20rocsparse_direction_NS_24const_host_device_scalarIT1_EES4_PKS4_PKT2_SD_SA_PKT4_PKT5_S8_PT6_21rocsparse_index_base_b,comdat
.Lfunc_end168:
	.size	_ZN9rocsparseL18bsrxmvn_4x4_kernelILj128ELj32E21rocsparse_complex_numIdEiiS1_IfES2_S2_EEvT3_20rocsparse_direction_NS_24const_host_device_scalarIT1_EES4_PKS4_PKT2_SD_SA_PKT4_PKT5_S8_PT6_21rocsparse_index_base_b, .Lfunc_end168-_ZN9rocsparseL18bsrxmvn_4x4_kernelILj128ELj32E21rocsparse_complex_numIdEiiS1_IfES2_S2_EEvT3_20rocsparse_direction_NS_24const_host_device_scalarIT1_EES4_PKS4_PKT2_SD_SA_PKT4_PKT5_S8_PT6_21rocsparse_index_base_b
                                        ; -- End function
	.set _ZN9rocsparseL18bsrxmvn_4x4_kernelILj128ELj32E21rocsparse_complex_numIdEiiS1_IfES2_S2_EEvT3_20rocsparse_direction_NS_24const_host_device_scalarIT1_EES4_PKS4_PKT2_SD_SA_PKT4_PKT5_S8_PT6_21rocsparse_index_base_b.num_vgpr, 83
	.set _ZN9rocsparseL18bsrxmvn_4x4_kernelILj128ELj32E21rocsparse_complex_numIdEiiS1_IfES2_S2_EEvT3_20rocsparse_direction_NS_24const_host_device_scalarIT1_EES4_PKS4_PKT2_SD_SA_PKT4_PKT5_S8_PT6_21rocsparse_index_base_b.num_agpr, 0
	.set _ZN9rocsparseL18bsrxmvn_4x4_kernelILj128ELj32E21rocsparse_complex_numIdEiiS1_IfES2_S2_EEvT3_20rocsparse_direction_NS_24const_host_device_scalarIT1_EES4_PKS4_PKT2_SD_SA_PKT4_PKT5_S8_PT6_21rocsparse_index_base_b.numbered_sgpr, 20
	.set _ZN9rocsparseL18bsrxmvn_4x4_kernelILj128ELj32E21rocsparse_complex_numIdEiiS1_IfES2_S2_EEvT3_20rocsparse_direction_NS_24const_host_device_scalarIT1_EES4_PKS4_PKT2_SD_SA_PKT4_PKT5_S8_PT6_21rocsparse_index_base_b.num_named_barrier, 0
	.set _ZN9rocsparseL18bsrxmvn_4x4_kernelILj128ELj32E21rocsparse_complex_numIdEiiS1_IfES2_S2_EEvT3_20rocsparse_direction_NS_24const_host_device_scalarIT1_EES4_PKS4_PKT2_SD_SA_PKT4_PKT5_S8_PT6_21rocsparse_index_base_b.private_seg_size, 0
	.set _ZN9rocsparseL18bsrxmvn_4x4_kernelILj128ELj32E21rocsparse_complex_numIdEiiS1_IfES2_S2_EEvT3_20rocsparse_direction_NS_24const_host_device_scalarIT1_EES4_PKS4_PKT2_SD_SA_PKT4_PKT5_S8_PT6_21rocsparse_index_base_b.uses_vcc, 1
	.set _ZN9rocsparseL18bsrxmvn_4x4_kernelILj128ELj32E21rocsparse_complex_numIdEiiS1_IfES2_S2_EEvT3_20rocsparse_direction_NS_24const_host_device_scalarIT1_EES4_PKS4_PKT2_SD_SA_PKT4_PKT5_S8_PT6_21rocsparse_index_base_b.uses_flat_scratch, 0
	.set _ZN9rocsparseL18bsrxmvn_4x4_kernelILj128ELj32E21rocsparse_complex_numIdEiiS1_IfES2_S2_EEvT3_20rocsparse_direction_NS_24const_host_device_scalarIT1_EES4_PKS4_PKT2_SD_SA_PKT4_PKT5_S8_PT6_21rocsparse_index_base_b.has_dyn_sized_stack, 0
	.set _ZN9rocsparseL18bsrxmvn_4x4_kernelILj128ELj32E21rocsparse_complex_numIdEiiS1_IfES2_S2_EEvT3_20rocsparse_direction_NS_24const_host_device_scalarIT1_EES4_PKS4_PKT2_SD_SA_PKT4_PKT5_S8_PT6_21rocsparse_index_base_b.has_recursion, 0
	.set _ZN9rocsparseL18bsrxmvn_4x4_kernelILj128ELj32E21rocsparse_complex_numIdEiiS1_IfES2_S2_EEvT3_20rocsparse_direction_NS_24const_host_device_scalarIT1_EES4_PKS4_PKT2_SD_SA_PKT4_PKT5_S8_PT6_21rocsparse_index_base_b.has_indirect_call, 0
	.section	.AMDGPU.csdata,"",@progbits
; Kernel info:
; codeLenInByte = 10896
; TotalNumSgprs: 24
; NumVgprs: 83
; ScratchSize: 0
; MemoryBound: 0
; FloatMode: 240
; IeeeMode: 1
; LDSByteSize: 0 bytes/workgroup (compile time only)
; SGPRBlocks: 2
; VGPRBlocks: 20
; NumSGPRsForWavesPerEU: 24
; NumVGPRsForWavesPerEU: 83
; Occupancy: 3
; WaveLimiterHint : 1
; COMPUTE_PGM_RSRC2:SCRATCH_EN: 0
; COMPUTE_PGM_RSRC2:USER_SGPR: 6
; COMPUTE_PGM_RSRC2:TRAP_HANDLER: 0
; COMPUTE_PGM_RSRC2:TGID_X_EN: 1
; COMPUTE_PGM_RSRC2:TGID_Y_EN: 0
; COMPUTE_PGM_RSRC2:TGID_Z_EN: 0
; COMPUTE_PGM_RSRC2:TIDIG_COMP_CNT: 0
	.section	.text._ZN9rocsparseL18bsrxmvn_4x4_kernelILj128ELj64E21rocsparse_complex_numIdEiiS1_IfES2_S2_EEvT3_20rocsparse_direction_NS_24const_host_device_scalarIT1_EES4_PKS4_PKT2_SD_SA_PKT4_PKT5_S8_PT6_21rocsparse_index_base_b,"axG",@progbits,_ZN9rocsparseL18bsrxmvn_4x4_kernelILj128ELj64E21rocsparse_complex_numIdEiiS1_IfES2_S2_EEvT3_20rocsparse_direction_NS_24const_host_device_scalarIT1_EES4_PKS4_PKT2_SD_SA_PKT4_PKT5_S8_PT6_21rocsparse_index_base_b,comdat
	.globl	_ZN9rocsparseL18bsrxmvn_4x4_kernelILj128ELj64E21rocsparse_complex_numIdEiiS1_IfES2_S2_EEvT3_20rocsparse_direction_NS_24const_host_device_scalarIT1_EES4_PKS4_PKT2_SD_SA_PKT4_PKT5_S8_PT6_21rocsparse_index_base_b ; -- Begin function _ZN9rocsparseL18bsrxmvn_4x4_kernelILj128ELj64E21rocsparse_complex_numIdEiiS1_IfES2_S2_EEvT3_20rocsparse_direction_NS_24const_host_device_scalarIT1_EES4_PKS4_PKT2_SD_SA_PKT4_PKT5_S8_PT6_21rocsparse_index_base_b
	.p2align	8
	.type	_ZN9rocsparseL18bsrxmvn_4x4_kernelILj128ELj64E21rocsparse_complex_numIdEiiS1_IfES2_S2_EEvT3_20rocsparse_direction_NS_24const_host_device_scalarIT1_EES4_PKS4_PKT2_SD_SA_PKT4_PKT5_S8_PT6_21rocsparse_index_base_b,@function
_ZN9rocsparseL18bsrxmvn_4x4_kernelILj128ELj64E21rocsparse_complex_numIdEiiS1_IfES2_S2_EEvT3_20rocsparse_direction_NS_24const_host_device_scalarIT1_EES4_PKS4_PKT2_SD_SA_PKT4_PKT5_S8_PT6_21rocsparse_index_base_b: ; @_ZN9rocsparseL18bsrxmvn_4x4_kernelILj128ELj64E21rocsparse_complex_numIdEiiS1_IfES2_S2_EEvT3_20rocsparse_direction_NS_24const_host_device_scalarIT1_EES4_PKS4_PKT2_SD_SA_PKT4_PKT5_S8_PT6_21rocsparse_index_base_b
; %bb.0:
	s_load_dwordx2 s[0:1], s[4:5], 0x8
	s_load_dwordx2 s[16:17], s[4:5], 0x68
	s_add_u32 s7, s4, 8
	s_addc_u32 s8, s5, 0
	s_add_u32 s9, s4, 0x50
	s_addc_u32 s10, s5, 0
	s_waitcnt lgkmcnt(0)
	s_bitcmp1_b32 s17, 0
	s_cselect_b32 s1, s8, s1
	s_cselect_b32 s0, s7, s0
	v_mov_b32_e32 v1, s0
	v_mov_b32_e32 v2, s1
	flat_load_dwordx4 v[5:8], v[1:2]
	s_load_dwordx2 s[2:3], s[4:5], 0x50
	s_waitcnt lgkmcnt(0)
	s_cselect_b32 s0, s10, s3
	s_cselect_b32 s1, s9, s2
	v_mov_b32_e32 v1, s1
	v_mov_b32_e32 v2, s0
	flat_load_dwordx4 v[1:4], v[1:2]
	s_waitcnt vmcnt(0)
	v_cmp_eq_f64_e32 vcc, 0, v[5:6]
	v_cmp_eq_f64_e64 s[0:1], 0, v[7:8]
	s_and_b64 s[8:9], vcc, s[0:1]
	s_mov_b64 s[0:1], -1
	s_and_saveexec_b64 s[2:3], s[8:9]
	s_cbranch_execz .LBB169_2
; %bb.1:
	s_waitcnt lgkmcnt(0)
	v_cmp_neq_f64_e32 vcc, 1.0, v[1:2]
	v_cmp_neq_f64_e64 s[0:1], 0, v[3:4]
	s_or_b64 s[0:1], vcc, s[0:1]
	s_orn2_b64 s[0:1], s[0:1], exec
.LBB169_2:
	s_or_b64 exec, exec, s[2:3]
	s_and_saveexec_b64 s[2:3], s[0:1]
	s_cbranch_execz .LBB169_8
; %bb.3:
	s_load_dwordx2 s[8:9], s[4:5], 0x20
	s_load_dwordx2 s[0:1], s[4:5], 0x0
	v_lshrrev_b32_e32 v9, 6, v0
	v_lshl_or_b32 v21, s6, 1, v9
	s_mov_b64 s[2:3], 0
	s_waitcnt lgkmcnt(0)
	s_cmp_lg_u64 s[8:9], 0
	s_cbranch_scc0 .LBB169_9
; %bb.4:
	s_load_dword s6, s[4:5], 0x18
                                        ; implicit-def: $vgpr9
	s_waitcnt lgkmcnt(0)
	v_cmp_gt_i32_e32 vcc, s6, v21
	s_and_saveexec_b64 s[6:7], vcc
	s_xor_b64 s[6:7], exec, s[6:7]
	s_cbranch_execz .LBB169_6
; %bb.5:
	v_ashrrev_i32_e32 v22, 31, v21
	v_lshlrev_b64 v[9:10], 2, v[21:22]
	v_mov_b32_e32 v11, s9
	v_add_co_u32_e32 v9, vcc, s8, v9
	v_addc_co_u32_e32 v10, vcc, v11, v10, vcc
	global_load_dword v9, v[9:10], off
	s_mov_b64 s[2:3], exec
	s_waitcnt vmcnt(0)
	v_subrev_u32_e32 v9, s16, v9
.LBB169_6:
	s_or_b64 exec, exec, s[6:7]
	s_branch .LBB169_10
.LBB169_7:
	v_cmp_gt_i32_e32 vcc, s0, v21
	s_andn2_b64 s[2:3], s[2:3], exec
	s_and_b64 s[6:7], vcc, exec
	s_or_b64 s[2:3], s[2:3], s[6:7]
	s_and_b64 exec, exec, s[2:3]
	s_cbranch_execnz .LBB169_11
.LBB169_8:
	s_endpgm
.LBB169_9:
                                        ; implicit-def: $vgpr9
	s_cbranch_execnz .LBB169_7
.LBB169_10:
	v_mov_b32_e32 v21, v9
	s_and_b64 exec, exec, s[2:3]
	s_cbranch_execz .LBB169_8
.LBB169_11:
	s_load_dwordx8 s[8:15], s[4:5], 0x28
	v_ashrrev_i32_e32 v22, 31, v21
	v_lshlrev_b64 v[9:10], 2, v[21:22]
	v_and_b32_e32 v0, 63, v0
	s_load_dwordx2 s[6:7], s[4:5], 0x48
	s_waitcnt lgkmcnt(0)
	v_mov_b32_e32 v12, s9
	v_add_co_u32_e32 v11, vcc, s8, v9
	v_addc_co_u32_e32 v12, vcc, v12, v10, vcc
	global_load_dword v39, v[11:12], off
	v_add_co_u32_e32 v11, vcc, 4, v11
	v_addc_co_u32_e32 v12, vcc, 0, v12, vcc
	v_mov_b32_e32 v13, s11
	v_add_co_u32_e32 v9, vcc, s10, v9
	s_cmp_eq_u64 s[10:11], 0
	v_addc_co_u32_e32 v10, vcc, v13, v10, vcc
	s_cselect_b64 vcc, -1, 0
	v_cndmask_b32_e32 v10, v10, v12, vcc
	v_cndmask_b32_e32 v9, v9, v11, vcc
	global_load_dword v9, v[9:10], off
	v_mov_b32_e32 v11, s15
	s_cmp_eq_u32 s1, 1
	s_waitcnt vmcnt(1)
	v_subrev_u32_e32 v10, s16, v39
	v_add_u32_e32 v13, v10, v0
	v_ashrrev_i32_e32 v14, 31, v13
	s_waitcnt vmcnt(0)
	v_subrev_u32_e32 v38, s16, v9
	v_lshlrev_b64 v[9:10], 7, v[13:14]
	v_cmp_lt_i32_e64 s[0:1], v13, v38
	v_add_co_u32_e32 v15, vcc, s14, v9
	v_addc_co_u32_e32 v16, vcc, v11, v10, vcc
	s_cbranch_scc1 .LBB169_23
; %bb.12:
	v_mov_b32_e32 v30, 0
	v_mov_b32_e32 v34, 0
	;; [unrolled: 1-line block ×16, first 2 shown]
	s_and_saveexec_b64 s[8:9], s[0:1]
	s_cbranch_execz .LBB169_22
; %bb.13:
	v_add_u32_e32 v9, v39, v0
	v_subrev_u32_e32 v9, s16, v9
	v_add_u32_e32 v9, 64, v9
	v_max_i32_e32 v9, v9, v38
	v_not_b32_e32 v10, v39
	v_add3_u32 v9, s16, v9, v10
	v_sub_u32_e32 v11, v9, v0
	s_movk_i32 s2, 0xc0
	v_and_b32_e32 v9, 0xc0, v11
	v_cmp_ne_u32_e32 vcc, s2, v9
	v_mov_b32_e32 v26, 0
	v_mov_b32_e32 v9, 0
	;; [unrolled: 1-line block ×19, first 2 shown]
	s_and_saveexec_b64 s[10:11], vcc
	s_cbranch_execz .LBB169_17
; %bb.14:
	v_lshrrev_b32_e32 v9, 6, v11
	v_add_u32_e32 v9, 1, v9
	v_and_b32_e32 v9, 3, v9
	v_sub_u32_e32 v12, 0, v9
	v_mov_b32_e32 v30, 0
	v_mov_b32_e32 v34, 0
	;; [unrolled: 1-line block ×10, first 2 shown]
	s_mov_b64 s[14:15], 0
	v_mov_b32_e32 v14, s13
	v_mov_b32_e32 v36, s7
	;; [unrolled: 1-line block ×11, first 2 shown]
.LBB169_15:                             ; =>This Inner Loop Header: Depth=1
	v_ashrrev_i32_e32 v18, 31, v17
	v_lshlrev_b64 v[44:45], 2, v[17:18]
	global_load_dwordx4 v[40:43], v[19:20], off
	v_add_co_u32_e32 v44, vcc, s12, v44
	v_addc_co_u32_e32 v45, vcc, v14, v45, vcc
	global_load_dword v18, v[44:45], off
	v_add_co_u32_e64 v12, s[2:3], 1, v12
	s_or_b64 s[14:15], s[2:3], s[14:15]
	v_add_u32_e32 v17, 64, v17
	s_waitcnt vmcnt(1)
	v_cvt_f64_f32_e32 v[48:49], v40
	v_cvt_f64_f32_e32 v[40:41], v41
	s_waitcnt vmcnt(0)
	v_subrev_u32_e32 v18, s16, v18
	v_lshlrev_b32_e32 v44, 2, v18
	v_ashrrev_i32_e32 v45, 31, v44
	v_lshlrev_b64 v[44:45], 4, v[44:45]
	v_add_co_u32_e32 v52, vcc, s6, v44
	v_addc_co_u32_e32 v53, vcc, v36, v45, vcc
	global_load_dwordx4 v[44:47], v[52:53], off
	s_waitcnt vmcnt(0)
	v_fma_f64 v[34:35], v[48:49], v[44:45], v[34:35]
	v_fma_f64 v[30:31], v[40:41], v[44:45], v[30:31]
	v_fma_f64 v[34:35], -v[40:41], v[46:47], v[34:35]
	v_fma_f64 v[40:41], v[48:49], v[46:47], v[30:31]
	global_load_dwordx4 v[48:51], v[19:20], off offset:32
	s_waitcnt vmcnt(0)
	v_cvt_f64_f32_e32 v[30:31], v48
	v_cvt_f64_f32_e32 v[48:49], v49
	v_fma_f64 v[32:33], v[30:31], v[44:45], v[32:33]
	v_fma_f64 v[28:29], v[48:49], v[44:45], v[28:29]
	v_fma_f64 v[32:33], -v[48:49], v[46:47], v[32:33]
	v_fma_f64 v[48:49], v[30:31], v[46:47], v[28:29]
	global_load_dwordx4 v[28:31], v[19:20], off offset:64
	s_waitcnt vmcnt(0)
	v_cvt_f64_f32_e32 v[54:55], v28
	v_cvt_f64_f32_e32 v[28:29], v29
	v_fma_f64 v[24:25], v[54:55], v[44:45], v[24:25]
	v_fma_f64 v[22:23], v[28:29], v[44:45], v[22:23]
	v_fma_f64 v[28:29], -v[28:29], v[46:47], v[24:25]
	v_fma_f64 v[54:55], v[54:55], v[46:47], v[22:23]
	global_load_dwordx4 v[22:25], v[19:20], off offset:96
	s_waitcnt vmcnt(0)
	v_cvt_f64_f32_e32 v[56:57], v22
	v_cvt_f64_f32_e32 v[22:23], v23
	v_cvt_f64_f32_e32 v[58:59], v24
	v_cvt_f64_f32_e32 v[60:61], v25
	v_fma_f64 v[26:27], v[56:57], v[44:45], v[26:27]
	v_fma_f64 v[9:10], v[22:23], v[44:45], v[9:10]
	v_cvt_f64_f32_e32 v[44:45], v42
	v_cvt_f64_f32_e32 v[42:43], v43
	v_fma_f64 v[26:27], -v[22:23], v[46:47], v[26:27]
	global_load_dwordx4 v[22:25], v[52:53], off offset:16
	v_fma_f64 v[9:10], v[56:57], v[46:47], v[9:10]
	v_cvt_f64_f32_e32 v[46:47], v50
	v_cvt_f64_f32_e32 v[50:51], v51
	v_cvt_f64_f32_e32 v[56:57], v30
	v_cvt_f64_f32_e32 v[30:31], v31
	s_waitcnt vmcnt(0)
	v_fma_f64 v[34:35], v[44:45], v[22:23], v[34:35]
	v_fma_f64 v[40:41], v[42:43], v[22:23], v[40:41]
	;; [unrolled: 1-line block ×6, first 2 shown]
	v_fma_f64 v[34:35], -v[42:43], v[24:25], v[34:35]
	v_fma_f64 v[42:43], v[50:51], v[22:23], v[48:49]
	v_fma_f64 v[40:41], v[44:45], v[24:25], v[40:41]
	v_fma_f64 v[44:45], -v[50:51], v[24:25], v[32:33]
	v_fma_f64 v[32:33], v[30:31], v[22:23], v[54:55]
	v_fma_f64 v[50:51], -v[60:61], v[24:25], v[26:27]
	v_fma_f64 v[9:10], v[58:59], v[24:25], v[9:10]
	v_fma_f64 v[42:43], v[46:47], v[24:25], v[42:43]
	v_fma_f64 v[46:47], -v[30:31], v[24:25], v[28:29]
	global_load_dwordx4 v[26:29], v[19:20], off offset:16
	v_fma_f64 v[48:49], v[56:57], v[24:25], v[32:33]
	global_load_dwordx4 v[22:25], v[52:53], off offset:32
	s_waitcnt vmcnt(1)
	v_cvt_f64_f32_e32 v[30:31], v26
	v_cvt_f64_f32_e32 v[26:27], v27
	s_waitcnt vmcnt(0)
	v_fma_f64 v[32:33], v[30:31], v[22:23], v[34:35]
	v_fma_f64 v[34:35], v[26:27], v[22:23], v[40:41]
	v_fma_f64 v[26:27], -v[26:27], v[24:25], v[32:33]
	v_fma_f64 v[34:35], v[30:31], v[24:25], v[34:35]
	global_load_dwordx4 v[30:33], v[19:20], off offset:48
	s_waitcnt vmcnt(0)
	v_cvt_f64_f32_e32 v[40:41], v30
	v_cvt_f64_f32_e32 v[30:31], v31
	v_fma_f64 v[44:45], v[40:41], v[22:23], v[44:45]
	v_fma_f64 v[42:43], v[30:31], v[22:23], v[42:43]
	v_fma_f64 v[54:55], -v[30:31], v[24:25], v[44:45]
	v_fma_f64 v[56:57], v[40:41], v[24:25], v[42:43]
	global_load_dwordx4 v[40:43], v[19:20], off offset:80
	s_waitcnt vmcnt(0)
	v_cvt_f64_f32_e32 v[30:31], v40
	v_cvt_f64_f32_e32 v[40:41], v41
	;; [unrolled: 1-line block ×3, first 2 shown]
	v_fma_f64 v[44:45], v[30:31], v[22:23], v[46:47]
	v_fma_f64 v[46:47], v[40:41], v[22:23], v[48:49]
	v_fma_f64 v[48:49], -v[40:41], v[24:25], v[44:45]
	v_fma_f64 v[58:59], v[30:31], v[24:25], v[46:47]
	global_load_dwordx4 v[44:47], v[19:20], off offset:112
	v_add_co_u32_e32 v19, vcc, 0x2000, v19
	v_addc_co_u32_e32 v20, vcc, 0, v20, vcc
	s_waitcnt vmcnt(0)
	v_cvt_f64_f32_e32 v[30:31], v44
	v_cvt_f64_f32_e32 v[44:45], v45
	;; [unrolled: 1-line block ×4, first 2 shown]
	v_fma_f64 v[40:41], v[30:31], v[22:23], v[50:51]
	v_fma_f64 v[9:10], v[44:45], v[22:23], v[9:10]
	v_cvt_f64_f32_e32 v[50:51], v42
	v_fma_f64 v[22:23], -v[44:45], v[24:25], v[40:41]
	global_load_dwordx4 v[40:43], v[52:53], off offset:48
	v_fma_f64 v[9:10], v[30:31], v[24:25], v[9:10]
	v_cvt_f64_f32_e32 v[24:25], v28
	v_cvt_f64_f32_e32 v[28:29], v29
	;; [unrolled: 1-line block ×4, first 2 shown]
	s_waitcnt vmcnt(0)
	v_fma_f64 v[26:27], v[24:25], v[40:41], v[26:27]
	v_fma_f64 v[30:31], v[28:29], v[40:41], v[34:35]
	v_fma_f64 v[9:10], v[46:47], v[40:41], v[9:10]
	v_fma_f64 v[34:35], -v[28:29], v[42:43], v[26:27]
	v_fma_f64 v[30:31], v[24:25], v[42:43], v[30:31]
	v_fma_f64 v[24:25], v[44:45], v[40:41], v[54:55]
	v_fma_f64 v[26:27], v[32:33], v[40:41], v[56:57]
	v_fma_f64 v[9:10], v[62:63], v[42:43], v[9:10]
	v_fma_f64 v[32:33], -v[32:33], v[42:43], v[24:25]
	v_fma_f64 v[28:29], v[44:45], v[42:43], v[26:27]
	;; [unrolled: 5-line block ×3, first 2 shown]
	v_fma_f64 v[26:27], -v[46:47], v[42:43], v[44:45]
	s_andn2_b64 exec, exec, s[14:15]
	s_cbranch_execnz .LBB169_15
; %bb.16:
	s_or_b64 exec, exec, s[14:15]
.LBB169_17:
	s_or_b64 exec, exec, s[10:11]
	s_movk_i32 s2, 0xbf
	v_cmp_lt_u32_e32 vcc, s2, v11
	s_and_saveexec_b64 s[10:11], vcc
	s_cbranch_execz .LBB169_21
; %bb.18:
	s_mov_b64 s[14:15], 0
	v_mov_b32_e32 v14, s13
	v_mov_b32_e32 v40, s7
	s_movk_i32 s17, 0x2000
	s_movk_i32 s18, 0x4000
	;; [unrolled: 1-line block ×3, first 2 shown]
.LBB169_19:                             ; =>This Inner Loop Header: Depth=1
	v_ashrrev_i32_e32 v18, 31, v17
	v_lshlrev_b64 v[11:12], 2, v[17:18]
	v_add_u32_e32 v17, 0x100, v17
	v_add_co_u32_e32 v11, vcc, s12, v11
	v_addc_co_u32_e32 v12, vcc, v14, v12, vcc
	global_load_dword v18, v[11:12], off
	global_load_dwordx4 v[41:44], v[19:20], off offset:48
	global_load_dwordx4 v[45:48], v[19:20], off offset:32
	;; [unrolled: 1-line block ×3, first 2 shown]
	global_load_dwordx4 v[53:56], v[19:20], off
	v_cmp_ge_i32_e64 s[2:3], v17, v38
	s_or_b64 s[14:15], s[2:3], s[14:15]
	s_waitcnt vmcnt(4)
	v_subrev_u32_e32 v18, s16, v18
	v_lshlrev_b32_e32 v36, 2, v18
	v_ashrrev_i32_e32 v37, 31, v36
	v_lshlrev_b64 v[36:37], 4, v[36:37]
	s_waitcnt vmcnt(0)
	v_cvt_f64_f32_e32 v[73:74], v53
	v_add_co_u32_e32 v36, vcc, s6, v36
	v_addc_co_u32_e32 v37, vcc, v40, v37, vcc
	global_load_dwordx4 v[57:60], v[36:37], off offset:48
	global_load_dwordx4 v[61:64], v[36:37], off offset:32
	;; [unrolled: 1-line block ×3, first 2 shown]
	global_load_dwordx4 v[69:72], v[36:37], off
	v_cvt_f64_f32_e32 v[53:54], v54
	v_cvt_f64_f32_e32 v[36:37], v55
	s_waitcnt vmcnt(0)
	v_fma_f64 v[34:35], v[73:74], v[69:70], v[34:35]
	v_fma_f64 v[30:31], v[53:54], v[69:70], v[30:31]
	v_fma_f64 v[34:35], -v[53:54], v[71:72], v[34:35]
	v_fma_f64 v[30:31], v[73:74], v[71:72], v[30:31]
	v_cvt_f64_f32_e32 v[53:54], v56
	v_fma_f64 v[34:35], v[36:37], v[65:66], v[34:35]
	v_fma_f64 v[30:31], v[53:54], v[65:66], v[30:31]
	v_fma_f64 v[34:35], -v[53:54], v[67:68], v[34:35]
	v_fma_f64 v[30:31], v[36:37], v[67:68], v[30:31]
	v_cvt_f64_f32_e32 v[36:37], v49
	v_cvt_f64_f32_e32 v[49:50], v50
	v_fma_f64 v[34:35], v[36:37], v[61:62], v[34:35]
	v_fma_f64 v[30:31], v[49:50], v[61:62], v[30:31]
	v_fma_f64 v[34:35], -v[49:50], v[63:64], v[34:35]
	v_fma_f64 v[30:31], v[36:37], v[63:64], v[30:31]
	v_cvt_f64_f32_e32 v[36:37], v51
	;; [unrolled: 6-line block ×6, first 2 shown]
	v_cvt_f64_f32_e32 v[34:35], v44
	v_fma_f64 v[32:33], v[30:31], v[57:58], v[32:33]
	v_fma_f64 v[28:29], v[34:35], v[57:58], v[28:29]
	v_fma_f64 v[77:78], -v[34:35], v[59:60], v[32:33]
	v_fma_f64 v[79:80], v[30:31], v[59:60], v[28:29]
	global_load_dwordx4 v[28:31], v[19:20], off offset:112
	global_load_dwordx4 v[32:35], v[19:20], off offset:96
	;; [unrolled: 1-line block ×4, first 2 shown]
	global_load_dword v18, v[11:12], off offset:256
	s_waitcnt vmcnt(1)
	v_cvt_f64_f32_e32 v[36:37], v45
	v_cvt_f64_f32_e32 v[45:46], v46
	s_waitcnt vmcnt(0)
	v_subrev_u32_e32 v18, s16, v18
	v_fma_f64 v[24:25], v[36:37], v[69:70], v[24:25]
	v_fma_f64 v[22:23], v[45:46], v[69:70], v[22:23]
	v_fma_f64 v[24:25], -v[45:46], v[71:72], v[24:25]
	v_fma_f64 v[22:23], v[36:37], v[71:72], v[22:23]
	v_cvt_f64_f32_e32 v[36:37], v47
	v_cvt_f64_f32_e32 v[45:46], v48
	v_fma_f64 v[24:25], v[36:37], v[65:66], v[24:25]
	v_fma_f64 v[22:23], v[45:46], v[65:66], v[22:23]
	v_fma_f64 v[24:25], -v[45:46], v[67:68], v[24:25]
	v_fma_f64 v[22:23], v[36:37], v[67:68], v[22:23]
	v_cvt_f64_f32_e32 v[36:37], v41
	v_cvt_f64_f32_e32 v[41:42], v42
	v_fma_f64 v[24:25], v[36:37], v[61:62], v[24:25]
	v_fma_f64 v[22:23], v[41:42], v[61:62], v[22:23]
	v_fma_f64 v[24:25], -v[41:42], v[63:64], v[24:25]
	v_fma_f64 v[22:23], v[36:37], v[63:64], v[22:23]
	v_cvt_f64_f32_e32 v[36:37], v43
	v_cvt_f64_f32_e32 v[41:42], v44
	v_fma_f64 v[24:25], v[36:37], v[57:58], v[24:25]
	v_fma_f64 v[22:23], v[41:42], v[57:58], v[22:23]
	v_fma_f64 v[81:82], -v[41:42], v[59:60], v[24:25]
	v_fma_f64 v[83:84], v[36:37], v[59:60], v[22:23]
	v_cvt_f64_f32_e32 v[22:23], v32
	v_cvt_f64_f32_e32 v[24:25], v33
	v_lshlrev_b32_e32 v41, 2, v18
	v_ashrrev_i32_e32 v42, 31, v41
	v_fma_f64 v[26:27], v[22:23], v[69:70], v[26:27]
	v_fma_f64 v[9:10], v[24:25], v[69:70], v[9:10]
	v_lshlrev_b64 v[41:42], 4, v[41:42]
	v_fma_f64 v[26:27], -v[24:25], v[71:72], v[26:27]
	v_fma_f64 v[9:10], v[22:23], v[71:72], v[9:10]
	v_cvt_f64_f32_e32 v[22:23], v34
	v_cvt_f64_f32_e32 v[24:25], v35
	v_fma_f64 v[26:27], v[22:23], v[65:66], v[26:27]
	v_fma_f64 v[9:10], v[24:25], v[65:66], v[9:10]
	v_fma_f64 v[26:27], -v[24:25], v[67:68], v[26:27]
	v_fma_f64 v[9:10], v[22:23], v[67:68], v[9:10]
	v_cvt_f64_f32_e32 v[22:23], v28
	v_cvt_f64_f32_e32 v[24:25], v29
	v_fma_f64 v[26:27], v[22:23], v[61:62], v[26:27]
	v_fma_f64 v[9:10], v[24:25], v[61:62], v[9:10]
	;; [unrolled: 6-line block ×3, first 2 shown]
	v_add_co_u32_e32 v57, vcc, s17, v19
	v_addc_co_u32_e32 v58, vcc, 0, v20, vcc
	v_add_co_u32_e32 v63, vcc, s6, v41
	v_fma_f64 v[61:62], -v[24:25], v[59:60], v[26:27]
	v_fma_f64 v[9:10], v[22:23], v[59:60], v[9:10]
	global_load_dwordx4 v[22:25], v[57:58], off
	global_load_dwordx4 v[26:29], v[57:58], off offset:48
	global_load_dwordx4 v[30:33], v[57:58], off offset:32
	;; [unrolled: 1-line block ×3, first 2 shown]
	v_addc_co_u32_e32 v64, vcc, v40, v42, vcc
	global_load_dwordx4 v[41:44], v[63:64], off offset:48
	global_load_dwordx4 v[45:48], v[63:64], off offset:32
	;; [unrolled: 1-line block ×3, first 2 shown]
	global_load_dwordx4 v[53:56], v[63:64], off
	s_waitcnt vmcnt(7)
	v_cvt_f64_f32_e32 v[59:60], v22
	v_cvt_f64_f32_e32 v[22:23], v23
	s_waitcnt vmcnt(0)
	v_fma_f64 v[63:64], v[59:60], v[53:54], v[73:74]
	v_fma_f64 v[63:64], -v[22:23], v[55:56], v[63:64]
	v_fma_f64 v[22:23], v[22:23], v[53:54], v[75:76]
	v_add_co_u32_e32 v75, vcc, s18, v19
	v_addc_co_u32_e32 v76, vcc, 0, v20, vcc
	v_fma_f64 v[22:23], v[59:60], v[55:56], v[22:23]
	v_cvt_f64_f32_e32 v[59:60], v24
	v_cvt_f64_f32_e32 v[24:25], v25
	v_fma_f64 v[63:64], v[59:60], v[49:50], v[63:64]
	v_fma_f64 v[22:23], v[24:25], v[49:50], v[22:23]
	v_fma_f64 v[63:64], -v[24:25], v[51:52], v[63:64]
	v_cvt_f64_f32_e32 v[24:25], v34
	v_cvt_f64_f32_e32 v[34:35], v35
	v_fma_f64 v[22:23], v[59:60], v[51:52], v[22:23]
	v_fma_f64 v[59:60], v[24:25], v[45:46], v[63:64]
	;; [unrolled: 1-line block ×3, first 2 shown]
	v_fma_f64 v[59:60], -v[34:35], v[47:48], v[59:60]
	v_cvt_f64_f32_e32 v[34:35], v37
	v_fma_f64 v[22:23], v[24:25], v[47:48], v[22:23]
	v_cvt_f64_f32_e32 v[24:25], v36
	v_fma_f64 v[36:37], v[24:25], v[41:42], v[59:60]
	v_fma_f64 v[22:23], v[34:35], v[41:42], v[22:23]
	v_fma_f64 v[63:64], -v[34:35], v[43:44], v[36:37]
	v_fma_f64 v[65:66], v[24:25], v[43:44], v[22:23]
	v_cvt_f64_f32_e32 v[22:23], v30
	v_cvt_f64_f32_e32 v[24:25], v31
	v_fma_f64 v[30:31], v[22:23], v[53:54], v[77:78]
	v_fma_f64 v[30:31], -v[24:25], v[55:56], v[30:31]
	v_fma_f64 v[24:25], v[24:25], v[53:54], v[79:80]
	v_fma_f64 v[22:23], v[22:23], v[55:56], v[24:25]
	v_cvt_f64_f32_e32 v[24:25], v32
	v_cvt_f64_f32_e32 v[32:33], v33
	v_fma_f64 v[30:31], v[24:25], v[49:50], v[30:31]
	v_fma_f64 v[22:23], v[32:33], v[49:50], v[22:23]
	v_fma_f64 v[30:31], -v[32:33], v[51:52], v[30:31]
	v_fma_f64 v[22:23], v[24:25], v[51:52], v[22:23]
	v_cvt_f64_f32_e32 v[24:25], v26
	v_cvt_f64_f32_e32 v[26:27], v27
	v_fma_f64 v[30:31], v[24:25], v[45:46], v[30:31]
	v_fma_f64 v[22:23], v[26:27], v[45:46], v[22:23]
	v_fma_f64 v[30:31], -v[26:27], v[47:48], v[30:31]
	v_cvt_f64_f32_e32 v[26:27], v29
	v_fma_f64 v[22:23], v[24:25], v[47:48], v[22:23]
	v_cvt_f64_f32_e32 v[24:25], v28
	v_fma_f64 v[28:29], v[24:25], v[41:42], v[30:31]
	v_fma_f64 v[22:23], v[26:27], v[41:42], v[22:23]
	v_fma_f64 v[67:68], -v[26:27], v[43:44], v[28:29]
	v_fma_f64 v[69:70], v[24:25], v[43:44], v[22:23]
	global_load_dwordx4 v[22:25], v[57:58], off offset:112
	global_load_dwordx4 v[26:29], v[57:58], off offset:96
	;; [unrolled: 1-line block ×4, first 2 shown]
	global_load_dword v18, v[11:12], off offset:512
	s_waitcnt vmcnt(1)
	v_cvt_f64_f32_e32 v[57:58], v34
	v_cvt_f64_f32_e32 v[34:35], v35
	s_waitcnt vmcnt(0)
	v_subrev_u32_e32 v18, s16, v18
	v_fma_f64 v[59:60], v[57:58], v[53:54], v[81:82]
	v_fma_f64 v[59:60], -v[34:35], v[55:56], v[59:60]
	v_fma_f64 v[34:35], v[34:35], v[53:54], v[83:84]
	v_fma_f64 v[34:35], v[57:58], v[55:56], v[34:35]
	v_cvt_f64_f32_e32 v[57:58], v36
	v_cvt_f64_f32_e32 v[36:37], v37
	v_fma_f64 v[59:60], v[57:58], v[49:50], v[59:60]
	v_fma_f64 v[34:35], v[36:37], v[49:50], v[34:35]
	v_fma_f64 v[59:60], -v[36:37], v[51:52], v[59:60]
	v_cvt_f64_f32_e32 v[36:37], v30
	v_cvt_f64_f32_e32 v[30:31], v31
	v_fma_f64 v[34:35], v[57:58], v[51:52], v[34:35]
	v_fma_f64 v[57:58], v[36:37], v[45:46], v[59:60]
	v_fma_f64 v[57:58], -v[30:31], v[47:48], v[57:58]
	v_fma_f64 v[30:31], v[30:31], v[45:46], v[34:35]
	v_cvt_f64_f32_e32 v[34:35], v32
	v_cvt_f64_f32_e32 v[32:33], v33
	v_fma_f64 v[30:31], v[36:37], v[47:48], v[30:31]
	v_fma_f64 v[36:37], v[34:35], v[41:42], v[57:58]
	;; [unrolled: 1-line block ×3, first 2 shown]
	v_fma_f64 v[36:37], -v[32:33], v[43:44], v[36:37]
	v_fma_f64 v[71:72], v[34:35], v[43:44], v[30:31]
	v_cvt_f64_f32_e32 v[30:31], v26
	v_cvt_f64_f32_e32 v[26:27], v27
	v_lshlrev_b32_e32 v34, 2, v18
	v_ashrrev_i32_e32 v35, 31, v34
	v_fma_f64 v[32:33], v[30:31], v[53:54], v[61:62]
	v_fma_f64 v[9:10], v[26:27], v[53:54], v[9:10]
	v_lshlrev_b64 v[34:35], 4, v[34:35]
	v_add_co_u32_e32 v34, vcc, s6, v34
	v_addc_co_u32_e32 v35, vcc, v40, v35, vcc
	v_fma_f64 v[32:33], -v[26:27], v[55:56], v[32:33]
	v_fma_f64 v[9:10], v[30:31], v[55:56], v[9:10]
	v_cvt_f64_f32_e32 v[26:27], v28
	v_cvt_f64_f32_e32 v[28:29], v29
	v_fma_f64 v[30:31], v[26:27], v[49:50], v[32:33]
	v_fma_f64 v[9:10], v[28:29], v[49:50], v[9:10]
	v_fma_f64 v[30:31], -v[28:29], v[51:52], v[30:31]
	v_fma_f64 v[9:10], v[26:27], v[51:52], v[9:10]
	v_cvt_f64_f32_e32 v[26:27], v22
	v_cvt_f64_f32_e32 v[22:23], v23
	v_fma_f64 v[28:29], v[26:27], v[45:46], v[30:31]
	v_fma_f64 v[9:10], v[22:23], v[45:46], v[9:10]
	;; [unrolled: 6-line block ×3, first 2 shown]
	v_fma_f64 v[73:74], -v[24:25], v[43:44], v[26:27]
	v_fma_f64 v[9:10], v[22:23], v[43:44], v[9:10]
	global_load_dwordx4 v[22:25], v[75:76], off
	global_load_dwordx4 v[26:29], v[75:76], off offset:48
	global_load_dwordx4 v[41:44], v[75:76], off offset:32
	;; [unrolled: 1-line block ×6, first 2 shown]
	global_load_dwordx4 v[57:60], v[34:35], off
	s_waitcnt vmcnt(7)
	v_cvt_f64_f32_e32 v[61:62], v22
	v_cvt_f64_f32_e32 v[22:23], v23
	s_waitcnt vmcnt(0)
	v_fma_f64 v[34:35], v[61:62], v[57:58], v[63:64]
	v_fma_f64 v[34:35], -v[22:23], v[59:60], v[34:35]
	v_fma_f64 v[22:23], v[22:23], v[57:58], v[65:66]
	v_fma_f64 v[22:23], v[61:62], v[59:60], v[22:23]
	v_cvt_f64_f32_e32 v[61:62], v24
	v_cvt_f64_f32_e32 v[24:25], v25
	v_fma_f64 v[34:35], v[61:62], v[53:54], v[34:35]
	v_fma_f64 v[22:23], v[24:25], v[53:54], v[22:23]
	v_fma_f64 v[34:35], -v[24:25], v[55:56], v[34:35]
	v_cvt_f64_f32_e32 v[24:25], v30
	v_cvt_f64_f32_e32 v[30:31], v31
	v_fma_f64 v[22:23], v[61:62], v[55:56], v[22:23]
	v_fma_f64 v[34:35], v[24:25], v[49:50], v[34:35]
	;; [unrolled: 1-line block ×3, first 2 shown]
	v_fma_f64 v[34:35], -v[30:31], v[51:52], v[34:35]
	v_fma_f64 v[22:23], v[24:25], v[51:52], v[22:23]
	v_cvt_f64_f32_e32 v[24:25], v32
	v_cvt_f64_f32_e32 v[32:33], v33
	v_fma_f64 v[30:31], v[24:25], v[45:46], v[34:35]
	v_fma_f64 v[22:23], v[32:33], v[45:46], v[22:23]
	v_fma_f64 v[30:31], -v[32:33], v[47:48], v[30:31]
	v_fma_f64 v[34:35], v[24:25], v[47:48], v[22:23]
	v_cvt_f64_f32_e32 v[22:23], v41
	v_cvt_f64_f32_e32 v[24:25], v42
	;; [unrolled: 1-line block ×3, first 2 shown]
	v_fma_f64 v[32:33], v[22:23], v[57:58], v[67:68]
	v_fma_f64 v[32:33], -v[24:25], v[59:60], v[32:33]
	v_fma_f64 v[24:25], v[24:25], v[57:58], v[69:70]
	v_add_co_u32_e32 v69, vcc, s19, v19
	v_addc_co_u32_e32 v70, vcc, 0, v20, vcc
	v_fma_f64 v[22:23], v[22:23], v[59:60], v[24:25]
	v_cvt_f64_f32_e32 v[24:25], v43
	v_fma_f64 v[32:33], v[24:25], v[53:54], v[32:33]
	v_fma_f64 v[22:23], v[41:42], v[53:54], v[22:23]
	v_fma_f64 v[32:33], -v[41:42], v[55:56], v[32:33]
	v_fma_f64 v[22:23], v[24:25], v[55:56], v[22:23]
	v_cvt_f64_f32_e32 v[24:25], v26
	v_cvt_f64_f32_e32 v[26:27], v27
	v_fma_f64 v[32:33], v[24:25], v[49:50], v[32:33]
	v_fma_f64 v[22:23], v[26:27], v[49:50], v[22:23]
	v_fma_f64 v[32:33], -v[26:27], v[51:52], v[32:33]
	v_cvt_f64_f32_e32 v[26:27], v29
	v_fma_f64 v[22:23], v[24:25], v[51:52], v[22:23]
	v_cvt_f64_f32_e32 v[24:25], v28
	v_fma_f64 v[28:29], v[24:25], v[45:46], v[32:33]
	v_fma_f64 v[22:23], v[26:27], v[45:46], v[22:23]
	v_fma_f64 v[28:29], -v[26:27], v[47:48], v[28:29]
	v_fma_f64 v[32:33], v[24:25], v[47:48], v[22:23]
	global_load_dwordx4 v[41:44], v[75:76], off offset:112
	global_load_dwordx4 v[61:64], v[75:76], off offset:96
	;; [unrolled: 1-line block ×4, first 2 shown]
	s_waitcnt vmcnt(0)
	v_cvt_f64_f32_e32 v[26:27], v65
	v_cvt_f64_f32_e32 v[65:66], v66
	v_fma_f64 v[36:37], v[26:27], v[57:58], v[36:37]
	v_fma_f64 v[36:37], -v[65:66], v[59:60], v[36:37]
	v_fma_f64 v[65:66], v[65:66], v[57:58], v[71:72]
	v_fma_f64 v[26:27], v[26:27], v[59:60], v[65:66]
	v_cvt_f64_f32_e32 v[65:66], v67
	v_cvt_f64_f32_e32 v[67:68], v68
	v_fma_f64 v[36:37], v[65:66], v[53:54], v[36:37]
	v_fma_f64 v[26:27], v[67:68], v[53:54], v[26:27]
	v_fma_f64 v[36:37], -v[67:68], v[55:56], v[36:37]
	v_fma_f64 v[26:27], v[65:66], v[55:56], v[26:27]
	v_cvt_f64_f32_e32 v[65:66], v22
	v_cvt_f64_f32_e32 v[22:23], v23
	v_fma_f64 v[36:37], v[65:66], v[49:50], v[36:37]
	v_fma_f64 v[36:37], -v[22:23], v[51:52], v[36:37]
	v_fma_f64 v[22:23], v[22:23], v[49:50], v[26:27]
	v_fma_f64 v[26:27], v[65:66], v[51:52], v[22:23]
	v_cvt_f64_f32_e32 v[65:66], v24
	v_cvt_f64_f32_e32 v[24:25], v25
	v_fma_f64 v[22:23], v[65:66], v[45:46], v[36:37]
	v_cvt_f64_f32_e32 v[36:37], v62
	v_fma_f64 v[9:10], v[36:37], v[57:58], v[9:10]
	v_fma_f64 v[22:23], -v[24:25], v[47:48], v[22:23]
	v_fma_f64 v[24:25], v[24:25], v[45:46], v[26:27]
	v_cvt_f64_f32_e32 v[26:27], v61
	v_fma_f64 v[61:62], v[26:27], v[57:58], v[73:74]
	v_fma_f64 v[9:10], v[26:27], v[59:60], v[9:10]
	v_cvt_f64_f32_e32 v[26:27], v63
	v_fma_f64 v[24:25], v[65:66], v[47:48], v[24:25]
	v_fma_f64 v[61:62], -v[36:37], v[59:60], v[61:62]
	v_cvt_f64_f32_e32 v[36:37], v64
	v_fma_f64 v[9:10], v[36:37], v[53:54], v[9:10]
	v_fma_f64 v[57:58], v[26:27], v[53:54], v[61:62]
	;; [unrolled: 1-line block ×3, first 2 shown]
	v_cvt_f64_f32_e32 v[26:27], v41
	v_fma_f64 v[57:58], -v[36:37], v[55:56], v[57:58]
	v_cvt_f64_f32_e32 v[36:37], v42
	v_fma_f64 v[9:10], v[36:37], v[49:50], v[9:10]
	v_fma_f64 v[41:42], v[26:27], v[49:50], v[57:58]
	;; [unrolled: 1-line block ×3, first 2 shown]
	v_fma_f64 v[41:42], -v[36:37], v[51:52], v[41:42]
	v_cvt_f64_f32_e32 v[36:37], v43
	v_cvt_f64_f32_e32 v[43:44], v44
	v_fma_f64 v[9:10], v[43:44], v[45:46], v[9:10]
	v_fma_f64 v[26:27], v[36:37], v[45:46], v[41:42]
	v_fma_f64 v[36:37], v[36:37], v[47:48], v[9:10]
	global_load_dword v9, v[11:12], off offset:768
	v_fma_f64 v[26:27], -v[43:44], v[47:48], v[26:27]
	global_load_dwordx4 v[41:44], v[69:70], off
	global_load_dwordx4 v[45:48], v[69:70], off offset:48
	global_load_dwordx4 v[49:52], v[69:70], off offset:32
	;; [unrolled: 1-line block ×3, first 2 shown]
	s_waitcnt vmcnt(3)
	v_cvt_f64_f32_e32 v[71:72], v41
	v_subrev_u32_e32 v9, s16, v9
	v_lshlrev_b32_e32 v9, 2, v9
	v_ashrrev_i32_e32 v10, 31, v9
	v_lshlrev_b64 v[9:10], 4, v[9:10]
	v_cvt_f64_f32_e32 v[41:42], v42
	v_add_co_u32_e32 v73, vcc, s6, v9
	v_addc_co_u32_e32 v74, vcc, v40, v10, vcc
	global_load_dwordx4 v[9:12], v[73:74], off offset:48
	global_load_dwordx4 v[57:60], v[73:74], off offset:32
	;; [unrolled: 1-line block ×3, first 2 shown]
	global_load_dwordx4 v[65:68], v[73:74], off
	v_add_co_u32_e32 v19, vcc, 0x8000, v19
	v_addc_co_u32_e32 v20, vcc, 0, v20, vcc
	s_waitcnt vmcnt(0)
	v_fma_f64 v[30:31], v[71:72], v[65:66], v[30:31]
	v_fma_f64 v[34:35], v[41:42], v[65:66], v[34:35]
	v_fma_f64 v[30:31], -v[41:42], v[67:68], v[30:31]
	v_fma_f64 v[34:35], v[71:72], v[67:68], v[34:35]
	v_cvt_f64_f32_e32 v[41:42], v43
	v_cvt_f64_f32_e32 v[43:44], v44
	v_fma_f64 v[30:31], v[41:42], v[61:62], v[30:31]
	v_fma_f64 v[34:35], v[43:44], v[61:62], v[34:35]
	v_fma_f64 v[30:31], -v[43:44], v[63:64], v[30:31]
	v_fma_f64 v[34:35], v[41:42], v[63:64], v[34:35]
	v_cvt_f64_f32_e32 v[41:42], v53
	v_cvt_f64_f32_e32 v[43:44], v54
	;; [unrolled: 1-line block ×3, first 2 shown]
	v_fma_f64 v[30:31], v[41:42], v[57:58], v[30:31]
	v_fma_f64 v[34:35], v[43:44], v[57:58], v[34:35]
	v_fma_f64 v[30:31], -v[43:44], v[59:60], v[30:31]
	v_cvt_f64_f32_e32 v[43:44], v55
	v_fma_f64 v[41:42], v[41:42], v[59:60], v[34:35]
	v_fma_f64 v[30:31], v[43:44], v[9:10], v[30:31]
	v_fma_f64 v[34:35], -v[53:54], v[11:12], v[30:31]
	v_fma_f64 v[30:31], v[53:54], v[9:10], v[41:42]
	v_cvt_f64_f32_e32 v[41:42], v49
	v_fma_f64 v[28:29], v[41:42], v[65:66], v[28:29]
	v_fma_f64 v[30:31], v[43:44], v[11:12], v[30:31]
	v_cvt_f64_f32_e32 v[43:44], v50
	v_fma_f64 v[32:33], v[43:44], v[65:66], v[32:33]
	v_fma_f64 v[28:29], -v[43:44], v[67:68], v[28:29]
	v_cvt_f64_f32_e32 v[43:44], v52
	v_fma_f64 v[32:33], v[41:42], v[67:68], v[32:33]
	v_cvt_f64_f32_e32 v[41:42], v51
	v_fma_f64 v[28:29], v[41:42], v[61:62], v[28:29]
	v_fma_f64 v[32:33], v[43:44], v[61:62], v[32:33]
	v_fma_f64 v[28:29], -v[43:44], v[63:64], v[28:29]
	v_cvt_f64_f32_e32 v[43:44], v46
	v_fma_f64 v[32:33], v[41:42], v[63:64], v[32:33]
	v_cvt_f64_f32_e32 v[41:42], v45
	v_cvt_f64_f32_e32 v[45:46], v48
	v_fma_f64 v[28:29], v[41:42], v[57:58], v[28:29]
	v_fma_f64 v[32:33], v[43:44], v[57:58], v[32:33]
	v_fma_f64 v[28:29], -v[43:44], v[59:60], v[28:29]
	v_cvt_f64_f32_e32 v[43:44], v47
	v_fma_f64 v[41:42], v[41:42], v[59:60], v[32:33]
	v_fma_f64 v[28:29], v[43:44], v[9:10], v[28:29]
	v_fma_f64 v[32:33], -v[45:46], v[11:12], v[28:29]
	v_fma_f64 v[28:29], v[45:46], v[9:10], v[41:42]
	v_fma_f64 v[28:29], v[43:44], v[11:12], v[28:29]
	global_load_dwordx4 v[41:44], v[69:70], off offset:112
	global_load_dwordx4 v[45:48], v[69:70], off offset:96
	;; [unrolled: 1-line block ×4, first 2 shown]
	s_waitcnt vmcnt(0)
	v_cvt_f64_f32_e32 v[69:70], v53
	v_cvt_f64_f32_e32 v[53:54], v54
	v_fma_f64 v[22:23], v[69:70], v[65:66], v[22:23]
	v_fma_f64 v[24:25], v[53:54], v[65:66], v[24:25]
	v_fma_f64 v[22:23], -v[53:54], v[67:68], v[22:23]
	v_fma_f64 v[24:25], v[69:70], v[67:68], v[24:25]
	v_cvt_f64_f32_e32 v[53:54], v55
	v_cvt_f64_f32_e32 v[55:56], v56
	v_fma_f64 v[22:23], v[53:54], v[61:62], v[22:23]
	v_fma_f64 v[24:25], v[55:56], v[61:62], v[24:25]
	v_fma_f64 v[22:23], -v[55:56], v[63:64], v[22:23]
	v_fma_f64 v[24:25], v[53:54], v[63:64], v[24:25]
	;; [unrolled: 6-line block ×3, first 2 shown]
	v_cvt_f64_f32_e32 v[53:54], v51
	v_cvt_f64_f32_e32 v[51:52], v52
	v_fma_f64 v[22:23], v[53:54], v[9:10], v[22:23]
	v_fma_f64 v[24:25], -v[51:52], v[11:12], v[22:23]
	v_fma_f64 v[22:23], v[51:52], v[9:10], v[49:50]
	v_cvt_f64_f32_e32 v[49:50], v45
	v_cvt_f64_f32_e32 v[45:46], v46
	v_fma_f64 v[26:27], v[49:50], v[65:66], v[26:27]
	v_fma_f64 v[36:37], v[45:46], v[65:66], v[36:37]
	;; [unrolled: 1-line block ×3, first 2 shown]
	v_fma_f64 v[26:27], -v[45:46], v[67:68], v[26:27]
	v_fma_f64 v[36:37], v[49:50], v[67:68], v[36:37]
	v_cvt_f64_f32_e32 v[45:46], v47
	v_cvt_f64_f32_e32 v[47:48], v48
	v_fma_f64 v[26:27], v[45:46], v[61:62], v[26:27]
	v_fma_f64 v[36:37], v[47:48], v[61:62], v[36:37]
	v_fma_f64 v[26:27], -v[47:48], v[63:64], v[26:27]
	v_fma_f64 v[36:37], v[45:46], v[63:64], v[36:37]
	v_cvt_f64_f32_e32 v[45:46], v41
	v_cvt_f64_f32_e32 v[41:42], v42
	v_fma_f64 v[26:27], v[45:46], v[57:58], v[26:27]
	v_fma_f64 v[36:37], v[41:42], v[57:58], v[36:37]
	;; [unrolled: 6-line block ×3, first 2 shown]
	v_fma_f64 v[26:27], -v[43:44], v[11:12], v[26:27]
	v_fma_f64 v[9:10], v[41:42], v[11:12], v[9:10]
	s_andn2_b64 exec, exec, s[14:15]
	s_cbranch_execnz .LBB169_19
; %bb.20:
	s_or_b64 exec, exec, s[14:15]
.LBB169_21:
	s_or_b64 exec, exec, s[10:11]
.LBB169_22:
	s_or_b64 exec, exec, s[8:9]
	s_cbranch_execz .LBB169_24
	s_branch .LBB169_35
.LBB169_23:
                                        ; implicit-def: $vgpr30_vgpr31
                                        ; implicit-def: $vgpr34_vgpr35
                                        ; implicit-def: $vgpr28_vgpr29
                                        ; implicit-def: $vgpr32_vgpr33
                                        ; implicit-def: $vgpr22_vgpr23
                                        ; implicit-def: $vgpr24_vgpr25
                                        ; implicit-def: $vgpr9_vgpr10
                                        ; implicit-def: $vgpr26_vgpr27
.LBB169_24:
	v_mov_b32_e32 v30, 0
	v_mov_b32_e32 v34, 0
	;; [unrolled: 1-line block ×16, first 2 shown]
	s_and_saveexec_b64 s[2:3], s[0:1]
	s_cbranch_execz .LBB169_34
; %bb.25:
	v_add_u32_e32 v9, v39, v0
	v_subrev_u32_e32 v9, s16, v9
	v_add_u32_e32 v9, 64, v9
	v_max_i32_e32 v9, v9, v38
	v_not_b32_e32 v10, v39
	v_add3_u32 v9, s16, v9, v10
	v_sub_u32_e32 v11, v9, v0
	s_movk_i32 s0, 0xc0
	v_and_b32_e32 v12, 0xc0, v11
	v_mov_b32_e32 v26, 0
	v_mov_b32_e32 v9, 0
	;; [unrolled: 1-line block ×16, first 2 shown]
	v_cmp_ne_u32_e32 vcc, s0, v12
	s_and_saveexec_b64 s[8:9], vcc
	s_cbranch_execz .LBB169_29
; %bb.26:
	v_lshrrev_b32_e32 v9, 6, v11
	v_add_u32_e32 v9, 1, v9
	v_and_b32_e32 v9, 3, v9
	v_sub_u32_e32 v12, 0, v9
	v_mov_b32_e32 v30, 0
	v_mov_b32_e32 v34, 0
	;; [unrolled: 1-line block ×9, first 2 shown]
	s_mov_b64 s[10:11], 0
	v_mov_b32_e32 v17, s13
	v_mov_b32_e32 v35, 0
	;; [unrolled: 1-line block ×9, first 2 shown]
.LBB169_27:                             ; =>This Inner Loop Header: Depth=1
	global_load_dwordx4 v[39:42], v[15:16], off
	global_load_dwordx4 v[43:46], v[15:16], off offset:16
	global_load_dwordx4 v[47:50], v[15:16], off offset:32
	v_ashrrev_i32_e32 v14, 31, v13
	v_lshlrev_b64 v[19:20], 2, v[13:14]
	v_add_co_u32_e64 v12, s[0:1], 1, v12
	v_add_co_u32_e32 v19, vcc, s12, v19
	v_addc_co_u32_e32 v20, vcc, v17, v20, vcc
	global_load_dword v14, v[19:20], off
	s_or_b64 s[10:11], s[0:1], s[10:11]
	v_add_u32_e32 v13, 64, v13
	s_waitcnt vmcnt(3)
	v_cvt_f64_f32_e32 v[36:37], v39
	v_cvt_f64_f32_e32 v[51:52], v40
	;; [unrolled: 1-line block ×4, first 2 shown]
	global_load_dwordx4 v[39:42], v[15:16], off offset:48
	s_waitcnt vmcnt(3)
	v_cvt_f64_f32_e32 v[57:58], v43
	v_cvt_f64_f32_e32 v[43:44], v44
	;; [unrolled: 1-line block ×4, first 2 shown]
	s_waitcnt vmcnt(2)
	v_cvt_f64_f32_e32 v[61:62], v47
	v_cvt_f64_f32_e32 v[47:48], v48
	s_waitcnt vmcnt(1)
	v_subrev_u32_e32 v14, s16, v14
	v_lshlrev_b32_e32 v19, 2, v14
	v_ashrrev_i32_e32 v20, 31, v19
	v_lshlrev_b64 v[19:20], 4, v[19:20]
	v_cvt_f64_f32_e32 v[63:64], v49
	v_add_co_u32_e32 v19, vcc, s6, v19
	v_addc_co_u32_e32 v20, vcc, v18, v20, vcc
	v_cvt_f64_f32_e32 v[49:50], v50
	s_waitcnt vmcnt(0)
	v_cvt_f64_f32_e32 v[65:66], v39
	v_cvt_f64_f32_e32 v[67:68], v40
	;; [unrolled: 1-line block ×4, first 2 shown]
	global_load_dwordx4 v[39:42], v[19:20], off
	s_waitcnt vmcnt(0)
	v_fma_f64 v[30:31], v[51:52], v[39:40], v[30:31]
	v_fma_f64 v[24:25], v[57:58], v[39:40], v[24:25]
	;; [unrolled: 1-line block ×9, first 2 shown]
	v_fma_f64 v[36:37], -v[43:44], v[41:42], v[24:25]
	v_fma_f64 v[43:44], v[57:58], v[41:42], v[22:23]
	global_load_dwordx4 v[22:25], v[15:16], off offset:64
	v_fma_f64 v[34:35], -v[51:52], v[41:42], v[34:35]
	v_fma_f64 v[32:33], -v[55:56], v[41:42], v[32:33]
	v_fma_f64 v[28:29], v[53:54], v[41:42], v[28:29]
	v_fma_f64 v[39:40], -v[45:46], v[41:42], v[26:27]
	v_fma_f64 v[9:10], v[59:60], v[41:42], v[9:10]
	s_waitcnt vmcnt(0)
	v_cvt_f64_f32_e32 v[45:46], v22
	v_cvt_f64_f32_e32 v[41:42], v23
	;; [unrolled: 1-line block ×4, first 2 shown]
	global_load_dwordx4 v[22:25], v[15:16], off offset:80
	s_waitcnt vmcnt(0)
	v_cvt_f64_f32_e32 v[55:56], v22
	v_cvt_f64_f32_e32 v[57:58], v23
	;; [unrolled: 1-line block ×4, first 2 shown]
	global_load_dwordx4 v[22:25], v[19:20], off offset:16
	s_waitcnt vmcnt(0)
	v_fma_f64 v[26:27], v[61:62], v[22:23], v[34:35]
	v_fma_f64 v[28:29], v[49:50], v[22:23], v[28:29]
	;; [unrolled: 1-line block ×5, first 2 shown]
	v_fma_f64 v[34:35], -v[47:48], v[24:25], v[26:27]
	v_fma_f64 v[26:27], v[63:64], v[22:23], v[32:33]
	v_fma_f64 v[47:48], v[63:64], v[24:25], v[28:29]
	;; [unrolled: 1-line block ×4, first 2 shown]
	v_fma_f64 v[39:40], -v[71:72], v[24:25], v[39:40]
	v_fma_f64 v[9:10], v[69:70], v[24:25], v[9:10]
	v_fma_f64 v[32:33], -v[49:50], v[24:25], v[26:27]
	v_fma_f64 v[26:27], v[65:66], v[22:23], v[36:37]
	v_fma_f64 v[43:44], v[65:66], v[24:25], v[28:29]
	v_fma_f64 v[36:37], -v[67:68], v[24:25], v[26:27]
	global_load_dwordx4 v[26:29], v[15:16], off offset:96
	global_load_dwordx4 v[22:25], v[15:16], off offset:112
	v_add_co_u32_e32 v15, vcc, 0x2000, v15
	v_addc_co_u32_e32 v16, vcc, 0, v16, vcc
	s_waitcnt vmcnt(1)
	v_cvt_f64_f32_e32 v[49:50], v26
	s_waitcnt vmcnt(0)
	v_cvt_f64_f32_e32 v[63:64], v22
	v_cvt_f64_f32_e32 v[65:66], v23
	v_cvt_f64_f32_e32 v[67:68], v24
	v_cvt_f64_f32_e32 v[69:70], v25
	global_load_dwordx4 v[22:25], v[19:20], off offset:32
	v_cvt_f64_f32_e32 v[26:27], v27
	v_cvt_f64_f32_e32 v[61:62], v28
	;; [unrolled: 1-line block ×3, first 2 shown]
	s_waitcnt vmcnt(0)
	v_fma_f64 v[34:35], v[45:46], v[22:23], v[34:35]
	v_fma_f64 v[30:31], v[41:42], v[22:23], v[30:31]
	;; [unrolled: 1-line block ×5, first 2 shown]
	v_fma_f64 v[41:42], -v[41:42], v[24:25], v[34:35]
	v_fma_f64 v[34:35], v[53:54], v[22:23], v[47:48]
	v_fma_f64 v[30:31], v[45:46], v[24:25], v[30:31]
	v_fma_f64 v[32:33], -v[53:54], v[24:25], v[32:33]
	v_fma_f64 v[9:10], v[59:60], v[24:25], v[9:10]
	v_fma_f64 v[45:46], v[51:52], v[24:25], v[34:35]
	;; [unrolled: 1-line block ×3, first 2 shown]
	v_fma_f64 v[47:48], -v[57:58], v[24:25], v[34:35]
	global_load_dwordx4 v[34:37], v[19:20], off offset:48
	v_fma_f64 v[19:20], v[59:60], v[22:23], v[39:40]
	v_fma_f64 v[22:23], v[55:56], v[24:25], v[43:44]
	v_fma_f64 v[19:20], -v[73:74], v[24:25], v[19:20]
	s_waitcnt vmcnt(0)
	v_fma_f64 v[24:25], v[49:50], v[34:35], v[41:42]
	v_fma_f64 v[30:31], v[26:27], v[34:35], v[30:31]
	;; [unrolled: 1-line block ×8, first 2 shown]
	v_fma_f64 v[34:35], -v[26:27], v[36:37], v[24:25]
	v_fma_f64 v[30:31], v[49:50], v[36:37], v[30:31]
	v_fma_f64 v[32:33], -v[28:29], v[36:37], v[32:33]
	v_fma_f64 v[28:29], v[61:62], v[36:37], v[39:40]
	;; [unrolled: 2-line block ×4, first 2 shown]
	s_andn2_b64 exec, exec, s[10:11]
	s_cbranch_execnz .LBB169_27
; %bb.28:
	s_or_b64 exec, exec, s[10:11]
.LBB169_29:
	s_or_b64 exec, exec, s[8:9]
	s_movk_i32 s0, 0xbf
	v_cmp_lt_u32_e32 vcc, s0, v11
	s_and_saveexec_b64 s[8:9], vcc
	s_cbranch_execz .LBB169_33
; %bb.30:
	s_mov_b64 s[10:11], 0
	v_mov_b32_e32 v36, s13
	v_mov_b32_e32 v37, s7
	s_movk_i32 s7, 0x2000
	s_movk_i32 s13, 0x4000
	s_movk_i32 s14, 0x6000
.LBB169_31:                             ; =>This Inner Loop Header: Depth=1
	v_ashrrev_i32_e32 v14, 31, v13
	v_lshlrev_b64 v[11:12], 2, v[13:14]
	v_add_u32_e32 v13, 0x100, v13
	v_add_co_u32_e32 v11, vcc, s12, v11
	v_addc_co_u32_e32 v12, vcc, v36, v12, vcc
	global_load_dword v14, v[11:12], off
	global_load_dwordx4 v[17:20], v[15:16], off offset:48
	global_load_dwordx4 v[39:42], v[15:16], off offset:32
	;; [unrolled: 1-line block ×3, first 2 shown]
	global_load_dwordx4 v[47:50], v[15:16], off
	v_cmp_ge_i32_e64 s[0:1], v13, v38
	s_or_b64 s[10:11], s[0:1], s[10:11]
	s_waitcnt vmcnt(4)
	v_subrev_u32_e32 v14, s16, v14
	v_lshlrev_b32_e32 v51, 2, v14
	v_ashrrev_i32_e32 v52, 31, v51
	v_lshlrev_b64 v[51:52], 4, v[51:52]
	s_waitcnt vmcnt(0)
	v_cvt_f64_f32_e32 v[67:68], v47
	v_add_co_u32_e32 v69, vcc, s6, v51
	v_addc_co_u32_e32 v70, vcc, v37, v52, vcc
	global_load_dwordx4 v[51:54], v[69:70], off offset:48
	global_load_dwordx4 v[55:58], v[69:70], off offset:32
	;; [unrolled: 1-line block ×3, first 2 shown]
	global_load_dwordx4 v[63:66], v[69:70], off
	v_cvt_f64_f32_e32 v[47:48], v48
	s_waitcnt vmcnt(0)
	v_fma_f64 v[34:35], v[67:68], v[63:64], v[34:35]
	v_fma_f64 v[30:31], v[47:48], v[63:64], v[30:31]
	v_fma_f64 v[34:35], -v[47:48], v[65:66], v[34:35]
	v_cvt_f64_f32_e32 v[47:48], v49
	v_cvt_f64_f32_e32 v[49:50], v50
	v_fma_f64 v[30:31], v[67:68], v[65:66], v[30:31]
	v_add_co_u32_e32 v67, vcc, s7, v15
	v_fma_f64 v[28:29], v[49:50], v[63:64], v[28:29]
	v_fma_f64 v[32:33], v[47:48], v[63:64], v[32:33]
	v_addc_co_u32_e32 v68, vcc, 0, v16, vcc
	v_fma_f64 v[28:29], v[47:48], v[65:66], v[28:29]
	v_cvt_f64_f32_e32 v[47:48], v43
	v_cvt_f64_f32_e32 v[43:44], v44
	v_fma_f64 v[32:33], -v[49:50], v[65:66], v[32:33]
	v_fma_f64 v[24:25], v[47:48], v[63:64], v[24:25]
	v_fma_f64 v[22:23], v[43:44], v[63:64], v[22:23]
	v_fma_f64 v[24:25], -v[43:44], v[65:66], v[24:25]
	v_cvt_f64_f32_e32 v[43:44], v45
	v_cvt_f64_f32_e32 v[45:46], v46
	v_fma_f64 v[22:23], v[47:48], v[65:66], v[22:23]
	v_fma_f64 v[26:27], v[43:44], v[63:64], v[26:27]
	;; [unrolled: 1-line block ×3, first 2 shown]
	v_fma_f64 v[26:27], -v[45:46], v[65:66], v[26:27]
	v_fma_f64 v[9:10], v[43:44], v[65:66], v[9:10]
	v_cvt_f64_f32_e32 v[43:44], v39
	v_cvt_f64_f32_e32 v[39:40], v40
	v_fma_f64 v[34:35], v[43:44], v[59:60], v[34:35]
	v_fma_f64 v[30:31], v[39:40], v[59:60], v[30:31]
	v_fma_f64 v[34:35], -v[39:40], v[61:62], v[34:35]
	v_fma_f64 v[39:40], v[43:44], v[61:62], v[30:31]
	v_cvt_f64_f32_e32 v[30:31], v41
	v_cvt_f64_f32_e32 v[41:42], v42
	v_fma_f64 v[32:33], v[30:31], v[59:60], v[32:33]
	v_fma_f64 v[28:29], v[41:42], v[59:60], v[28:29]
	v_fma_f64 v[43:44], -v[41:42], v[61:62], v[32:33]
	v_fma_f64 v[41:42], v[30:31], v[61:62], v[28:29]
	v_cvt_f64_f32_e32 v[28:29], v17
	v_cvt_f64_f32_e32 v[17:18], v18
	v_fma_f64 v[24:25], v[28:29], v[59:60], v[24:25]
	v_fma_f64 v[45:46], -v[17:18], v[61:62], v[24:25]
	v_fma_f64 v[17:18], v[17:18], v[59:60], v[22:23]
	v_fma_f64 v[47:48], v[28:29], v[61:62], v[17:18]
	v_cvt_f64_f32_e32 v[17:18], v19
	v_cvt_f64_f32_e32 v[19:20], v20
	v_fma_f64 v[22:23], v[17:18], v[59:60], v[26:27]
	v_fma_f64 v[9:10], v[19:20], v[59:60], v[9:10]
	v_fma_f64 v[49:50], -v[19:20], v[61:62], v[22:23]
	v_fma_f64 v[9:10], v[17:18], v[61:62], v[9:10]
	global_load_dwordx4 v[17:20], v[15:16], off offset:112
	global_load_dwordx4 v[22:25], v[15:16], off offset:96
	;; [unrolled: 1-line block ×4, first 2 shown]
	global_load_dword v14, v[11:12], off offset:256
	s_waitcnt vmcnt(1)
	v_cvt_f64_f32_e32 v[59:60], v30
	v_cvt_f64_f32_e32 v[30:31], v31
	s_waitcnt vmcnt(0)
	v_subrev_u32_e32 v14, s16, v14
	v_fma_f64 v[34:35], v[59:60], v[55:56], v[34:35]
	v_fma_f64 v[34:35], -v[30:31], v[57:58], v[34:35]
	v_fma_f64 v[30:31], v[30:31], v[55:56], v[39:40]
	v_cvt_f64_f32_e32 v[39:40], v32
	v_cvt_f64_f32_e32 v[32:33], v33
	v_fma_f64 v[43:44], v[39:40], v[55:56], v[43:44]
	v_fma_f64 v[30:31], v[59:60], v[57:58], v[30:31]
	v_fma_f64 v[43:44], -v[32:33], v[57:58], v[43:44]
	v_fma_f64 v[32:33], v[32:33], v[55:56], v[41:42]
	v_fma_f64 v[32:33], v[39:40], v[57:58], v[32:33]
	v_cvt_f64_f32_e32 v[39:40], v26
	v_cvt_f64_f32_e32 v[26:27], v27
	v_fma_f64 v[41:42], v[39:40], v[55:56], v[45:46]
	v_fma_f64 v[41:42], -v[26:27], v[57:58], v[41:42]
	v_fma_f64 v[26:27], v[26:27], v[55:56], v[47:48]
	v_fma_f64 v[26:27], v[39:40], v[57:58], v[26:27]
	v_cvt_f64_f32_e32 v[39:40], v28
	v_cvt_f64_f32_e32 v[28:29], v29
	v_fma_f64 v[45:46], v[39:40], v[55:56], v[49:50]
	v_fma_f64 v[9:10], v[28:29], v[55:56], v[9:10]
	v_fma_f64 v[45:46], -v[28:29], v[57:58], v[45:46]
	v_cvt_f64_f32_e32 v[28:29], v22
	v_cvt_f64_f32_e32 v[22:23], v23
	v_fma_f64 v[9:10], v[39:40], v[57:58], v[9:10]
	v_lshlrev_b32_e32 v39, 2, v14
	v_fma_f64 v[34:35], v[28:29], v[51:52], v[34:35]
	v_ashrrev_i32_e32 v40, 31, v39
	v_lshlrev_b64 v[39:40], 4, v[39:40]
	v_add_co_u32_e32 v71, vcc, s6, v39
	v_addc_co_u32_e32 v72, vcc, v37, v40, vcc
	v_fma_f64 v[34:35], -v[22:23], v[53:54], v[34:35]
	v_fma_f64 v[22:23], v[22:23], v[51:52], v[30:31]
	v_fma_f64 v[55:56], v[28:29], v[53:54], v[22:23]
	v_cvt_f64_f32_e32 v[22:23], v24
	v_cvt_f64_f32_e32 v[24:25], v25
	v_fma_f64 v[28:29], v[22:23], v[51:52], v[43:44]
	v_fma_f64 v[57:58], -v[24:25], v[53:54], v[28:29]
	v_fma_f64 v[24:25], v[24:25], v[51:52], v[32:33]
	v_fma_f64 v[59:60], v[22:23], v[53:54], v[24:25]
	v_cvt_f64_f32_e32 v[22:23], v17
	v_cvt_f64_f32_e32 v[17:18], v18
	v_fma_f64 v[24:25], v[22:23], v[51:52], v[41:42]
	;; [unrolled: 6-line block ×3, first 2 shown]
	v_fma_f64 v[9:10], v[19:20], v[51:52], v[9:10]
	v_fma_f64 v[65:66], -v[19:20], v[53:54], v[22:23]
	v_fma_f64 v[9:10], v[17:18], v[53:54], v[9:10]
	global_load_dwordx4 v[17:20], v[67:68], off
	global_load_dwordx4 v[22:25], v[67:68], off offset:48
	global_load_dwordx4 v[26:29], v[67:68], off offset:32
	;; [unrolled: 1-line block ×6, first 2 shown]
	global_load_dwordx4 v[51:54], v[71:72], off
	s_waitcnt vmcnt(7)
	v_cvt_f64_f32_e32 v[69:70], v17
	v_cvt_f64_f32_e32 v[17:18], v18
	s_waitcnt vmcnt(0)
	v_fma_f64 v[34:35], v[69:70], v[51:52], v[34:35]
	v_fma_f64 v[34:35], -v[17:18], v[53:54], v[34:35]
	v_fma_f64 v[17:18], v[17:18], v[51:52], v[55:56]
	v_cvt_f64_f32_e32 v[55:56], v19
	v_cvt_f64_f32_e32 v[19:20], v20
	v_fma_f64 v[57:58], v[55:56], v[51:52], v[57:58]
	v_fma_f64 v[17:18], v[69:70], v[53:54], v[17:18]
	v_fma_f64 v[57:58], -v[19:20], v[53:54], v[57:58]
	v_fma_f64 v[19:20], v[19:20], v[51:52], v[59:60]
	v_fma_f64 v[19:20], v[55:56], v[53:54], v[19:20]
	v_cvt_f64_f32_e32 v[55:56], v30
	v_cvt_f64_f32_e32 v[30:31], v31
	v_fma_f64 v[59:60], v[55:56], v[51:52], v[61:62]
	v_fma_f64 v[59:60], -v[30:31], v[53:54], v[59:60]
	v_fma_f64 v[30:31], v[30:31], v[51:52], v[63:64]
	v_fma_f64 v[30:31], v[55:56], v[53:54], v[30:31]
	v_cvt_f64_f32_e32 v[55:56], v32
	v_cvt_f64_f32_e32 v[32:33], v33
	v_fma_f64 v[61:62], v[55:56], v[51:52], v[65:66]
	v_fma_f64 v[9:10], v[32:33], v[51:52], v[9:10]
	v_fma_f64 v[61:62], -v[32:33], v[53:54], v[61:62]
	v_cvt_f64_f32_e32 v[32:33], v26
	v_cvt_f64_f32_e32 v[26:27], v27
	v_fma_f64 v[9:10], v[55:56], v[53:54], v[9:10]
	v_fma_f64 v[34:35], v[32:33], v[47:48], v[34:35]
	;; [unrolled: 1-line block ×3, first 2 shown]
	v_fma_f64 v[34:35], -v[26:27], v[49:50], v[34:35]
	v_cvt_f64_f32_e32 v[26:27], v29
	v_fma_f64 v[51:52], v[32:33], v[49:50], v[17:18]
	v_cvt_f64_f32_e32 v[17:18], v28
	v_fma_f64 v[19:20], v[26:27], v[47:48], v[19:20]
	v_fma_f64 v[28:29], v[17:18], v[47:48], v[57:58]
	;; [unrolled: 1-line block ×3, first 2 shown]
	v_cvt_f64_f32_e32 v[17:18], v22
	v_cvt_f64_f32_e32 v[19:20], v23
	v_fma_f64 v[53:54], -v[26:27], v[49:50], v[28:29]
	v_fma_f64 v[22:23], v[17:18], v[47:48], v[59:60]
	v_fma_f64 v[57:58], -v[19:20], v[49:50], v[22:23]
	v_fma_f64 v[19:20], v[19:20], v[47:48], v[30:31]
	v_fma_f64 v[59:60], v[17:18], v[49:50], v[19:20]
	v_cvt_f64_f32_e32 v[17:18], v24
	v_cvt_f64_f32_e32 v[19:20], v25
	v_fma_f64 v[22:23], v[17:18], v[47:48], v[61:62]
	v_fma_f64 v[9:10], v[19:20], v[47:48], v[9:10]
	v_fma_f64 v[61:62], -v[19:20], v[49:50], v[22:23]
	v_fma_f64 v[9:10], v[17:18], v[49:50], v[9:10]
	global_load_dwordx4 v[17:20], v[67:68], off offset:112
	global_load_dwordx4 v[22:25], v[67:68], off offset:96
	;; [unrolled: 1-line block ×4, first 2 shown]
	global_load_dword v14, v[11:12], off offset:512
	v_add_co_u32_e32 v67, vcc, s13, v15
	v_addc_co_u32_e32 v68, vcc, 0, v16, vcc
	s_waitcnt vmcnt(1)
	v_cvt_f64_f32_e32 v[47:48], v30
	v_cvt_f64_f32_e32 v[30:31], v31
	s_waitcnt vmcnt(0)
	v_subrev_u32_e32 v14, s16, v14
	v_fma_f64 v[34:35], v[47:48], v[43:44], v[34:35]
	v_fma_f64 v[34:35], -v[30:31], v[45:46], v[34:35]
	v_fma_f64 v[30:31], v[30:31], v[43:44], v[51:52]
	v_fma_f64 v[30:31], v[47:48], v[45:46], v[30:31]
	v_cvt_f64_f32_e32 v[47:48], v32
	v_cvt_f64_f32_e32 v[32:33], v33
	v_fma_f64 v[49:50], v[47:48], v[43:44], v[53:54]
	v_fma_f64 v[49:50], -v[32:33], v[45:46], v[49:50]
	v_fma_f64 v[32:33], v[32:33], v[43:44], v[55:56]
	v_fma_f64 v[32:33], v[47:48], v[45:46], v[32:33]
	v_cvt_f64_f32_e32 v[47:48], v26
	v_cvt_f64_f32_e32 v[26:27], v27
	;; [unrolled: 6-line block ×3, first 2 shown]
	v_fma_f64 v[53:54], v[47:48], v[43:44], v[61:62]
	v_fma_f64 v[9:10], v[28:29], v[43:44], v[9:10]
	v_fma_f64 v[53:54], -v[28:29], v[45:46], v[53:54]
	v_cvt_f64_f32_e32 v[28:29], v22
	v_cvt_f64_f32_e32 v[22:23], v23
	v_fma_f64 v[9:10], v[47:48], v[45:46], v[9:10]
	v_fma_f64 v[34:35], v[28:29], v[39:40], v[34:35]
	v_fma_f64 v[34:35], -v[22:23], v[41:42], v[34:35]
	v_fma_f64 v[22:23], v[22:23], v[39:40], v[30:31]
	v_fma_f64 v[55:56], v[28:29], v[41:42], v[22:23]
	v_cvt_f64_f32_e32 v[22:23], v24
	v_cvt_f64_f32_e32 v[24:25], v25
	v_fma_f64 v[28:29], v[22:23], v[39:40], v[49:50]
	v_fma_f64 v[57:58], -v[24:25], v[41:42], v[28:29]
	v_fma_f64 v[24:25], v[24:25], v[39:40], v[32:33]
	v_fma_f64 v[59:60], v[22:23], v[41:42], v[24:25]
	v_cvt_f64_f32_e32 v[22:23], v17
	v_cvt_f64_f32_e32 v[17:18], v18
	v_fma_f64 v[24:25], v[22:23], v[39:40], v[51:52]
	v_fma_f64 v[61:62], -v[17:18], v[41:42], v[24:25]
	v_fma_f64 v[17:18], v[17:18], v[39:40], v[26:27]
	v_fma_f64 v[63:64], v[22:23], v[41:42], v[17:18]
	v_cvt_f64_f32_e32 v[17:18], v19
	v_cvt_f64_f32_e32 v[19:20], v20
	v_fma_f64 v[22:23], v[17:18], v[39:40], v[53:54]
	v_fma_f64 v[9:10], v[19:20], v[39:40], v[9:10]
	v_lshlrev_b32_e32 v39, 2, v14
	v_ashrrev_i32_e32 v40, 31, v39
	v_lshlrev_b64 v[39:40], 4, v[39:40]
	v_add_co_u32_e32 v71, vcc, s6, v39
	v_fma_f64 v[65:66], -v[19:20], v[41:42], v[22:23]
	v_fma_f64 v[9:10], v[17:18], v[41:42], v[9:10]
	global_load_dwordx4 v[17:20], v[67:68], off
	global_load_dwordx4 v[22:25], v[67:68], off offset:48
	global_load_dwordx4 v[26:29], v[67:68], off offset:32
	;; [unrolled: 1-line block ×3, first 2 shown]
	v_addc_co_u32_e32 v72, vcc, v37, v40, vcc
	global_load_dwordx4 v[39:42], v[71:72], off offset:48
	global_load_dwordx4 v[43:46], v[71:72], off offset:32
	;; [unrolled: 1-line block ×3, first 2 shown]
	global_load_dwordx4 v[51:54], v[71:72], off
	s_waitcnt vmcnt(7)
	v_cvt_f64_f32_e32 v[69:70], v17
	v_cvt_f64_f32_e32 v[17:18], v18
	s_waitcnt vmcnt(0)
	v_fma_f64 v[34:35], v[69:70], v[51:52], v[34:35]
	v_fma_f64 v[34:35], -v[17:18], v[53:54], v[34:35]
	v_fma_f64 v[17:18], v[17:18], v[51:52], v[55:56]
	v_cvt_f64_f32_e32 v[55:56], v19
	v_cvt_f64_f32_e32 v[19:20], v20
	v_fma_f64 v[57:58], v[55:56], v[51:52], v[57:58]
	v_fma_f64 v[17:18], v[69:70], v[53:54], v[17:18]
	v_fma_f64 v[57:58], -v[19:20], v[53:54], v[57:58]
	v_fma_f64 v[19:20], v[19:20], v[51:52], v[59:60]
	v_fma_f64 v[19:20], v[55:56], v[53:54], v[19:20]
	v_cvt_f64_f32_e32 v[55:56], v30
	v_cvt_f64_f32_e32 v[30:31], v31
	v_fma_f64 v[59:60], v[55:56], v[51:52], v[61:62]
	v_fma_f64 v[59:60], -v[30:31], v[53:54], v[59:60]
	v_fma_f64 v[30:31], v[30:31], v[51:52], v[63:64]
	v_fma_f64 v[30:31], v[55:56], v[53:54], v[30:31]
	v_cvt_f64_f32_e32 v[55:56], v32
	v_cvt_f64_f32_e32 v[32:33], v33
	v_fma_f64 v[61:62], v[55:56], v[51:52], v[65:66]
	v_fma_f64 v[9:10], v[32:33], v[51:52], v[9:10]
	v_fma_f64 v[61:62], -v[32:33], v[53:54], v[61:62]
	v_cvt_f64_f32_e32 v[32:33], v26
	v_cvt_f64_f32_e32 v[26:27], v27
	v_fma_f64 v[9:10], v[55:56], v[53:54], v[9:10]
	v_fma_f64 v[34:35], v[32:33], v[47:48], v[34:35]
	;; [unrolled: 1-line block ×3, first 2 shown]
	v_fma_f64 v[34:35], -v[26:27], v[49:50], v[34:35]
	v_cvt_f64_f32_e32 v[26:27], v29
	v_fma_f64 v[51:52], v[32:33], v[49:50], v[17:18]
	v_cvt_f64_f32_e32 v[17:18], v28
	v_fma_f64 v[19:20], v[26:27], v[47:48], v[19:20]
	v_fma_f64 v[28:29], v[17:18], v[47:48], v[57:58]
	;; [unrolled: 1-line block ×3, first 2 shown]
	v_cvt_f64_f32_e32 v[17:18], v22
	v_cvt_f64_f32_e32 v[19:20], v23
	v_fma_f64 v[53:54], -v[26:27], v[49:50], v[28:29]
	v_fma_f64 v[22:23], v[17:18], v[47:48], v[59:60]
	v_fma_f64 v[57:58], -v[19:20], v[49:50], v[22:23]
	v_fma_f64 v[19:20], v[19:20], v[47:48], v[30:31]
	v_fma_f64 v[59:60], v[17:18], v[49:50], v[19:20]
	v_cvt_f64_f32_e32 v[17:18], v24
	v_cvt_f64_f32_e32 v[19:20], v25
	v_fma_f64 v[22:23], v[17:18], v[47:48], v[61:62]
	v_fma_f64 v[9:10], v[19:20], v[47:48], v[9:10]
	v_fma_f64 v[61:62], -v[19:20], v[49:50], v[22:23]
	v_fma_f64 v[9:10], v[17:18], v[49:50], v[9:10]
	global_load_dwordx4 v[17:20], v[67:68], off offset:112
	global_load_dwordx4 v[22:25], v[67:68], off offset:96
	;; [unrolled: 1-line block ×4, first 2 shown]
	s_waitcnt vmcnt(0)
	v_cvt_f64_f32_e32 v[47:48], v30
	v_cvt_f64_f32_e32 v[30:31], v31
	v_fma_f64 v[34:35], v[47:48], v[43:44], v[34:35]
	v_fma_f64 v[34:35], -v[30:31], v[45:46], v[34:35]
	v_fma_f64 v[30:31], v[30:31], v[43:44], v[51:52]
	v_fma_f64 v[47:48], v[47:48], v[45:46], v[30:31]
	v_cvt_f64_f32_e32 v[30:31], v32
	v_cvt_f64_f32_e32 v[32:33], v33
	v_fma_f64 v[49:50], v[30:31], v[43:44], v[53:54]
	v_fma_f64 v[49:50], -v[32:33], v[45:46], v[49:50]
	v_fma_f64 v[32:33], v[32:33], v[43:44], v[55:56]
	v_fma_f64 v[51:52], v[30:31], v[45:46], v[32:33]
	;; [unrolled: 6-line block ×3, first 2 shown]
	v_cvt_f64_f32_e32 v[26:27], v28
	v_cvt_f64_f32_e32 v[28:29], v29
	v_fma_f64 v[30:31], v[26:27], v[43:44], v[61:62]
	v_fma_f64 v[9:10], v[28:29], v[43:44], v[9:10]
	v_fma_f64 v[57:58], -v[28:29], v[45:46], v[30:31]
	v_fma_f64 v[9:10], v[26:27], v[45:46], v[9:10]
	v_cvt_f64_f32_e32 v[26:27], v22
	v_cvt_f64_f32_e32 v[22:23], v23
	v_fma_f64 v[28:29], v[26:27], v[39:40], v[34:35]
	v_cvt_f64_f32_e32 v[34:35], v19
	v_cvt_f64_f32_e32 v[19:20], v20
	v_fma_f64 v[9:10], v[19:20], v[39:40], v[9:10]
	v_fma_f64 v[30:31], -v[22:23], v[41:42], v[28:29]
	v_fma_f64 v[22:23], v[22:23], v[39:40], v[47:48]
	v_fma_f64 v[32:33], v[26:27], v[41:42], v[22:23]
	v_cvt_f64_f32_e32 v[22:23], v24
	v_cvt_f64_f32_e32 v[24:25], v25
	v_fma_f64 v[26:27], v[22:23], v[39:40], v[49:50]
	v_fma_f64 v[26:27], -v[24:25], v[41:42], v[26:27]
	v_fma_f64 v[24:25], v[24:25], v[39:40], v[51:52]
	;; [unrolled: 6-line block ×3, first 2 shown]
	v_fma_f64 v[24:25], v[24:25], v[41:42], v[17:18]
	v_fma_f64 v[17:18], v[34:35], v[39:40], v[57:58]
	v_fma_f64 v[17:18], -v[19:20], v[41:42], v[17:18]
	v_fma_f64 v[19:20], v[34:35], v[41:42], v[9:10]
	global_load_dword v9, v[11:12], off offset:768
	v_add_co_u32_e32 v34, vcc, s14, v15
	v_addc_co_u32_e32 v35, vcc, 0, v16, vcc
	global_load_dwordx4 v[39:42], v[34:35], off
	global_load_dwordx4 v[43:46], v[34:35], off offset:48
	global_load_dwordx4 v[47:50], v[34:35], off offset:32
	;; [unrolled: 1-line block ×3, first 2 shown]
	s_waitcnt vmcnt(4)
	v_subrev_u32_e32 v9, s16, v9
	v_lshlrev_b32_e32 v9, 2, v9
	v_ashrrev_i32_e32 v10, 31, v9
	v_lshlrev_b64 v[9:10], 4, v[9:10]
	s_waitcnt vmcnt(3)
	v_cvt_f64_f32_e32 v[67:68], v39
	v_add_co_u32_e32 v69, vcc, s6, v9
	v_addc_co_u32_e32 v70, vcc, v37, v10, vcc
	global_load_dwordx4 v[9:12], v[69:70], off offset:48
	global_load_dwordx4 v[55:58], v[69:70], off offset:32
	;; [unrolled: 1-line block ×3, first 2 shown]
	global_load_dwordx4 v[63:66], v[69:70], off
	v_cvt_f64_f32_e32 v[39:40], v40
	v_add_co_u32_e32 v15, vcc, 0x8000, v15
	v_addc_co_u32_e32 v16, vcc, 0, v16, vcc
	s_waitcnt vmcnt(0)
	v_fma_f64 v[30:31], v[67:68], v[63:64], v[30:31]
	v_fma_f64 v[32:33], v[39:40], v[63:64], v[32:33]
	v_fma_f64 v[30:31], -v[39:40], v[65:66], v[30:31]
	v_cvt_f64_f32_e32 v[39:40], v41
	v_cvt_f64_f32_e32 v[41:42], v42
	v_fma_f64 v[32:33], v[67:68], v[65:66], v[32:33]
	v_fma_f64 v[26:27], v[39:40], v[63:64], v[26:27]
	;; [unrolled: 1-line block ×3, first 2 shown]
	v_fma_f64 v[26:27], -v[41:42], v[65:66], v[26:27]
	v_fma_f64 v[28:29], v[39:40], v[65:66], v[28:29]
	v_cvt_f64_f32_e32 v[39:40], v51
	v_cvt_f64_f32_e32 v[41:42], v52
	v_fma_f64 v[22:23], v[39:40], v[63:64], v[22:23]
	v_fma_f64 v[24:25], v[41:42], v[63:64], v[24:25]
	v_fma_f64 v[22:23], -v[41:42], v[65:66], v[22:23]
	v_cvt_f64_f32_e32 v[41:42], v54
	v_fma_f64 v[24:25], v[39:40], v[65:66], v[24:25]
	v_cvt_f64_f32_e32 v[39:40], v53
	v_fma_f64 v[19:20], v[41:42], v[63:64], v[19:20]
	v_fma_f64 v[17:18], v[39:40], v[63:64], v[17:18]
	;; [unrolled: 1-line block ×3, first 2 shown]
	v_cvt_f64_f32_e32 v[39:40], v47
	v_fma_f64 v[17:18], -v[41:42], v[65:66], v[17:18]
	v_cvt_f64_f32_e32 v[41:42], v48
	v_fma_f64 v[30:31], v[39:40], v[59:60], v[30:31]
	v_fma_f64 v[47:48], -v[41:42], v[61:62], v[30:31]
	v_fma_f64 v[30:31], v[41:42], v[59:60], v[32:33]
	v_cvt_f64_f32_e32 v[32:33], v50
	v_fma_f64 v[39:40], v[39:40], v[61:62], v[30:31]
	v_cvt_f64_f32_e32 v[30:31], v49
	v_fma_f64 v[26:27], v[30:31], v[59:60], v[26:27]
	v_fma_f64 v[41:42], -v[32:33], v[61:62], v[26:27]
	v_fma_f64 v[26:27], v[32:33], v[59:60], v[28:29]
	v_cvt_f64_f32_e32 v[28:29], v44
	v_fma_f64 v[49:50], v[30:31], v[61:62], v[26:27]
	;; [unrolled: 6-line block ×3, first 2 shown]
	v_cvt_f64_f32_e32 v[22:23], v45
	v_fma_f64 v[17:18], v[22:23], v[59:60], v[17:18]
	v_fma_f64 v[45:46], -v[24:25], v[61:62], v[17:18]
	v_fma_f64 v[17:18], v[24:25], v[59:60], v[19:20]
	v_fma_f64 v[53:54], v[22:23], v[61:62], v[17:18]
	global_load_dwordx4 v[17:20], v[34:35], off offset:112
	global_load_dwordx4 v[22:25], v[34:35], off offset:96
	;; [unrolled: 1-line block ×4, first 2 shown]
	s_waitcnt vmcnt(0)
	v_cvt_f64_f32_e32 v[34:35], v30
	v_cvt_f64_f32_e32 v[30:31], v31
	v_fma_f64 v[47:48], v[34:35], v[55:56], v[47:48]
	v_fma_f64 v[47:48], -v[30:31], v[57:58], v[47:48]
	v_fma_f64 v[30:31], v[30:31], v[55:56], v[39:40]
	v_fma_f64 v[30:31], v[34:35], v[57:58], v[30:31]
	v_cvt_f64_f32_e32 v[34:35], v32
	v_cvt_f64_f32_e32 v[32:33], v33
	v_fma_f64 v[39:40], v[34:35], v[55:56], v[41:42]
	v_fma_f64 v[39:40], -v[32:33], v[57:58], v[39:40]
	v_fma_f64 v[32:33], v[32:33], v[55:56], v[49:50]
	v_fma_f64 v[41:42], v[34:35], v[57:58], v[32:33]
	;; [unrolled: 6-line block ×7, first 2 shown]
	v_cvt_f64_f32_e32 v[17:18], v19
	v_cvt_f64_f32_e32 v[19:20], v20
	v_fma_f64 v[26:27], v[17:18], v[9:10], v[45:46]
	v_fma_f64 v[9:10], v[19:20], v[9:10], v[49:50]
	v_fma_f64 v[26:27], -v[19:20], v[11:12], v[26:27]
	v_fma_f64 v[9:10], v[17:18], v[11:12], v[9:10]
	s_andn2_b64 exec, exec, s[10:11]
	s_cbranch_execnz .LBB169_31
; %bb.32:
	s_or_b64 exec, exec, s[10:11]
.LBB169_33:
	s_or_b64 exec, exec, s[8:9]
.LBB169_34:
	s_or_b64 exec, exec, s[2:3]
.LBB169_35:
	v_mov_b32_dpp v11, v34 row_shr:1 row_mask:0xf bank_mask:0xf
	v_mov_b32_dpp v12, v35 row_shr:1 row_mask:0xf bank_mask:0xf
	v_add_f64 v[11:12], v[34:35], v[11:12]
	v_mov_b32_dpp v13, v30 row_shr:1 row_mask:0xf bank_mask:0xf
	v_mov_b32_dpp v14, v31 row_shr:1 row_mask:0xf bank_mask:0xf
	v_add_f64 v[13:14], v[30:31], v[13:14]
	v_mov_b32_dpp v17, v28 row_shr:1 row_mask:0xf bank_mask:0xf
	v_mov_b32_dpp v36, v22 row_shr:1 row_mask:0xf bank_mask:0xf
	;; [unrolled: 1-line block ×3, first 2 shown]
	v_add_f64 v[22:23], v[22:23], v[36:37]
	v_mov_b32_dpp v15, v11 row_shr:2 row_mask:0xf bank_mask:0xf
	v_mov_b32_dpp v16, v12 row_shr:2 row_mask:0xf bank_mask:0xf
	v_add_f64 v[11:12], v[11:12], v[15:16]
	v_mov_b32_dpp v15, v13 row_shr:2 row_mask:0xf bank_mask:0xf
	v_mov_b32_dpp v16, v14 row_shr:2 row_mask:0xf bank_mask:0xf
	;; [unrolled: 3-line block ×4, first 2 shown]
	v_mov_b32_dpp v19, v12 row_shr:4 row_mask:0xf bank_mask:0xe
	v_add_f64 v[11:12], v[11:12], v[18:19]
	v_mov_b32_dpp v18, v13 row_shr:4 row_mask:0xf bank_mask:0xe
	v_mov_b32_dpp v19, v14 row_shr:4 row_mask:0xf bank_mask:0xe
	v_add_f64 v[13:14], v[13:14], v[18:19]
	v_mov_b32_dpp v18, v29 row_shr:1 row_mask:0xf bank_mask:0xf
	v_add_f64 v[17:18], v[28:29], v[17:18]
	v_mov_b32_dpp v19, v15 row_shr:2 row_mask:0xf bank_mask:0xf
	v_mov_b32_dpp v20, v16 row_shr:2 row_mask:0xf bank_mask:0xf
	v_add_f64 v[15:16], v[15:16], v[19:20]
	v_mov_b32_dpp v28, v11 row_shr:8 row_mask:0xf bank_mask:0xc
	;; [unrolled: 3-line block ×3, first 2 shown]
	v_mov_b32_dpp v19, v17 row_shr:2 row_mask:0xf bank_mask:0xf
	v_mov_b32_dpp v20, v18 row_shr:2 row_mask:0xf bank_mask:0xf
	v_add_f64 v[17:18], v[17:18], v[19:20]
	v_mov_b32_dpp v29, v14 row_shr:8 row_mask:0xf bank_mask:0xc
	v_add_f64 v[13:14], v[13:14], v[28:29]
	v_mov_b32_dpp v28, v15 row_shr:4 row_mask:0xf bank_mask:0xe
	v_mov_b32_dpp v29, v16 row_shr:4 row_mask:0xf bank_mask:0xe
	v_add_f64 v[15:16], v[15:16], v[28:29]
	v_mov_b32_dpp v19, v11 row_bcast:15 row_mask:0xa bank_mask:0xf
	v_mov_b32_dpp v20, v12 row_bcast:15 row_mask:0xa bank_mask:0xf
	v_mov_b32_dpp v28, v17 row_shr:4 row_mask:0xf bank_mask:0xe
	v_mov_b32_dpp v29, v18 row_shr:4 row_mask:0xf bank_mask:0xe
	v_add_f64 v[17:18], v[17:18], v[28:29]
	v_mov_b32_dpp v28, v24 row_shr:1 row_mask:0xf bank_mask:0xf
	v_mov_b32_dpp v29, v25 row_shr:1 row_mask:0xf bank_mask:0xf
	v_add_f64 v[24:25], v[24:25], v[28:29]
	;; [unrolled: 3-line block ×3, first 2 shown]
	v_add_f64 v[11:12], v[11:12], v[19:20]
	v_mov_b32_dpp v28, v17 row_shr:8 row_mask:0xf bank_mask:0xc
	v_mov_b32_dpp v29, v18 row_shr:8 row_mask:0xf bank_mask:0xc
	v_add_f64 v[17:18], v[17:18], v[28:29]
	v_mov_b32_dpp v28, v24 row_shr:2 row_mask:0xf bank_mask:0xf
	v_mov_b32_dpp v29, v25 row_shr:2 row_mask:0xf bank_mask:0xf
	v_add_f64 v[24:25], v[24:25], v[28:29]
	v_mov_b32_dpp v19, v13 row_bcast:15 row_mask:0xa bank_mask:0xf
	v_mov_b32_dpp v20, v14 row_bcast:15 row_mask:0xa bank_mask:0xf
	v_add_f64 v[13:14], v[13:14], v[19:20]
	v_mov_b32_dpp v19, v15 row_bcast:15 row_mask:0xa bank_mask:0xf
	v_mov_b32_dpp v20, v16 row_bcast:15 row_mask:0xa bank_mask:0xf
	;; [unrolled: 3-line block ×3, first 2 shown]
	v_add_f64 v[17:18], v[17:18], v[19:20]
	v_mov_b32_dpp v19, v24 row_shr:4 row_mask:0xf bank_mask:0xe
	v_mov_b32_dpp v20, v25 row_shr:4 row_mask:0xf bank_mask:0xe
	v_add_f64 v[32:33], v[24:25], v[19:20]
	v_mov_b32_dpp v37, v27 row_shr:1 row_mask:0xf bank_mask:0xf
	v_add_f64 v[26:27], v[26:27], v[36:37]
	v_mov_b32_dpp v36, v9 row_shr:1 row_mask:0xf bank_mask:0xf
	v_mov_b32_dpp v37, v10 row_shr:1 row_mask:0xf bank_mask:0xf
	v_add_f64 v[9:10], v[9:10], v[36:37]
	v_mov_b32_dpp v30, v11 row_bcast:31 row_mask:0xc bank_mask:0xf
	v_mov_b32_dpp v31, v12 row_bcast:31 row_mask:0xc bank_mask:0xf
	v_mov_b32_dpp v34, v32 row_shr:8 row_mask:0xf bank_mask:0xc
	v_mov_b32_dpp v35, v33 row_shr:8 row_mask:0xf bank_mask:0xc
	v_add_f64 v[32:33], v[32:33], v[34:35]
	v_mov_b32_dpp v34, v22 row_shr:2 row_mask:0xf bank_mask:0xf
	v_mov_b32_dpp v35, v23 row_shr:2 row_mask:0xf bank_mask:0xf
	v_add_f64 v[22:23], v[22:23], v[34:35]
	;; [unrolled: 3-line block ×4, first 2 shown]
	v_mov_b32_dpp v34, v32 row_bcast:15 row_mask:0xa bank_mask:0xf
	v_mov_b32_dpp v35, v22 row_shr:4 row_mask:0xf bank_mask:0xe
	v_mov_b32_dpp v36, v23 row_shr:4 row_mask:0xf bank_mask:0xe
	v_add_f64 v[22:23], v[22:23], v[35:36]
	v_mov_b32_dpp v35, v26 row_shr:4 row_mask:0xf bank_mask:0xe
	v_mov_b32_dpp v36, v27 row_shr:4 row_mask:0xf bank_mask:0xe
	v_add_f64 v[26:27], v[26:27], v[35:36]
	;; [unrolled: 3-line block ×3, first 2 shown]
	v_mov_b32_dpp v35, v33 row_bcast:15 row_mask:0xa bank_mask:0xf
	v_mov_b32_dpp v36, v22 row_shr:8 row_mask:0xf bank_mask:0xc
	v_mov_b32_dpp v37, v23 row_shr:8 row_mask:0xf bank_mask:0xc
	v_add_f64 v[22:23], v[22:23], v[36:37]
	v_mov_b32_dpp v36, v26 row_shr:8 row_mask:0xf bank_mask:0xc
	v_mov_b32_dpp v37, v27 row_shr:8 row_mask:0xf bank_mask:0xc
	v_add_f64 v[26:27], v[26:27], v[36:37]
	;; [unrolled: 3-line block ×3, first 2 shown]
	v_add_f64 v[9:10], v[32:33], v[34:35]
	v_mov_b32_dpp v32, v22 row_bcast:15 row_mask:0xa bank_mask:0xf
	v_mov_b32_dpp v33, v23 row_bcast:15 row_mask:0xa bank_mask:0xf
	v_add_f64 v[22:23], v[22:23], v[32:33]
	v_mov_b32_dpp v32, v26 row_bcast:15 row_mask:0xa bank_mask:0xf
	v_mov_b32_dpp v33, v27 row_bcast:15 row_mask:0xa bank_mask:0xf
	;; [unrolled: 3-line block ×4, first 2 shown]
	v_mov_b32_dpp v24, v15 row_bcast:31 row_mask:0xc bank_mask:0xf
	v_mov_b32_dpp v25, v16 row_bcast:31 row_mask:0xc bank_mask:0xf
	v_mov_b32_dpp v19, v17 row_bcast:31 row_mask:0xc bank_mask:0xf
	v_mov_b32_dpp v20, v18 row_bcast:31 row_mask:0xc bank_mask:0xf
	v_mov_b32_dpp v40, v9 row_bcast:31 row_mask:0xc bank_mask:0xf
	v_mov_b32_dpp v41, v10 row_bcast:31 row_mask:0xc bank_mask:0xf
	v_mov_b32_dpp v38, v22 row_bcast:31 row_mask:0xc bank_mask:0xf
	v_mov_b32_dpp v39, v23 row_bcast:31 row_mask:0xc bank_mask:0xf
	v_mov_b32_dpp v36, v26 row_bcast:31 row_mask:0xc bank_mask:0xf
	v_mov_b32_dpp v37, v27 row_bcast:31 row_mask:0xc bank_mask:0xf
	v_mov_b32_dpp v34, v32 row_bcast:31 row_mask:0xc bank_mask:0xf
	v_mov_b32_dpp v35, v33 row_bcast:31 row_mask:0xc bank_mask:0xf
	v_cmp_eq_u32_e32 vcc, 63, v0
	s_and_b64 exec, exec, vcc
	s_cbranch_execz .LBB169_8
; %bb.36:
	v_add_f64 v[13:14], v[13:14], v[28:29]
	v_add_f64 v[15:16], v[15:16], v[24:25]
	;; [unrolled: 1-line block ×8, first 2 shown]
	v_mul_f64 v[26:27], v[13:14], -v[7:8]
	v_mul_f64 v[13:14], v[5:6], v[13:14]
	v_mul_f64 v[28:29], v[17:18], -v[7:8]
	v_mul_f64 v[30:31], v[5:6], v[17:18]
	;; [unrolled: 2-line block ×4, first 2 shown]
	v_cmp_eq_f64_e32 vcc, 0, v[1:2]
	v_cmp_eq_f64_e64 s[0:1], 0, v[3:4]
	v_fma_f64 v[17:18], v[5:6], v[11:12], v[26:27]
	v_fma_f64 v[19:20], v[7:8], v[11:12], v[13:14]
	;; [unrolled: 1-line block ×8, first 2 shown]
	s_load_dwordx2 s[2:3], s[4:5], 0x60
	s_and_b64 s[0:1], vcc, s[0:1]
	v_lshlrev_b32_e32 v21, 2, v21
	s_and_saveexec_b64 s[4:5], s[0:1]
	s_xor_b64 s[0:1], exec, s[4:5]
	s_cbranch_execz .LBB169_38
; %bb.37:
	v_ashrrev_i32_e32 v22, 31, v21
	v_lshlrev_b64 v[0:1], 4, v[21:22]
	s_waitcnt lgkmcnt(0)
	v_mov_b32_e32 v2, s3
	v_add_co_u32_e32 v0, vcc, s2, v0
	v_addc_co_u32_e32 v1, vcc, v2, v1, vcc
	global_store_dwordx4 v[0:1], v[17:20], off
	global_store_dwordx4 v[0:1], v[13:16], off offset:16
	global_store_dwordx4 v[0:1], v[9:12], off offset:32
	;; [unrolled: 1-line block ×3, first 2 shown]
                                        ; implicit-def: $vgpr3_vgpr4
                                        ; implicit-def: $vgpr17_vgpr18
                                        ; implicit-def: $vgpr21
                                        ; implicit-def: $vgpr13_vgpr14
                                        ; implicit-def: $vgpr9_vgpr10
                                        ; implicit-def: $vgpr5_vgpr6
.LBB169_38:
	s_andn2_saveexec_b64 s[0:1], s[0:1]
	s_cbranch_execz .LBB169_8
; %bb.39:
	v_ashrrev_i32_e32 v22, 31, v21
	v_lshlrev_b64 v[21:22], 4, v[21:22]
	s_waitcnt lgkmcnt(0)
	v_mov_b32_e32 v0, s3
	v_add_co_u32_e32 v37, vcc, s2, v21
	v_addc_co_u32_e32 v38, vcc, v0, v22, vcc
	global_load_dwordx4 v[21:24], v[37:38], off
	global_load_dwordx4 v[25:28], v[37:38], off offset:16
	global_load_dwordx4 v[29:32], v[37:38], off offset:32
	;; [unrolled: 1-line block ×3, first 2 shown]
	s_waitcnt vmcnt(3)
	v_fma_f64 v[17:18], v[1:2], v[21:22], v[17:18]
	v_fma_f64 v[19:20], v[3:4], v[21:22], v[19:20]
	s_waitcnt vmcnt(2)
	v_fma_f64 v[13:14], v[1:2], v[25:26], v[13:14]
	v_fma_f64 v[15:16], v[3:4], v[25:26], v[15:16]
	;; [unrolled: 3-line block ×4, first 2 shown]
	v_fma_f64 v[5:6], -v[3:4], v[23:24], v[17:18]
	v_fma_f64 v[7:8], v[1:2], v[23:24], v[19:20]
	v_fma_f64 v[9:10], -v[3:4], v[27:28], v[13:14]
	v_fma_f64 v[11:12], v[1:2], v[27:28], v[15:16]
	v_fma_f64 v[13:14], -v[3:4], v[31:32], v[21:22]
	v_fma_f64 v[15:16], v[1:2], v[31:32], v[25:26]
	v_fma_f64 v[17:18], -v[3:4], v[35:36], v[29:30]
	v_fma_f64 v[19:20], v[1:2], v[35:36], v[33:34]
	global_store_dwordx4 v[37:38], v[5:8], off
	global_store_dwordx4 v[37:38], v[9:12], off offset:16
	global_store_dwordx4 v[37:38], v[13:16], off offset:32
	;; [unrolled: 1-line block ×3, first 2 shown]
	s_endpgm
	.section	.rodata,"a",@progbits
	.p2align	6, 0x0
	.amdhsa_kernel _ZN9rocsparseL18bsrxmvn_4x4_kernelILj128ELj64E21rocsparse_complex_numIdEiiS1_IfES2_S2_EEvT3_20rocsparse_direction_NS_24const_host_device_scalarIT1_EES4_PKS4_PKT2_SD_SA_PKT4_PKT5_S8_PT6_21rocsparse_index_base_b
		.amdhsa_group_segment_fixed_size 0
		.amdhsa_private_segment_fixed_size 0
		.amdhsa_kernarg_size 112
		.amdhsa_user_sgpr_count 6
		.amdhsa_user_sgpr_private_segment_buffer 1
		.amdhsa_user_sgpr_dispatch_ptr 0
		.amdhsa_user_sgpr_queue_ptr 0
		.amdhsa_user_sgpr_kernarg_segment_ptr 1
		.amdhsa_user_sgpr_dispatch_id 0
		.amdhsa_user_sgpr_flat_scratch_init 0
		.amdhsa_user_sgpr_private_segment_size 0
		.amdhsa_uses_dynamic_stack 0
		.amdhsa_system_sgpr_private_segment_wavefront_offset 0
		.amdhsa_system_sgpr_workgroup_id_x 1
		.amdhsa_system_sgpr_workgroup_id_y 0
		.amdhsa_system_sgpr_workgroup_id_z 0
		.amdhsa_system_sgpr_workgroup_info 0
		.amdhsa_system_vgpr_workitem_id 0
		.amdhsa_next_free_vgpr 85
		.amdhsa_next_free_sgpr 20
		.amdhsa_reserve_vcc 1
		.amdhsa_reserve_flat_scratch 0
		.amdhsa_float_round_mode_32 0
		.amdhsa_float_round_mode_16_64 0
		.amdhsa_float_denorm_mode_32 3
		.amdhsa_float_denorm_mode_16_64 3
		.amdhsa_dx10_clamp 1
		.amdhsa_ieee_mode 1
		.amdhsa_fp16_overflow 0
		.amdhsa_exception_fp_ieee_invalid_op 0
		.amdhsa_exception_fp_denorm_src 0
		.amdhsa_exception_fp_ieee_div_zero 0
		.amdhsa_exception_fp_ieee_overflow 0
		.amdhsa_exception_fp_ieee_underflow 0
		.amdhsa_exception_fp_ieee_inexact 0
		.amdhsa_exception_int_div_zero 0
	.end_amdhsa_kernel
	.section	.text._ZN9rocsparseL18bsrxmvn_4x4_kernelILj128ELj64E21rocsparse_complex_numIdEiiS1_IfES2_S2_EEvT3_20rocsparse_direction_NS_24const_host_device_scalarIT1_EES4_PKS4_PKT2_SD_SA_PKT4_PKT5_S8_PT6_21rocsparse_index_base_b,"axG",@progbits,_ZN9rocsparseL18bsrxmvn_4x4_kernelILj128ELj64E21rocsparse_complex_numIdEiiS1_IfES2_S2_EEvT3_20rocsparse_direction_NS_24const_host_device_scalarIT1_EES4_PKS4_PKT2_SD_SA_PKT4_PKT5_S8_PT6_21rocsparse_index_base_b,comdat
.Lfunc_end169:
	.size	_ZN9rocsparseL18bsrxmvn_4x4_kernelILj128ELj64E21rocsparse_complex_numIdEiiS1_IfES2_S2_EEvT3_20rocsparse_direction_NS_24const_host_device_scalarIT1_EES4_PKS4_PKT2_SD_SA_PKT4_PKT5_S8_PT6_21rocsparse_index_base_b, .Lfunc_end169-_ZN9rocsparseL18bsrxmvn_4x4_kernelILj128ELj64E21rocsparse_complex_numIdEiiS1_IfES2_S2_EEvT3_20rocsparse_direction_NS_24const_host_device_scalarIT1_EES4_PKS4_PKT2_SD_SA_PKT4_PKT5_S8_PT6_21rocsparse_index_base_b
                                        ; -- End function
	.set _ZN9rocsparseL18bsrxmvn_4x4_kernelILj128ELj64E21rocsparse_complex_numIdEiiS1_IfES2_S2_EEvT3_20rocsparse_direction_NS_24const_host_device_scalarIT1_EES4_PKS4_PKT2_SD_SA_PKT4_PKT5_S8_PT6_21rocsparse_index_base_b.num_vgpr, 85
	.set _ZN9rocsparseL18bsrxmvn_4x4_kernelILj128ELj64E21rocsparse_complex_numIdEiiS1_IfES2_S2_EEvT3_20rocsparse_direction_NS_24const_host_device_scalarIT1_EES4_PKS4_PKT2_SD_SA_PKT4_PKT5_S8_PT6_21rocsparse_index_base_b.num_agpr, 0
	.set _ZN9rocsparseL18bsrxmvn_4x4_kernelILj128ELj64E21rocsparse_complex_numIdEiiS1_IfES2_S2_EEvT3_20rocsparse_direction_NS_24const_host_device_scalarIT1_EES4_PKS4_PKT2_SD_SA_PKT4_PKT5_S8_PT6_21rocsparse_index_base_b.numbered_sgpr, 20
	.set _ZN9rocsparseL18bsrxmvn_4x4_kernelILj128ELj64E21rocsparse_complex_numIdEiiS1_IfES2_S2_EEvT3_20rocsparse_direction_NS_24const_host_device_scalarIT1_EES4_PKS4_PKT2_SD_SA_PKT4_PKT5_S8_PT6_21rocsparse_index_base_b.num_named_barrier, 0
	.set _ZN9rocsparseL18bsrxmvn_4x4_kernelILj128ELj64E21rocsparse_complex_numIdEiiS1_IfES2_S2_EEvT3_20rocsparse_direction_NS_24const_host_device_scalarIT1_EES4_PKS4_PKT2_SD_SA_PKT4_PKT5_S8_PT6_21rocsparse_index_base_b.private_seg_size, 0
	.set _ZN9rocsparseL18bsrxmvn_4x4_kernelILj128ELj64E21rocsparse_complex_numIdEiiS1_IfES2_S2_EEvT3_20rocsparse_direction_NS_24const_host_device_scalarIT1_EES4_PKS4_PKT2_SD_SA_PKT4_PKT5_S8_PT6_21rocsparse_index_base_b.uses_vcc, 1
	.set _ZN9rocsparseL18bsrxmvn_4x4_kernelILj128ELj64E21rocsparse_complex_numIdEiiS1_IfES2_S2_EEvT3_20rocsparse_direction_NS_24const_host_device_scalarIT1_EES4_PKS4_PKT2_SD_SA_PKT4_PKT5_S8_PT6_21rocsparse_index_base_b.uses_flat_scratch, 0
	.set _ZN9rocsparseL18bsrxmvn_4x4_kernelILj128ELj64E21rocsparse_complex_numIdEiiS1_IfES2_S2_EEvT3_20rocsparse_direction_NS_24const_host_device_scalarIT1_EES4_PKS4_PKT2_SD_SA_PKT4_PKT5_S8_PT6_21rocsparse_index_base_b.has_dyn_sized_stack, 0
	.set _ZN9rocsparseL18bsrxmvn_4x4_kernelILj128ELj64E21rocsparse_complex_numIdEiiS1_IfES2_S2_EEvT3_20rocsparse_direction_NS_24const_host_device_scalarIT1_EES4_PKS4_PKT2_SD_SA_PKT4_PKT5_S8_PT6_21rocsparse_index_base_b.has_recursion, 0
	.set _ZN9rocsparseL18bsrxmvn_4x4_kernelILj128ELj64E21rocsparse_complex_numIdEiiS1_IfES2_S2_EEvT3_20rocsparse_direction_NS_24const_host_device_scalarIT1_EES4_PKS4_PKT2_SD_SA_PKT4_PKT5_S8_PT6_21rocsparse_index_base_b.has_indirect_call, 0
	.section	.AMDGPU.csdata,"",@progbits
; Kernel info:
; codeLenInByte = 11088
; TotalNumSgprs: 24
; NumVgprs: 85
; ScratchSize: 0
; MemoryBound: 0
; FloatMode: 240
; IeeeMode: 1
; LDSByteSize: 0 bytes/workgroup (compile time only)
; SGPRBlocks: 2
; VGPRBlocks: 21
; NumSGPRsForWavesPerEU: 24
; NumVGPRsForWavesPerEU: 85
; Occupancy: 2
; WaveLimiterHint : 1
; COMPUTE_PGM_RSRC2:SCRATCH_EN: 0
; COMPUTE_PGM_RSRC2:USER_SGPR: 6
; COMPUTE_PGM_RSRC2:TRAP_HANDLER: 0
; COMPUTE_PGM_RSRC2:TGID_X_EN: 1
; COMPUTE_PGM_RSRC2:TGID_Y_EN: 0
; COMPUTE_PGM_RSRC2:TGID_Z_EN: 0
; COMPUTE_PGM_RSRC2:TIDIG_COMP_CNT: 0
	.section	.text._ZN9rocsparseL18bsrxmvn_4x4_kernelILj128ELj4E21rocsparse_complex_numIdEliS1_IfES2_S2_EEvT3_20rocsparse_direction_NS_24const_host_device_scalarIT1_EES4_PKS4_PKT2_SD_SA_PKT4_PKT5_S8_PT6_21rocsparse_index_base_b,"axG",@progbits,_ZN9rocsparseL18bsrxmvn_4x4_kernelILj128ELj4E21rocsparse_complex_numIdEliS1_IfES2_S2_EEvT3_20rocsparse_direction_NS_24const_host_device_scalarIT1_EES4_PKS4_PKT2_SD_SA_PKT4_PKT5_S8_PT6_21rocsparse_index_base_b,comdat
	.globl	_ZN9rocsparseL18bsrxmvn_4x4_kernelILj128ELj4E21rocsparse_complex_numIdEliS1_IfES2_S2_EEvT3_20rocsparse_direction_NS_24const_host_device_scalarIT1_EES4_PKS4_PKT2_SD_SA_PKT4_PKT5_S8_PT6_21rocsparse_index_base_b ; -- Begin function _ZN9rocsparseL18bsrxmvn_4x4_kernelILj128ELj4E21rocsparse_complex_numIdEliS1_IfES2_S2_EEvT3_20rocsparse_direction_NS_24const_host_device_scalarIT1_EES4_PKS4_PKT2_SD_SA_PKT4_PKT5_S8_PT6_21rocsparse_index_base_b
	.p2align	8
	.type	_ZN9rocsparseL18bsrxmvn_4x4_kernelILj128ELj4E21rocsparse_complex_numIdEliS1_IfES2_S2_EEvT3_20rocsparse_direction_NS_24const_host_device_scalarIT1_EES4_PKS4_PKT2_SD_SA_PKT4_PKT5_S8_PT6_21rocsparse_index_base_b,@function
_ZN9rocsparseL18bsrxmvn_4x4_kernelILj128ELj4E21rocsparse_complex_numIdEliS1_IfES2_S2_EEvT3_20rocsparse_direction_NS_24const_host_device_scalarIT1_EES4_PKS4_PKT2_SD_SA_PKT4_PKT5_S8_PT6_21rocsparse_index_base_b: ; @_ZN9rocsparseL18bsrxmvn_4x4_kernelILj128ELj4E21rocsparse_complex_numIdEliS1_IfES2_S2_EEvT3_20rocsparse_direction_NS_24const_host_device_scalarIT1_EES4_PKS4_PKT2_SD_SA_PKT4_PKT5_S8_PT6_21rocsparse_index_base_b
; %bb.0:
	s_load_dwordx2 s[0:1], s[4:5], 0x8
	s_load_dwordx2 s[16:17], s[4:5], 0x68
	s_add_u32 s7, s4, 8
	s_addc_u32 s8, s5, 0
	s_add_u32 s9, s4, 0x50
	s_addc_u32 s10, s5, 0
	s_waitcnt lgkmcnt(0)
	s_bitcmp1_b32 s17, 0
	s_cselect_b32 s1, s8, s1
	s_cselect_b32 s0, s7, s0
	v_mov_b32_e32 v1, s0
	v_mov_b32_e32 v2, s1
	flat_load_dwordx4 v[5:8], v[1:2]
	s_load_dwordx2 s[2:3], s[4:5], 0x50
	s_waitcnt lgkmcnt(0)
	s_cselect_b32 s0, s10, s3
	s_cselect_b32 s1, s9, s2
	v_mov_b32_e32 v1, s1
	v_mov_b32_e32 v2, s0
	flat_load_dwordx4 v[1:4], v[1:2]
	s_waitcnt vmcnt(0)
	v_cmp_eq_f64_e32 vcc, 0, v[5:6]
	v_cmp_eq_f64_e64 s[0:1], 0, v[7:8]
	s_and_b64 s[8:9], vcc, s[0:1]
	s_mov_b64 s[0:1], -1
	s_and_saveexec_b64 s[2:3], s[8:9]
	s_cbranch_execz .LBB170_2
; %bb.1:
	s_waitcnt lgkmcnt(0)
	v_cmp_neq_f64_e32 vcc, 1.0, v[1:2]
	v_cmp_neq_f64_e64 s[0:1], 0, v[3:4]
	s_or_b64 s[0:1], vcc, s[0:1]
	s_orn2_b64 s[0:1], s[0:1], exec
.LBB170_2:
	s_or_b64 exec, exec, s[2:3]
	s_and_saveexec_b64 s[2:3], s[0:1]
	s_cbranch_execz .LBB170_8
; %bb.3:
	s_load_dwordx2 s[8:9], s[4:5], 0x20
	s_load_dwordx2 s[0:1], s[4:5], 0x0
	v_lshrrev_b32_e32 v9, 2, v0
	v_lshl_or_b32 v21, s6, 5, v9
	s_mov_b64 s[2:3], 0
	s_waitcnt lgkmcnt(0)
	s_cmp_lg_u64 s[8:9], 0
	s_cbranch_scc0 .LBB170_9
; %bb.4:
	s_load_dword s6, s[4:5], 0x18
                                        ; implicit-def: $vgpr9
	s_waitcnt lgkmcnt(0)
	v_cmp_gt_i32_e32 vcc, s6, v21
	s_and_saveexec_b64 s[6:7], vcc
	s_xor_b64 s[6:7], exec, s[6:7]
	s_cbranch_execz .LBB170_6
; %bb.5:
	v_ashrrev_i32_e32 v22, 31, v21
	v_lshlrev_b64 v[9:10], 2, v[21:22]
	v_mov_b32_e32 v11, s9
	v_add_co_u32_e32 v9, vcc, s8, v9
	v_addc_co_u32_e32 v10, vcc, v11, v10, vcc
	global_load_dword v9, v[9:10], off
	s_mov_b64 s[2:3], exec
	s_waitcnt vmcnt(0)
	v_subrev_u32_e32 v9, s16, v9
.LBB170_6:
	s_or_b64 exec, exec, s[6:7]
	s_branch .LBB170_10
.LBB170_7:
	v_cmp_gt_i32_e32 vcc, s0, v21
	s_andn2_b64 s[2:3], s[2:3], exec
	s_and_b64 s[6:7], vcc, exec
	s_or_b64 s[2:3], s[2:3], s[6:7]
	s_and_b64 exec, exec, s[2:3]
	s_cbranch_execnz .LBB170_11
.LBB170_8:
	s_endpgm
.LBB170_9:
                                        ; implicit-def: $vgpr9
	s_cbranch_execnz .LBB170_7
.LBB170_10:
	v_mov_b32_e32 v21, v9
	s_and_b64 exec, exec, s[2:3]
	s_cbranch_execz .LBB170_8
.LBB170_11:
	s_load_dwordx8 s[8:15], s[4:5], 0x28
	v_ashrrev_i32_e32 v22, 31, v21
	v_lshlrev_b64 v[9:10], 3, v[21:22]
	v_and_b32_e32 v0, 3, v0
	s_load_dwordx2 s[6:7], s[4:5], 0x48
	s_waitcnt lgkmcnt(0)
	v_mov_b32_e32 v12, s9
	v_add_co_u32_e32 v11, vcc, s8, v9
	v_addc_co_u32_e32 v12, vcc, v12, v10, vcc
	global_load_dwordx2 v[28:29], v[11:12], off
	v_add_co_u32_e32 v11, vcc, 8, v11
	v_addc_co_u32_e32 v12, vcc, 0, v12, vcc
	v_mov_b32_e32 v13, s11
	v_add_co_u32_e32 v9, vcc, s10, v9
	s_cmp_eq_u64 s[10:11], 0
	v_addc_co_u32_e32 v10, vcc, v13, v10, vcc
	s_cselect_b64 vcc, -1, 0
	v_cndmask_b32_e32 v10, v10, v12, vcc
	v_cndmask_b32_e32 v9, v9, v11, vcc
	global_load_dwordx2 v[9:10], v[9:10], off
	v_mov_b32_e32 v11, s15
	s_cmp_eq_u32 s1, 1
	s_waitcnt vmcnt(1)
	v_subrev_co_u32_e32 v12, vcc, s16, v28
	v_subbrev_co_u32_e32 v13, vcc, 0, v29, vcc
	v_add_co_u32_e32 v22, vcc, v12, v0
	v_addc_co_u32_e32 v23, vcc, 0, v13, vcc
	s_waitcnt vmcnt(0)
	v_subrev_co_u32_e32 v24, vcc, s16, v9
	v_subbrev_co_u32_e32 v25, vcc, 0, v10, vcc
	v_lshlrev_b64 v[9:10], 7, v[22:23]
	v_cmp_lt_i64_e64 s[0:1], v[22:23], v[24:25]
	v_add_co_u32_e32 v26, vcc, s14, v9
	v_addc_co_u32_e32 v27, vcc, v11, v10, vcc
	s_cbranch_scc1 .LBB170_23
; %bb.12:
	v_mov_b32_e32 v19, 0
	v_mov_b32_e32 v17, 0
	;; [unrolled: 1-line block ×16, first 2 shown]
	s_and_saveexec_b64 s[8:9], s[0:1]
	s_cbranch_execz .LBB170_22
; %bb.13:
	v_or_b32_e32 v9, 4, v0
	v_subrev_co_u32_e32 v9, vcc, s16, v9
	v_subb_co_u32_e64 v10, s[2:3], 0, 0, vcc
	v_add_co_u32_e32 v9, vcc, v9, v28
	v_addc_co_u32_e32 v10, vcc, v10, v29, vcc
	v_cmp_gt_i64_e32 vcc, v[9:10], v[24:25]
	v_not_b32_e32 v12, v28
	v_cndmask_b32_e32 v10, v25, v10, vcc
	v_cndmask_b32_e32 v9, v24, v9, vcc
	v_sub_co_u32_e32 v13, vcc, s16, v0
	v_not_b32_e32 v11, v29
	v_subb_co_u32_e64 v14, s[2:3], 0, 0, vcc
	v_add_co_u32_e32 v12, vcc, v13, v12
	v_addc_co_u32_e32 v11, vcc, v14, v11, vcc
	v_add_co_u32_e32 v34, vcc, v12, v9
	v_addc_co_u32_e32 v35, vcc, v11, v10, vcc
	v_and_b32_e32 v9, 12, v34
	v_mov_b32_e32 v10, 0
	v_cmp_ne_u64_e32 vcc, 12, v[9:10]
	v_mov_b32_e32 v13, 0
	v_mov_b32_e32 v15, 0
	;; [unrolled: 1-line block ×20, first 2 shown]
	s_and_saveexec_b64 s[10:11], vcc
	s_cbranch_execz .LBB170_17
; %bb.14:
	v_lshrrev_b32_e32 v9, 2, v34
	v_add_u32_e32 v9, 1, v9
	v_and_b32_e32 v11, 3, v9
	v_lshlrev_b64 v[9:10], 2, v[22:23]
	v_mov_b32_e32 v12, s13
	v_add_co_u32_e32 v40, vcc, s12, v9
	v_addc_co_u32_e32 v41, vcc, v12, v10, vcc
	v_sub_co_u32_e32 v42, vcc, 0, v11
	v_mov_b32_e32 v19, 0
	v_mov_b32_e32 v31, v23
	;; [unrolled: 1-line block ×10, first 2 shown]
	s_mov_b64 s[14:15], 0
	v_subb_co_u32_e64 v43, s[2:3], 0, 0, vcc
	v_mov_b32_e32 v20, 0
	s_movk_i32 s17, 0x200
	v_mov_b32_e32 v44, s7
	v_mov_b32_e32 v30, v22
	;; [unrolled: 1-line block ×10, first 2 shown]
.LBB170_15:                             ; =>This Inner Loop Header: Depth=1
	global_load_dword v53, v[40:41], off
	global_load_dwordx4 v[45:48], v[32:33], off
	global_load_dwordx4 v[49:52], v[32:33], off offset:32
	v_add_co_u32_e64 v30, s[2:3], 4, v30
	v_addc_co_u32_e64 v31, s[2:3], 0, v31, s[2:3]
	v_add_co_u32_e64 v40, s[2:3], 16, v40
	v_addc_co_u32_e64 v41, s[2:3], 0, v41, s[2:3]
	;; [unrolled: 2-line block ×3, first 2 shown]
	v_cmp_eq_u64_e64 s[2:3], 0, v[42:43]
	s_or_b64 s[14:15], s[2:3], s[14:15]
	s_waitcnt vmcnt(2)
	v_subrev_u32_e32 v53, s16, v53
	v_lshlrev_b32_e32 v53, 2, v53
	v_ashrrev_i32_e32 v54, 31, v53
	v_lshlrev_b64 v[53:54], 4, v[53:54]
	s_waitcnt vmcnt(1)
	v_cvt_f64_f32_e32 v[57:58], v45
	v_add_co_u32_e32 v59, vcc, s6, v53
	v_addc_co_u32_e32 v60, vcc, v44, v54, vcc
	global_load_dwordx4 v[53:56], v[59:60], off
	v_cvt_f64_f32_e32 v[45:46], v46
	s_waitcnt vmcnt(0)
	v_fma_f64 v[17:18], v[57:58], v[53:54], v[17:18]
	v_fma_f64 v[19:20], v[45:46], v[53:54], v[19:20]
	v_fma_f64 v[45:46], -v[45:46], v[55:56], v[17:18]
	v_cvt_f64_f32_e32 v[17:18], v49
	v_fma_f64 v[57:58], v[57:58], v[55:56], v[19:20]
	v_cvt_f64_f32_e32 v[19:20], v50
	v_fma_f64 v[38:39], v[17:18], v[53:54], v[38:39]
	v_fma_f64 v[36:37], v[19:20], v[53:54], v[36:37]
	v_fma_f64 v[38:39], -v[19:20], v[55:56], v[38:39]
	v_fma_f64 v[36:37], v[17:18], v[55:56], v[36:37]
	global_load_dwordx4 v[17:20], v[32:33], off offset:64
	s_waitcnt vmcnt(0)
	v_cvt_f64_f32_e32 v[49:50], v17
	v_cvt_f64_f32_e32 v[17:18], v18
	v_fma_f64 v[11:12], v[49:50], v[53:54], v[11:12]
	v_fma_f64 v[9:10], v[17:18], v[53:54], v[9:10]
	v_fma_f64 v[17:18], -v[17:18], v[55:56], v[11:12]
	v_fma_f64 v[49:50], v[49:50], v[55:56], v[9:10]
	global_load_dwordx4 v[9:12], v[32:33], off offset:96
	s_waitcnt vmcnt(0)
	v_cvt_f64_f32_e32 v[61:62], v9
	v_cvt_f64_f32_e32 v[9:10], v10
	;; [unrolled: 1-line block ×4, first 2 shown]
	v_fma_f64 v[13:14], v[61:62], v[53:54], v[13:14]
	v_fma_f64 v[15:16], v[9:10], v[53:54], v[15:16]
	v_fma_f64 v[53:54], -v[9:10], v[55:56], v[13:14]
	global_load_dwordx4 v[9:12], v[59:60], off offset:16
	v_fma_f64 v[55:56], v[61:62], v[55:56], v[15:16]
	v_cvt_f64_f32_e32 v[13:14], v47
	v_cvt_f64_f32_e32 v[15:16], v48
	;; [unrolled: 1-line block ×6, first 2 shown]
	s_waitcnt vmcnt(0)
	v_fma_f64 v[45:46], v[13:14], v[9:10], v[45:46]
	v_fma_f64 v[57:58], v[15:16], v[9:10], v[57:58]
	v_fma_f64 v[17:18], v[61:62], v[9:10], v[17:18]
	v_fma_f64 v[45:46], -v[15:16], v[11:12], v[45:46]
	v_fma_f64 v[57:58], v[13:14], v[11:12], v[57:58]
	v_fma_f64 v[13:14], v[47:48], v[9:10], v[38:39]
	;; [unrolled: 1-line block ×3, first 2 shown]
	v_fma_f64 v[36:37], -v[51:52], v[11:12], v[13:14]
	v_fma_f64 v[38:39], v[47:48], v[11:12], v[15:16]
	v_fma_f64 v[47:48], v[19:20], v[9:10], v[49:50]
	;; [unrolled: 1-line block ×4, first 2 shown]
	global_load_dwordx4 v[13:16], v[32:33], off offset:16
	v_fma_f64 v[49:50], -v[19:20], v[11:12], v[17:18]
	global_load_dwordx4 v[17:20], v[32:33], off offset:48
	v_fma_f64 v[47:48], v[61:62], v[11:12], v[47:48]
	v_fma_f64 v[51:52], -v[65:66], v[11:12], v[51:52]
	v_fma_f64 v[55:56], v[63:64], v[11:12], v[9:10]
	global_load_dwordx4 v[9:12], v[59:60], off offset:32
	s_waitcnt vmcnt(2)
	v_cvt_f64_f32_e32 v[53:54], v13
	v_cvt_f64_f32_e32 v[13:14], v14
	s_waitcnt vmcnt(0)
	v_fma_f64 v[45:46], v[53:54], v[9:10], v[45:46]
	v_fma_f64 v[57:58], v[13:14], v[9:10], v[57:58]
	v_fma_f64 v[61:62], -v[13:14], v[11:12], v[45:46]
	v_cvt_f64_f32_e32 v[13:14], v17
	v_cvt_f64_f32_e32 v[17:18], v18
	v_fma_f64 v[53:54], v[53:54], v[11:12], v[57:58]
	v_fma_f64 v[36:37], v[13:14], v[9:10], v[36:37]
	;; [unrolled: 1-line block ×3, first 2 shown]
	v_fma_f64 v[57:58], -v[17:18], v[11:12], v[36:37]
	v_fma_f64 v[63:64], v[13:14], v[11:12], v[38:39]
	global_load_dwordx4 v[36:39], v[32:33], off offset:80
	s_waitcnt vmcnt(0)
	v_cvt_f64_f32_e32 v[13:14], v36
	v_cvt_f64_f32_e32 v[36:37], v37
	;; [unrolled: 1-line block ×4, first 2 shown]
	v_fma_f64 v[17:18], v[13:14], v[9:10], v[49:50]
	v_fma_f64 v[45:46], v[36:37], v[9:10], v[47:48]
	v_fma_f64 v[36:37], -v[36:37], v[11:12], v[17:18]
	v_fma_f64 v[49:50], v[13:14], v[11:12], v[45:46]
	global_load_dwordx4 v[45:48], v[32:33], off offset:112
	v_add_co_u32_e32 v32, vcc, s17, v32
	v_addc_co_u32_e32 v33, vcc, 0, v33, vcc
	s_waitcnt vmcnt(0)
	v_cvt_f64_f32_e32 v[13:14], v45
	v_cvt_f64_f32_e32 v[45:46], v46
	;; [unrolled: 1-line block ×4, first 2 shown]
	v_fma_f64 v[17:18], v[13:14], v[9:10], v[51:52]
	v_fma_f64 v[9:10], v[45:46], v[9:10], v[55:56]
	v_cvt_f64_f32_e32 v[51:52], v19
	v_cvt_f64_f32_e32 v[55:56], v20
	v_fma_f64 v[45:46], -v[45:46], v[11:12], v[17:18]
	v_fma_f64 v[9:10], v[13:14], v[11:12], v[9:10]
	v_cvt_f64_f32_e32 v[11:12], v15
	v_cvt_f64_f32_e32 v[17:18], v16
	global_load_dwordx4 v[13:16], v[59:60], off offset:48
	s_waitcnt vmcnt(0)
	v_fma_f64 v[19:20], v[11:12], v[13:14], v[61:62]
	v_fma_f64 v[38:39], v[17:18], v[13:14], v[53:54]
	;; [unrolled: 1-line block ×8, first 2 shown]
	v_fma_f64 v[17:18], -v[17:18], v[15:16], v[19:20]
	v_fma_f64 v[19:20], v[11:12], v[15:16], v[38:39]
	v_fma_f64 v[38:39], -v[55:56], v[15:16], v[53:54]
	v_fma_f64 v[36:37], v[51:52], v[15:16], v[57:58]
	;; [unrolled: 2-line block ×4, first 2 shown]
	s_andn2_b64 exec, exec, s[14:15]
	s_cbranch_execnz .LBB170_15
; %bb.16:
	s_or_b64 exec, exec, s[14:15]
.LBB170_17:
	s_or_b64 exec, exec, s[10:11]
	v_cmp_lt_u64_e32 vcc, 11, v[34:35]
	s_and_saveexec_b64 s[2:3], vcc
	s_cbranch_execz .LBB170_21
; %bb.18:
	v_lshlrev_b64 v[34:35], 2, v[30:31]
	v_mov_b32_e32 v40, s13
	v_add_co_u32_e32 v34, vcc, s12, v34
	v_addc_co_u32_e32 v35, vcc, v40, v35, vcc
	v_add_co_u32_e32 v34, vcc, 32, v34
	v_addc_co_u32_e32 v35, vcc, 0, v35, vcc
	s_mov_b64 s[10:11], 0
	v_mov_b32_e32 v54, s7
	s_movk_i32 s14, 0x800
.LBB170_19:                             ; =>This Inner Loop Header: Depth=1
	global_load_dword v40, v[34:35], off offset:-32
	s_waitcnt vmcnt(0)
	v_subrev_u32_e32 v40, s16, v40
	v_lshlrev_b32_e32 v52, 2, v40
	v_ashrrev_i32_e32 v53, 31, v52
	global_load_dwordx4 v[40:43], v[32:33], off offset:48
	global_load_dwordx4 v[44:47], v[32:33], off offset:32
	;; [unrolled: 1-line block ×3, first 2 shown]
	global_load_dwordx4 v[55:58], v[32:33], off
	v_lshlrev_b64 v[52:53], 4, v[52:53]
	v_add_co_u32_e32 v52, vcc, s6, v52
	v_addc_co_u32_e32 v53, vcc, v54, v53, vcc
	global_load_dwordx4 v[59:62], v[52:53], off offset:48
	global_load_dwordx4 v[63:66], v[52:53], off offset:32
	;; [unrolled: 1-line block ×3, first 2 shown]
	global_load_dwordx4 v[71:74], v[52:53], off
	s_waitcnt vmcnt(4)
	v_cvt_f64_f32_e32 v[75:76], v55
	v_cvt_f64_f32_e32 v[55:56], v56
	;; [unrolled: 1-line block ×3, first 2 shown]
	s_waitcnt vmcnt(0)
	v_fma_f64 v[17:18], v[75:76], v[71:72], v[17:18]
	v_fma_f64 v[19:20], v[55:56], v[71:72], v[19:20]
	v_fma_f64 v[17:18], -v[55:56], v[73:74], v[17:18]
	v_fma_f64 v[19:20], v[75:76], v[73:74], v[19:20]
	v_cvt_f64_f32_e32 v[55:56], v58
	v_fma_f64 v[17:18], v[52:53], v[67:68], v[17:18]
	v_fma_f64 v[19:20], v[55:56], v[67:68], v[19:20]
	v_fma_f64 v[17:18], -v[55:56], v[69:70], v[17:18]
	v_fma_f64 v[19:20], v[52:53], v[69:70], v[19:20]
	v_cvt_f64_f32_e32 v[52:53], v48
	v_cvt_f64_f32_e32 v[48:49], v49
	v_fma_f64 v[17:18], v[52:53], v[63:64], v[17:18]
	v_fma_f64 v[19:20], v[48:49], v[63:64], v[19:20]
	v_fma_f64 v[17:18], -v[48:49], v[65:66], v[17:18]
	v_cvt_f64_f32_e32 v[48:49], v50
	v_fma_f64 v[19:20], v[52:53], v[65:66], v[19:20]
	v_cvt_f64_f32_e32 v[50:51], v51
	v_fma_f64 v[17:18], v[48:49], v[59:60], v[17:18]
	v_fma_f64 v[52:53], -v[50:51], v[61:62], v[17:18]
	v_fma_f64 v[17:18], v[50:51], v[59:60], v[19:20]
	v_cvt_f64_f32_e32 v[19:20], v45
	v_fma_f64 v[75:76], v[48:49], v[61:62], v[17:18]
	v_cvt_f64_f32_e32 v[17:18], v44
	v_fma_f64 v[38:39], v[17:18], v[71:72], v[38:39]
	v_fma_f64 v[38:39], -v[19:20], v[73:74], v[38:39]
	v_fma_f64 v[19:20], v[19:20], v[71:72], v[36:37]
	v_cvt_f64_f32_e32 v[36:37], v47
	v_fma_f64 v[17:18], v[17:18], v[73:74], v[19:20]
	v_cvt_f64_f32_e32 v[19:20], v46
	v_fma_f64 v[38:39], v[19:20], v[67:68], v[38:39]
	v_fma_f64 v[17:18], v[36:37], v[67:68], v[17:18]
	v_fma_f64 v[38:39], -v[36:37], v[69:70], v[38:39]
	v_cvt_f64_f32_e32 v[36:37], v41
	v_fma_f64 v[17:18], v[19:20], v[69:70], v[17:18]
	v_cvt_f64_f32_e32 v[19:20], v40
	v_fma_f64 v[38:39], v[19:20], v[63:64], v[38:39]
	v_fma_f64 v[17:18], v[36:37], v[63:64], v[17:18]
	v_fma_f64 v[38:39], -v[36:37], v[65:66], v[38:39]
	;; [unrolled: 6-line block ×3, first 2 shown]
	v_fma_f64 v[79:80], v[19:20], v[61:62], v[17:18]
	global_load_dwordx4 v[17:20], v[32:33], off offset:112
	global_load_dwordx4 v[36:39], v[32:33], off offset:96
	;; [unrolled: 1-line block ×4, first 2 shown]
	s_waitcnt vmcnt(0)
	v_cvt_f64_f32_e32 v[48:49], v44
	v_cvt_f64_f32_e32 v[44:45], v45
	v_fma_f64 v[11:12], v[48:49], v[71:72], v[11:12]
	v_fma_f64 v[9:10], v[44:45], v[71:72], v[9:10]
	v_fma_f64 v[11:12], -v[44:45], v[73:74], v[11:12]
	v_fma_f64 v[9:10], v[48:49], v[73:74], v[9:10]
	v_cvt_f64_f32_e32 v[44:45], v46
	v_cvt_f64_f32_e32 v[46:47], v47
	v_fma_f64 v[11:12], v[44:45], v[67:68], v[11:12]
	v_fma_f64 v[9:10], v[46:47], v[67:68], v[9:10]
	v_fma_f64 v[11:12], -v[46:47], v[69:70], v[11:12]
	v_fma_f64 v[9:10], v[44:45], v[69:70], v[9:10]
	;; [unrolled: 6-line block ×4, first 2 shown]
	v_cvt_f64_f32_e32 v[9:10], v36
	v_cvt_f64_f32_e32 v[11:12], v37
	v_fma_f64 v[13:14], v[9:10], v[71:72], v[13:14]
	v_fma_f64 v[13:14], -v[11:12], v[73:74], v[13:14]
	v_fma_f64 v[11:12], v[11:12], v[71:72], v[15:16]
	v_cvt_f64_f32_e32 v[15:16], v39
	v_fma_f64 v[9:10], v[9:10], v[73:74], v[11:12]
	v_cvt_f64_f32_e32 v[11:12], v38
	v_fma_f64 v[13:14], v[11:12], v[67:68], v[13:14]
	v_fma_f64 v[9:10], v[15:16], v[67:68], v[9:10]
	v_fma_f64 v[13:14], -v[15:16], v[69:70], v[13:14]
	v_cvt_f64_f32_e32 v[15:16], v18
	v_fma_f64 v[9:10], v[11:12], v[69:70], v[9:10]
	v_cvt_f64_f32_e32 v[11:12], v17
	v_fma_f64 v[13:14], v[11:12], v[63:64], v[13:14]
	v_fma_f64 v[9:10], v[15:16], v[63:64], v[9:10]
	v_fma_f64 v[13:14], -v[15:16], v[65:66], v[13:14]
	v_cvt_f64_f32_e32 v[15:16], v20
	v_fma_f64 v[9:10], v[11:12], v[65:66], v[9:10]
	v_cvt_f64_f32_e32 v[11:12], v19
	v_fma_f64 v[13:14], v[11:12], v[59:60], v[13:14]
	v_fma_f64 v[9:10], v[15:16], v[59:60], v[9:10]
	v_fma_f64 v[63:64], -v[15:16], v[61:62], v[13:14]
	v_fma_f64 v[59:60], v[11:12], v[61:62], v[9:10]
	global_load_dword v9, v[34:35], off offset:-16
	s_waitcnt vmcnt(0)
	v_subrev_u32_e32 v9, s16, v9
	v_lshlrev_b32_e32 v40, 2, v9
	v_ashrrev_i32_e32 v41, 31, v40
	global_load_dwordx4 v[9:12], v[32:33], off offset:560
	global_load_dwordx4 v[13:16], v[32:33], off offset:544
	;; [unrolled: 1-line block ×4, first 2 shown]
	v_lshlrev_b64 v[40:41], 4, v[40:41]
	v_add_co_u32_e32 v65, vcc, s6, v40
	v_addc_co_u32_e32 v66, vcc, v54, v41, vcc
	global_load_dwordx4 v[40:43], v[65:66], off offset:48
	global_load_dwordx4 v[44:47], v[65:66], off offset:32
	;; [unrolled: 1-line block ×3, first 2 shown]
	global_load_dwordx4 v[55:58], v[65:66], off
	s_waitcnt vmcnt(4)
	v_cvt_f64_f32_e32 v[61:62], v36
	v_cvt_f64_f32_e32 v[36:37], v37
	s_waitcnt vmcnt(0)
	v_fma_f64 v[52:53], v[61:62], v[55:56], v[52:53]
	v_fma_f64 v[52:53], -v[36:37], v[57:58], v[52:53]
	v_fma_f64 v[36:37], v[36:37], v[55:56], v[75:76]
	v_fma_f64 v[36:37], v[61:62], v[57:58], v[36:37]
	v_cvt_f64_f32_e32 v[61:62], v38
	v_cvt_f64_f32_e32 v[38:39], v39
	v_fma_f64 v[52:53], v[61:62], v[48:49], v[52:53]
	v_fma_f64 v[36:37], v[38:39], v[48:49], v[36:37]
	v_fma_f64 v[52:53], -v[38:39], v[50:51], v[52:53]
	v_cvt_f64_f32_e32 v[38:39], v17
	v_cvt_f64_f32_e32 v[17:18], v18
	v_fma_f64 v[36:37], v[61:62], v[50:51], v[36:37]
	v_fma_f64 v[52:53], v[38:39], v[44:45], v[52:53]
	v_fma_f64 v[52:53], -v[17:18], v[46:47], v[52:53]
	v_fma_f64 v[17:18], v[17:18], v[44:45], v[36:37]
	v_cvt_f64_f32_e32 v[36:37], v19
	v_cvt_f64_f32_e32 v[19:20], v20
	v_fma_f64 v[17:18], v[38:39], v[46:47], v[17:18]
	v_fma_f64 v[38:39], v[36:37], v[40:41], v[52:53]
	;; [unrolled: 1-line block ×3, first 2 shown]
	v_fma_f64 v[52:53], -v[19:20], v[42:43], v[38:39]
	v_fma_f64 v[67:68], v[36:37], v[42:43], v[17:18]
	v_cvt_f64_f32_e32 v[17:18], v13
	v_cvt_f64_f32_e32 v[13:14], v14
	v_fma_f64 v[19:20], v[17:18], v[55:56], v[77:78]
	v_fma_f64 v[19:20], -v[13:14], v[57:58], v[19:20]
	v_fma_f64 v[13:14], v[13:14], v[55:56], v[79:80]
	v_fma_f64 v[13:14], v[17:18], v[57:58], v[13:14]
	v_cvt_f64_f32_e32 v[17:18], v15
	v_cvt_f64_f32_e32 v[15:16], v16
	v_fma_f64 v[19:20], v[17:18], v[48:49], v[19:20]
	v_fma_f64 v[13:14], v[15:16], v[48:49], v[13:14]
	v_fma_f64 v[19:20], -v[15:16], v[50:51], v[19:20]
	v_cvt_f64_f32_e32 v[15:16], v9
	v_cvt_f64_f32_e32 v[9:10], v10
	v_fma_f64 v[13:14], v[17:18], v[50:51], v[13:14]
	v_fma_f64 v[17:18], v[15:16], v[44:45], v[19:20]
	v_fma_f64 v[17:18], -v[9:10], v[46:47], v[17:18]
	v_fma_f64 v[9:10], v[9:10], v[44:45], v[13:14]
	v_cvt_f64_f32_e32 v[13:14], v11
	v_cvt_f64_f32_e32 v[11:12], v12
	v_fma_f64 v[9:10], v[15:16], v[46:47], v[9:10]
	v_fma_f64 v[15:16], v[13:14], v[40:41], v[17:18]
	;; [unrolled: 1-line block ×3, first 2 shown]
	v_fma_f64 v[69:70], -v[11:12], v[42:43], v[15:16]
	v_fma_f64 v[71:72], v[13:14], v[42:43], v[9:10]
	global_load_dwordx4 v[9:12], v[32:33], off offset:624
	global_load_dwordx4 v[13:16], v[32:33], off offset:608
	;; [unrolled: 1-line block ×4, first 2 shown]
	s_waitcnt vmcnt(0)
	v_cvt_f64_f32_e32 v[61:62], v36
	v_cvt_f64_f32_e32 v[36:37], v37
	v_fma_f64 v[65:66], v[61:62], v[55:56], v[81:82]
	v_fma_f64 v[65:66], -v[36:37], v[57:58], v[65:66]
	v_fma_f64 v[36:37], v[36:37], v[55:56], v[83:84]
	v_fma_f64 v[36:37], v[61:62], v[57:58], v[36:37]
	v_cvt_f64_f32_e32 v[61:62], v38
	v_cvt_f64_f32_e32 v[38:39], v39
	v_fma_f64 v[65:66], v[61:62], v[48:49], v[65:66]
	v_fma_f64 v[36:37], v[38:39], v[48:49], v[36:37]
	v_fma_f64 v[65:66], -v[38:39], v[50:51], v[65:66]
	v_cvt_f64_f32_e32 v[38:39], v17
	v_cvt_f64_f32_e32 v[17:18], v18
	v_fma_f64 v[36:37], v[61:62], v[50:51], v[36:37]
	v_fma_f64 v[61:62], v[38:39], v[44:45], v[65:66]
	v_fma_f64 v[61:62], -v[17:18], v[46:47], v[61:62]
	v_fma_f64 v[17:18], v[17:18], v[44:45], v[36:37]
	v_cvt_f64_f32_e32 v[36:37], v19
	v_cvt_f64_f32_e32 v[19:20], v20
	v_fma_f64 v[17:18], v[38:39], v[46:47], v[17:18]
	v_fma_f64 v[38:39], v[36:37], v[40:41], v[61:62]
	;; [unrolled: 1-line block ×3, first 2 shown]
	v_fma_f64 v[73:74], -v[19:20], v[42:43], v[38:39]
	v_fma_f64 v[75:76], v[36:37], v[42:43], v[17:18]
	v_cvt_f64_f32_e32 v[17:18], v13
	v_cvt_f64_f32_e32 v[13:14], v14
	v_fma_f64 v[19:20], v[17:18], v[55:56], v[63:64]
	v_fma_f64 v[19:20], -v[13:14], v[57:58], v[19:20]
	v_fma_f64 v[13:14], v[13:14], v[55:56], v[59:60]
	v_fma_f64 v[13:14], v[17:18], v[57:58], v[13:14]
	v_cvt_f64_f32_e32 v[17:18], v15
	v_cvt_f64_f32_e32 v[15:16], v16
	v_fma_f64 v[19:20], v[17:18], v[48:49], v[19:20]
	v_fma_f64 v[13:14], v[15:16], v[48:49], v[13:14]
	v_fma_f64 v[19:20], -v[15:16], v[50:51], v[19:20]
	v_cvt_f64_f32_e32 v[15:16], v9
	v_cvt_f64_f32_e32 v[9:10], v10
	v_fma_f64 v[13:14], v[17:18], v[50:51], v[13:14]
	v_fma_f64 v[17:18], v[15:16], v[44:45], v[19:20]
	v_fma_f64 v[17:18], -v[9:10], v[46:47], v[17:18]
	v_fma_f64 v[9:10], v[9:10], v[44:45], v[13:14]
	v_cvt_f64_f32_e32 v[13:14], v11
	v_cvt_f64_f32_e32 v[11:12], v12
	v_fma_f64 v[9:10], v[15:16], v[46:47], v[9:10]
	v_fma_f64 v[15:16], v[13:14], v[40:41], v[17:18]
	;; [unrolled: 1-line block ×3, first 2 shown]
	v_fma_f64 v[77:78], -v[11:12], v[42:43], v[15:16]
	v_fma_f64 v[79:80], v[13:14], v[42:43], v[9:10]
	global_load_dword v9, v[34:35], off
	s_waitcnt vmcnt(0)
	v_subrev_u32_e32 v9, s16, v9
	v_lshlrev_b32_e32 v40, 2, v9
	v_ashrrev_i32_e32 v41, 31, v40
	global_load_dwordx4 v[9:12], v[32:33], off offset:1072
	global_load_dwordx4 v[13:16], v[32:33], off offset:1056
	;; [unrolled: 1-line block ×4, first 2 shown]
	v_lshlrev_b64 v[40:41], 4, v[40:41]
	v_add_co_u32_e32 v46, vcc, s6, v40
	v_addc_co_u32_e32 v47, vcc, v54, v41, vcc
	global_load_dwordx4 v[55:58], v[46:47], off offset:48
	global_load_dwordx4 v[40:43], v[46:47], off offset:32
	;; [unrolled: 1-line block ×3, first 2 shown]
	global_load_dwordx4 v[63:66], v[46:47], off
	s_waitcnt vmcnt(4)
	v_cvt_f64_f32_e32 v[44:45], v36
	v_cvt_f64_f32_e32 v[36:37], v37
	s_waitcnt vmcnt(0)
	v_fma_f64 v[46:47], v[44:45], v[63:64], v[52:53]
	v_fma_f64 v[46:47], -v[36:37], v[65:66], v[46:47]
	v_fma_f64 v[36:37], v[36:37], v[63:64], v[67:68]
	v_fma_f64 v[36:37], v[44:45], v[65:66], v[36:37]
	v_cvt_f64_f32_e32 v[44:45], v38
	v_cvt_f64_f32_e32 v[38:39], v39
	v_fma_f64 v[46:47], v[44:45], v[59:60], v[46:47]
	v_fma_f64 v[36:37], v[38:39], v[59:60], v[36:37]
	v_fma_f64 v[46:47], -v[38:39], v[61:62], v[46:47]
	v_cvt_f64_f32_e32 v[38:39], v17
	v_cvt_f64_f32_e32 v[17:18], v18
	v_fma_f64 v[36:37], v[44:45], v[61:62], v[36:37]
	v_fma_f64 v[44:45], v[38:39], v[40:41], v[46:47]
	v_fma_f64 v[44:45], -v[17:18], v[42:43], v[44:45]
	v_fma_f64 v[17:18], v[17:18], v[40:41], v[36:37]
	v_cvt_f64_f32_e32 v[36:37], v19
	v_cvt_f64_f32_e32 v[19:20], v20
	v_fma_f64 v[17:18], v[38:39], v[42:43], v[17:18]
	v_fma_f64 v[38:39], v[36:37], v[55:56], v[44:45]
	;; [unrolled: 1-line block ×3, first 2 shown]
	v_fma_f64 v[48:49], -v[19:20], v[57:58], v[38:39]
	v_fma_f64 v[50:51], v[36:37], v[57:58], v[17:18]
	v_cvt_f64_f32_e32 v[17:18], v13
	v_cvt_f64_f32_e32 v[13:14], v14
	v_fma_f64 v[19:20], v[17:18], v[63:64], v[69:70]
	v_fma_f64 v[19:20], -v[13:14], v[65:66], v[19:20]
	v_fma_f64 v[13:14], v[13:14], v[63:64], v[71:72]
	v_fma_f64 v[13:14], v[17:18], v[65:66], v[13:14]
	v_cvt_f64_f32_e32 v[17:18], v15
	v_cvt_f64_f32_e32 v[15:16], v16
	v_fma_f64 v[19:20], v[17:18], v[59:60], v[19:20]
	v_fma_f64 v[13:14], v[15:16], v[59:60], v[13:14]
	v_fma_f64 v[19:20], -v[15:16], v[61:62], v[19:20]
	v_cvt_f64_f32_e32 v[15:16], v9
	v_cvt_f64_f32_e32 v[9:10], v10
	v_fma_f64 v[13:14], v[17:18], v[61:62], v[13:14]
	v_fma_f64 v[17:18], v[15:16], v[40:41], v[19:20]
	v_fma_f64 v[17:18], -v[9:10], v[42:43], v[17:18]
	v_fma_f64 v[9:10], v[9:10], v[40:41], v[13:14]
	v_cvt_f64_f32_e32 v[13:14], v11
	v_cvt_f64_f32_e32 v[11:12], v12
	v_fma_f64 v[9:10], v[15:16], v[42:43], v[9:10]
	v_fma_f64 v[15:16], v[13:14], v[55:56], v[17:18]
	;; [unrolled: 1-line block ×3, first 2 shown]
	v_fma_f64 v[36:37], -v[11:12], v[57:58], v[15:16]
	v_fma_f64 v[38:39], v[13:14], v[57:58], v[9:10]
	global_load_dwordx4 v[9:12], v[32:33], off offset:1136
	global_load_dwordx4 v[13:16], v[32:33], off offset:1120
	;; [unrolled: 1-line block ×4, first 2 shown]
	s_waitcnt vmcnt(0)
	v_cvt_f64_f32_e32 v[52:53], v44
	v_cvt_f64_f32_e32 v[44:45], v45
	v_fma_f64 v[67:68], v[52:53], v[63:64], v[73:74]
	v_fma_f64 v[67:68], -v[44:45], v[65:66], v[67:68]
	v_fma_f64 v[44:45], v[44:45], v[63:64], v[75:76]
	v_fma_f64 v[44:45], v[52:53], v[65:66], v[44:45]
	v_cvt_f64_f32_e32 v[52:53], v46
	v_cvt_f64_f32_e32 v[46:47], v47
	v_fma_f64 v[67:68], v[52:53], v[59:60], v[67:68]
	v_fma_f64 v[44:45], v[46:47], v[59:60], v[44:45]
	v_fma_f64 v[67:68], -v[46:47], v[61:62], v[67:68]
	v_cvt_f64_f32_e32 v[46:47], v17
	v_cvt_f64_f32_e32 v[17:18], v18
	v_fma_f64 v[44:45], v[52:53], v[61:62], v[44:45]
	v_fma_f64 v[52:53], v[46:47], v[40:41], v[67:68]
	v_fma_f64 v[52:53], -v[17:18], v[42:43], v[52:53]
	v_fma_f64 v[17:18], v[17:18], v[40:41], v[44:45]
	v_fma_f64 v[17:18], v[46:47], v[42:43], v[17:18]
	v_cvt_f64_f32_e32 v[46:47], v19
	v_cvt_f64_f32_e32 v[19:20], v20
	v_fma_f64 v[44:45], v[46:47], v[55:56], v[52:53]
	v_fma_f64 v[17:18], v[19:20], v[55:56], v[17:18]
	v_fma_f64 v[44:45], -v[19:20], v[57:58], v[44:45]
	v_fma_f64 v[46:47], v[46:47], v[57:58], v[17:18]
	v_cvt_f64_f32_e32 v[17:18], v13
	v_cvt_f64_f32_e32 v[13:14], v14
	v_fma_f64 v[19:20], v[17:18], v[63:64], v[77:78]
	v_fma_f64 v[19:20], -v[13:14], v[65:66], v[19:20]
	v_fma_f64 v[13:14], v[13:14], v[63:64], v[79:80]
	v_fma_f64 v[13:14], v[17:18], v[65:66], v[13:14]
	v_cvt_f64_f32_e32 v[17:18], v15
	v_cvt_f64_f32_e32 v[15:16], v16
	v_fma_f64 v[19:20], v[17:18], v[59:60], v[19:20]
	v_fma_f64 v[13:14], v[15:16], v[59:60], v[13:14]
	v_fma_f64 v[19:20], -v[15:16], v[61:62], v[19:20]
	v_cvt_f64_f32_e32 v[15:16], v9
	v_cvt_f64_f32_e32 v[9:10], v10
	v_fma_f64 v[13:14], v[17:18], v[61:62], v[13:14]
	v_fma_f64 v[17:18], v[15:16], v[40:41], v[19:20]
	v_fma_f64 v[17:18], -v[9:10], v[42:43], v[17:18]
	v_fma_f64 v[9:10], v[9:10], v[40:41], v[13:14]
	v_cvt_f64_f32_e32 v[13:14], v11
	v_cvt_f64_f32_e32 v[11:12], v12
	v_fma_f64 v[9:10], v[15:16], v[42:43], v[9:10]
	v_fma_f64 v[15:16], v[13:14], v[55:56], v[17:18]
	;; [unrolled: 1-line block ×3, first 2 shown]
	v_fma_f64 v[40:41], -v[11:12], v[57:58], v[15:16]
	v_fma_f64 v[42:43], v[13:14], v[57:58], v[9:10]
	global_load_dword v9, v[34:35], off offset:16
	s_waitcnt vmcnt(0)
	v_subrev_u32_e32 v9, s16, v9
	v_lshlrev_b32_e32 v52, 2, v9
	v_ashrrev_i32_e32 v53, 31, v52
	global_load_dwordx4 v[9:12], v[32:33], off offset:1584
	global_load_dwordx4 v[13:16], v[32:33], off offset:1568
	;; [unrolled: 1-line block ×4, first 2 shown]
	v_lshlrev_b64 v[52:53], 4, v[52:53]
	v_add_co_u32_e32 v52, vcc, s6, v52
	v_addc_co_u32_e32 v53, vcc, v54, v53, vcc
	global_load_dwordx4 v[59:62], v[52:53], off offset:48
	global_load_dwordx4 v[63:66], v[52:53], off offset:32
	;; [unrolled: 1-line block ×3, first 2 shown]
	global_load_dwordx4 v[71:74], v[52:53], off
	s_waitcnt vmcnt(4)
	v_cvt_f64_f32_e32 v[75:76], v55
	v_cvt_f64_f32_e32 v[55:56], v56
	;; [unrolled: 1-line block ×3, first 2 shown]
	s_waitcnt vmcnt(0)
	v_fma_f64 v[48:49], v[75:76], v[71:72], v[48:49]
	v_fma_f64 v[50:51], v[55:56], v[71:72], v[50:51]
	v_fma_f64 v[48:49], -v[55:56], v[73:74], v[48:49]
	v_fma_f64 v[50:51], v[75:76], v[73:74], v[50:51]
	v_cvt_f64_f32_e32 v[55:56], v58
	v_fma_f64 v[48:49], v[52:53], v[67:68], v[48:49]
	v_fma_f64 v[50:51], v[55:56], v[67:68], v[50:51]
	v_fma_f64 v[48:49], -v[55:56], v[69:70], v[48:49]
	v_fma_f64 v[50:51], v[52:53], v[69:70], v[50:51]
	v_cvt_f64_f32_e32 v[52:53], v17
	v_cvt_f64_f32_e32 v[17:18], v18
	v_fma_f64 v[48:49], v[52:53], v[63:64], v[48:49]
	v_fma_f64 v[48:49], -v[17:18], v[65:66], v[48:49]
	v_fma_f64 v[17:18], v[17:18], v[63:64], v[50:51]
	v_fma_f64 v[50:51], v[52:53], v[65:66], v[17:18]
	v_cvt_f64_f32_e32 v[52:53], v19
	v_cvt_f64_f32_e32 v[19:20], v20
	v_fma_f64 v[17:18], v[52:53], v[59:60], v[48:49]
	v_cvt_f64_f32_e32 v[48:49], v13
	v_cvt_f64_f32_e32 v[13:14], v14
	v_fma_f64 v[36:37], v[48:49], v[71:72], v[36:37]
	v_fma_f64 v[17:18], -v[19:20], v[61:62], v[17:18]
	v_fma_f64 v[19:20], v[19:20], v[59:60], v[50:51]
	v_fma_f64 v[36:37], -v[13:14], v[73:74], v[36:37]
	v_fma_f64 v[13:14], v[13:14], v[71:72], v[38:39]
	v_cvt_f64_f32_e32 v[38:39], v15
	v_cvt_f64_f32_e32 v[15:16], v16
	v_fma_f64 v[19:20], v[52:53], v[61:62], v[19:20]
	v_fma_f64 v[36:37], v[38:39], v[67:68], v[36:37]
	;; [unrolled: 1-line block ×3, first 2 shown]
	v_fma_f64 v[36:37], -v[15:16], v[69:70], v[36:37]
	v_fma_f64 v[13:14], v[15:16], v[67:68], v[13:14]
	v_cvt_f64_f32_e32 v[15:16], v9
	v_cvt_f64_f32_e32 v[9:10], v10
	v_fma_f64 v[36:37], v[15:16], v[63:64], v[36:37]
	v_fma_f64 v[13:14], v[38:39], v[69:70], v[13:14]
	v_fma_f64 v[36:37], -v[9:10], v[65:66], v[36:37]
	v_fma_f64 v[9:10], v[9:10], v[63:64], v[13:14]
	v_cvt_f64_f32_e32 v[13:14], v11
	v_cvt_f64_f32_e32 v[11:12], v12
	v_fma_f64 v[9:10], v[15:16], v[65:66], v[9:10]
	v_fma_f64 v[15:16], v[13:14], v[59:60], v[36:37]
	;; [unrolled: 1-line block ×3, first 2 shown]
	v_fma_f64 v[38:39], -v[11:12], v[61:62], v[15:16]
	v_fma_f64 v[36:37], v[13:14], v[61:62], v[9:10]
	global_load_dwordx4 v[13:16], v[32:33], off offset:1648
	global_load_dwordx4 v[48:51], v[32:33], off offset:1632
	;; [unrolled: 1-line block ×4, first 2 shown]
	v_add_co_u32_e32 v32, vcc, s14, v32
	v_addc_co_u32_e32 v33, vcc, 0, v33, vcc
	v_add_co_u32_e32 v30, vcc, 16, v30
	v_addc_co_u32_e32 v31, vcc, 0, v31, vcc
	;; [unrolled: 2-line block ×3, first 2 shown]
	v_cmp_ge_i64_e32 vcc, v[30:31], v[24:25]
	s_or_b64 s[10:11], vcc, s[10:11]
	s_waitcnt vmcnt(0)
	v_cvt_f64_f32_e32 v[52:53], v55
	v_cvt_f64_f32_e32 v[55:56], v56
	v_fma_f64 v[44:45], v[52:53], v[71:72], v[44:45]
	v_fma_f64 v[46:47], v[55:56], v[71:72], v[46:47]
	v_fma_f64 v[44:45], -v[55:56], v[73:74], v[44:45]
	v_fma_f64 v[46:47], v[52:53], v[73:74], v[46:47]
	v_cvt_f64_f32_e32 v[52:53], v57
	v_cvt_f64_f32_e32 v[55:56], v58
	v_fma_f64 v[44:45], v[52:53], v[67:68], v[44:45]
	v_fma_f64 v[46:47], v[55:56], v[67:68], v[46:47]
	v_fma_f64 v[44:45], -v[55:56], v[69:70], v[44:45]
	v_fma_f64 v[46:47], v[52:53], v[69:70], v[46:47]
	v_cvt_f64_f32_e32 v[52:53], v9
	v_cvt_f64_f32_e32 v[9:10], v10
	v_fma_f64 v[44:45], v[52:53], v[63:64], v[44:45]
	v_fma_f64 v[44:45], -v[9:10], v[65:66], v[44:45]
	v_fma_f64 v[9:10], v[9:10], v[63:64], v[46:47]
	v_cvt_f64_f32_e32 v[46:47], v11
	v_fma_f64 v[9:10], v[52:53], v[65:66], v[9:10]
	v_cvt_f64_f32_e32 v[52:53], v12
	v_fma_f64 v[11:12], v[46:47], v[59:60], v[44:45]
	v_cvt_f64_f32_e32 v[44:45], v48
	v_fma_f64 v[40:41], v[44:45], v[71:72], v[40:41]
	v_fma_f64 v[9:10], v[52:53], v[59:60], v[9:10]
	v_fma_f64 v[11:12], -v[52:53], v[61:62], v[11:12]
	v_fma_f64 v[9:10], v[46:47], v[61:62], v[9:10]
	v_cvt_f64_f32_e32 v[46:47], v49
	v_fma_f64 v[42:43], v[46:47], v[71:72], v[42:43]
	v_fma_f64 v[40:41], -v[46:47], v[73:74], v[40:41]
	v_cvt_f64_f32_e32 v[46:47], v51
	v_fma_f64 v[42:43], v[44:45], v[73:74], v[42:43]
	v_cvt_f64_f32_e32 v[44:45], v50
	v_fma_f64 v[40:41], v[44:45], v[67:68], v[40:41]
	v_fma_f64 v[42:43], v[46:47], v[67:68], v[42:43]
	v_fma_f64 v[40:41], -v[46:47], v[69:70], v[40:41]
	v_fma_f64 v[42:43], v[44:45], v[69:70], v[42:43]
	v_cvt_f64_f32_e32 v[44:45], v13
	v_cvt_f64_f32_e32 v[13:14], v14
	v_fma_f64 v[40:41], v[44:45], v[63:64], v[40:41]
	v_fma_f64 v[40:41], -v[13:14], v[65:66], v[40:41]
	v_fma_f64 v[13:14], v[13:14], v[63:64], v[42:43]
	v_fma_f64 v[42:43], v[44:45], v[65:66], v[13:14]
	v_cvt_f64_f32_e32 v[44:45], v15
	v_cvt_f64_f32_e32 v[15:16], v16
	v_fma_f64 v[13:14], v[44:45], v[59:60], v[40:41]
	v_fma_f64 v[13:14], -v[15:16], v[61:62], v[13:14]
	v_fma_f64 v[15:16], v[15:16], v[59:60], v[42:43]
	v_fma_f64 v[15:16], v[44:45], v[61:62], v[15:16]
	s_andn2_b64 exec, exec, s[10:11]
	s_cbranch_execnz .LBB170_19
; %bb.20:
	s_or_b64 exec, exec, s[10:11]
.LBB170_21:
	s_or_b64 exec, exec, s[2:3]
.LBB170_22:
	s_or_b64 exec, exec, s[8:9]
	s_cbranch_execz .LBB170_24
	s_branch .LBB170_35
.LBB170_23:
                                        ; implicit-def: $vgpr19_vgpr20
                                        ; implicit-def: $vgpr17_vgpr18
                                        ; implicit-def: $vgpr36_vgpr37
                                        ; implicit-def: $vgpr38_vgpr39
                                        ; implicit-def: $vgpr9_vgpr10
                                        ; implicit-def: $vgpr11_vgpr12
                                        ; implicit-def: $vgpr15_vgpr16
                                        ; implicit-def: $vgpr13_vgpr14
.LBB170_24:
	v_mov_b32_e32 v19, 0
	v_mov_b32_e32 v17, 0
	;; [unrolled: 1-line block ×16, first 2 shown]
	s_and_saveexec_b64 s[2:3], s[0:1]
	s_cbranch_execz .LBB170_34
; %bb.25:
	v_or_b32_e32 v9, 4, v0
	v_subrev_co_u32_e32 v9, vcc, s16, v9
	v_subb_co_u32_e64 v10, s[0:1], 0, 0, vcc
	v_add_co_u32_e32 v9, vcc, v9, v28
	v_addc_co_u32_e32 v10, vcc, v10, v29, vcc
	v_cmp_gt_i64_e32 vcc, v[9:10], v[24:25]
	v_not_b32_e32 v12, v28
	v_cndmask_b32_e32 v10, v25, v10, vcc
	v_cndmask_b32_e32 v9, v24, v9, vcc
	v_sub_co_u32_e32 v13, vcc, s16, v0
	v_not_b32_e32 v11, v29
	v_subb_co_u32_e64 v14, s[0:1], 0, 0, vcc
	v_add_co_u32_e32 v12, vcc, v13, v12
	v_addc_co_u32_e32 v11, vcc, v14, v11, vcc
	v_add_co_u32_e32 v28, vcc, v12, v9
	v_addc_co_u32_e32 v29, vcc, v11, v10, vcc
	v_and_b32_e32 v9, 12, v28
	v_mov_b32_e32 v10, 0
	v_cmp_ne_u64_e32 vcc, 12, v[9:10]
	v_mov_b32_e32 v13, 0
	v_mov_b32_e32 v15, 0
	;; [unrolled: 1-line block ×16, first 2 shown]
	s_and_saveexec_b64 s[0:1], vcc
	s_cbranch_execz .LBB170_29
; %bb.26:
	v_lshrrev_b32_e32 v9, 2, v28
	v_add_u32_e32 v9, 1, v9
	v_and_b32_e32 v11, 3, v9
	v_lshlrev_b64 v[9:10], 2, v[22:23]
	v_mov_b32_e32 v12, s13
	v_add_co_u32_e32 v30, vcc, s12, v9
	v_addc_co_u32_e32 v31, vcc, v12, v10, vcc
	v_sub_co_u32_e32 v32, vcc, 0, v11
	v_subb_co_u32_e64 v33, s[10:11], 0, 0, vcc
	v_mov_b32_e32 v19, 0
	v_mov_b32_e32 v17, 0
	;; [unrolled: 1-line block ×8, first 2 shown]
	s_mov_b64 s[8:9], 0
	v_mov_b32_e32 v20, 0
	s_movk_i32 s10, 0x200
	v_mov_b32_e32 v18, 0
	v_mov_b32_e32 v37, 0
	;; [unrolled: 1-line block ×8, first 2 shown]
.LBB170_27:                             ; =>This Inner Loop Header: Depth=1
	global_load_dword v35, v[30:31], off
	global_load_dwordx4 v[40:43], v[26:27], off offset:48
	global_load_dwordx4 v[44:47], v[26:27], off offset:32
	;; [unrolled: 1-line block ×3, first 2 shown]
	global_load_dwordx4 v[52:55], v[26:27], off
	s_waitcnt vmcnt(4)
	v_subrev_u32_e32 v35, s16, v35
	v_lshlrev_b32_e32 v56, 2, v35
	v_ashrrev_i32_e32 v57, 31, v56
	v_lshlrev_b64 v[56:57], 4, v[56:57]
	s_waitcnt vmcnt(0)
	v_cvt_f64_f32_e32 v[72:73], v52
	v_add_co_u32_e32 v74, vcc, s6, v56
	v_addc_co_u32_e32 v75, vcc, v34, v57, vcc
	global_load_dwordx4 v[56:59], v[74:75], off offset:48
	global_load_dwordx4 v[60:63], v[74:75], off offset:32
	;; [unrolled: 1-line block ×3, first 2 shown]
	global_load_dwordx4 v[68:71], v[74:75], off
	v_cvt_f64_f32_e32 v[52:53], v53
	s_waitcnt vmcnt(0)
	v_fma_f64 v[17:18], v[72:73], v[68:69], v[17:18]
	v_fma_f64 v[19:20], v[52:53], v[68:69], v[19:20]
	v_fma_f64 v[17:18], -v[52:53], v[70:71], v[17:18]
	v_cvt_f64_f32_e32 v[52:53], v54
	v_cvt_f64_f32_e32 v[54:55], v55
	v_fma_f64 v[19:20], v[72:73], v[70:71], v[19:20]
	v_fma_f64 v[38:39], v[52:53], v[68:69], v[38:39]
	;; [unrolled: 1-line block ×3, first 2 shown]
	v_fma_f64 v[38:39], -v[54:55], v[70:71], v[38:39]
	v_fma_f64 v[35:36], v[52:53], v[70:71], v[35:36]
	v_cvt_f64_f32_e32 v[52:53], v48
	v_cvt_f64_f32_e32 v[48:49], v49
	v_fma_f64 v[11:12], v[52:53], v[68:69], v[11:12]
	v_fma_f64 v[9:10], v[48:49], v[68:69], v[9:10]
	v_fma_f64 v[11:12], -v[48:49], v[70:71], v[11:12]
	v_cvt_f64_f32_e32 v[48:49], v50
	v_cvt_f64_f32_e32 v[50:51], v51
	v_fma_f64 v[9:10], v[52:53], v[70:71], v[9:10]
	v_fma_f64 v[13:14], v[48:49], v[68:69], v[13:14]
	v_fma_f64 v[15:16], v[50:51], v[68:69], v[15:16]
	v_fma_f64 v[13:14], -v[50:51], v[70:71], v[13:14]
	v_fma_f64 v[15:16], v[48:49], v[70:71], v[15:16]
	v_cvt_f64_f32_e32 v[48:49], v44
	v_cvt_f64_f32_e32 v[44:45], v45
	v_fma_f64 v[17:18], v[48:49], v[64:65], v[17:18]
	v_fma_f64 v[50:51], -v[44:45], v[66:67], v[17:18]
	v_fma_f64 v[17:18], v[44:45], v[64:65], v[19:20]
	v_cvt_f64_f32_e32 v[44:45], v47
	v_fma_f64 v[35:36], v[44:45], v[64:65], v[35:36]
	v_fma_f64 v[19:20], v[48:49], v[66:67], v[17:18]
	v_cvt_f64_f32_e32 v[17:18], v46
	v_fma_f64 v[37:38], v[17:18], v[64:65], v[38:39]
	v_fma_f64 v[46:47], -v[44:45], v[66:67], v[37:38]
	v_fma_f64 v[44:45], v[17:18], v[66:67], v[35:36]
	v_cvt_f64_f32_e32 v[17:18], v40
	v_cvt_f64_f32_e32 v[35:36], v41
	v_fma_f64 v[11:12], v[17:18], v[64:65], v[11:12]
	v_fma_f64 v[9:10], v[35:36], v[64:65], v[9:10]
	v_fma_f64 v[48:49], -v[35:36], v[66:67], v[11:12]
	v_cvt_f64_f32_e32 v[11:12], v42
	v_fma_f64 v[9:10], v[17:18], v[66:67], v[9:10]
	v_cvt_f64_f32_e32 v[17:18], v43
	v_fma_f64 v[13:14], v[11:12], v[64:65], v[13:14]
	v_fma_f64 v[52:53], -v[17:18], v[66:67], v[13:14]
	v_fma_f64 v[13:14], v[17:18], v[64:65], v[15:16]
	v_fma_f64 v[54:55], v[11:12], v[66:67], v[13:14]
	global_load_dwordx4 v[11:14], v[26:27], off offset:112
	global_load_dwordx4 v[35:38], v[26:27], off offset:96
	;; [unrolled: 1-line block ×4, first 2 shown]
	v_add_co_u32_e32 v26, vcc, s10, v26
	v_addc_co_u32_e32 v27, vcc, 0, v27, vcc
	v_add_co_u32_e32 v22, vcc, 4, v22
	v_addc_co_u32_e32 v23, vcc, 0, v23, vcc
	;; [unrolled: 2-line block ×4, first 2 shown]
	v_cmp_eq_u64_e32 vcc, 0, v[32:33]
	s_or_b64 s[8:9], vcc, s[8:9]
	s_waitcnt vmcnt(0)
	v_cvt_f64_f32_e32 v[64:65], v39
	v_cvt_f64_f32_e32 v[39:40], v40
	v_fma_f64 v[50:51], v[64:65], v[60:61], v[50:51]
	v_fma_f64 v[19:20], v[39:40], v[60:61], v[19:20]
	v_fma_f64 v[50:51], -v[39:40], v[62:63], v[50:51]
	v_cvt_f64_f32_e32 v[39:40], v41
	v_cvt_f64_f32_e32 v[41:42], v42
	v_fma_f64 v[19:20], v[64:65], v[62:63], v[19:20]
	v_fma_f64 v[46:47], v[39:40], v[60:61], v[46:47]
	v_fma_f64 v[46:47], -v[41:42], v[62:63], v[46:47]
	v_fma_f64 v[41:42], v[41:42], v[60:61], v[44:45]
	v_fma_f64 v[40:41], v[39:40], v[62:63], v[41:42]
	v_cvt_f64_f32_e32 v[42:43], v15
	v_cvt_f64_f32_e32 v[15:16], v16
	v_fma_f64 v[44:45], v[42:43], v[60:61], v[48:49]
	v_fma_f64 v[9:10], v[15:16], v[60:61], v[9:10]
	v_cvt_f64_f32_e32 v[48:49], v35
	v_cvt_f64_f32_e32 v[35:36], v36
	v_fma_f64 v[19:20], v[35:36], v[56:57], v[19:20]
	v_fma_f64 v[44:45], -v[15:16], v[62:63], v[44:45]
	v_cvt_f64_f32_e32 v[15:16], v17
	v_fma_f64 v[9:10], v[42:43], v[62:63], v[9:10]
	v_cvt_f64_f32_e32 v[17:18], v18
	v_fma_f64 v[42:43], v[15:16], v[60:61], v[52:53]
	v_fma_f64 v[19:20], v[48:49], v[58:59], v[19:20]
	v_fma_f64 v[42:43], -v[17:18], v[62:63], v[42:43]
	v_fma_f64 v[17:18], v[17:18], v[60:61], v[54:55]
	v_fma_f64 v[15:16], v[15:16], v[62:63], v[17:18]
	;; [unrolled: 1-line block ×3, first 2 shown]
	v_cvt_f64_f32_e32 v[48:49], v38
	v_fma_f64 v[40:41], v[48:49], v[56:57], v[40:41]
	v_fma_f64 v[17:18], -v[35:36], v[58:59], v[17:18]
	v_cvt_f64_f32_e32 v[35:36], v37
	v_fma_f64 v[37:38], v[35:36], v[56:57], v[46:47]
	v_cvt_f64_f32_e32 v[46:47], v12
	v_fma_f64 v[9:10], v[46:47], v[56:57], v[9:10]
	v_fma_f64 v[38:39], -v[48:49], v[58:59], v[37:38]
	v_fma_f64 v[36:37], v[35:36], v[58:59], v[40:41]
	v_cvt_f64_f32_e32 v[40:41], v11
	v_fma_f64 v[11:12], v[40:41], v[56:57], v[44:45]
	v_fma_f64 v[9:10], v[40:41], v[58:59], v[9:10]
	v_cvt_f64_f32_e32 v[40:41], v13
	v_cvt_f64_f32_e32 v[44:45], v14
	v_fma_f64 v[13:14], v[40:41], v[56:57], v[42:43]
	v_fma_f64 v[15:16], v[44:45], v[56:57], v[15:16]
	v_fma_f64 v[11:12], -v[46:47], v[58:59], v[11:12]
	v_fma_f64 v[13:14], -v[44:45], v[58:59], v[13:14]
	v_fma_f64 v[15:16], v[40:41], v[58:59], v[15:16]
	s_andn2_b64 exec, exec, s[8:9]
	s_cbranch_execnz .LBB170_27
; %bb.28:
	s_or_b64 exec, exec, s[8:9]
.LBB170_29:
	s_or_b64 exec, exec, s[0:1]
	v_cmp_lt_u64_e32 vcc, 11, v[28:29]
	s_and_saveexec_b64 s[0:1], vcc
	s_cbranch_execz .LBB170_33
; %bb.30:
	v_lshlrev_b64 v[28:29], 2, v[22:23]
	v_mov_b32_e32 v30, s13
	v_add_co_u32_e32 v28, vcc, s12, v28
	v_addc_co_u32_e32 v29, vcc, v30, v29, vcc
	v_add_co_u32_e32 v28, vcc, 32, v28
	v_addc_co_u32_e32 v29, vcc, 0, v29, vcc
	s_mov_b64 s[8:9], 0
	v_mov_b32_e32 v48, s7
	s_movk_i32 s7, 0x800
.LBB170_31:                             ; =>This Inner Loop Header: Depth=1
	global_load_dword v30, v[28:29], off offset:-32
	s_waitcnt vmcnt(0)
	v_subrev_u32_e32 v30, s16, v30
	v_lshlrev_b32_e32 v34, 2, v30
	v_ashrrev_i32_e32 v35, 31, v34
	global_load_dwordx4 v[30:33], v[26:27], off offset:48
	global_load_dwordx4 v[40:43], v[26:27], off offset:32
	;; [unrolled: 1-line block ×3, first 2 shown]
	global_load_dwordx4 v[49:52], v[26:27], off
	v_lshlrev_b64 v[34:35], 4, v[34:35]
	v_add_co_u32_e32 v34, vcc, s6, v34
	v_addc_co_u32_e32 v35, vcc, v48, v35, vcc
	global_load_dwordx4 v[53:56], v[34:35], off offset:48
	global_load_dwordx4 v[57:60], v[34:35], off offset:32
	;; [unrolled: 1-line block ×3, first 2 shown]
	global_load_dwordx4 v[65:68], v[34:35], off
	s_waitcnt vmcnt(4)
	v_cvt_f64_f32_e32 v[69:70], v49
	v_cvt_f64_f32_e32 v[49:50], v50
	;; [unrolled: 1-line block ×3, first 2 shown]
	s_waitcnt vmcnt(0)
	v_fma_f64 v[17:18], v[69:70], v[65:66], v[17:18]
	v_fma_f64 v[19:20], v[49:50], v[65:66], v[19:20]
	;; [unrolled: 1-line block ×3, first 2 shown]
	v_fma_f64 v[17:18], -v[49:50], v[67:68], v[17:18]
	v_cvt_f64_f32_e32 v[49:50], v52
	v_fma_f64 v[19:20], v[69:70], v[67:68], v[19:20]
	v_fma_f64 v[36:37], v[49:50], v[65:66], v[36:37]
	v_fma_f64 v[38:39], -v[49:50], v[67:68], v[38:39]
	v_fma_f64 v[34:35], v[34:35], v[67:68], v[36:37]
	v_cvt_f64_f32_e32 v[36:37], v44
	v_cvt_f64_f32_e32 v[44:45], v45
	v_fma_f64 v[11:12], v[36:37], v[65:66], v[11:12]
	v_fma_f64 v[9:10], v[44:45], v[65:66], v[9:10]
	v_fma_f64 v[11:12], -v[44:45], v[67:68], v[11:12]
	v_cvt_f64_f32_e32 v[44:45], v47
	v_fma_f64 v[9:10], v[36:37], v[67:68], v[9:10]
	v_cvt_f64_f32_e32 v[36:37], v46
	v_fma_f64 v[15:16], v[44:45], v[65:66], v[15:16]
	v_fma_f64 v[13:14], v[36:37], v[65:66], v[13:14]
	;; [unrolled: 1-line block ×3, first 2 shown]
	v_cvt_f64_f32_e32 v[36:37], v40
	v_cvt_f64_f32_e32 v[40:41], v41
	v_fma_f64 v[13:14], -v[44:45], v[67:68], v[13:14]
	v_fma_f64 v[17:18], v[36:37], v[61:62], v[17:18]
	v_fma_f64 v[44:45], -v[40:41], v[63:64], v[17:18]
	v_fma_f64 v[17:18], v[40:41], v[61:62], v[19:20]
	v_cvt_f64_f32_e32 v[19:20], v43
	v_fma_f64 v[36:37], v[36:37], v[63:64], v[17:18]
	v_cvt_f64_f32_e32 v[17:18], v42
	v_fma_f64 v[38:39], v[17:18], v[61:62], v[38:39]
	v_fma_f64 v[38:39], -v[19:20], v[63:64], v[38:39]
	v_fma_f64 v[19:20], v[19:20], v[61:62], v[34:35]
	v_fma_f64 v[34:35], v[17:18], v[63:64], v[19:20]
	v_cvt_f64_f32_e32 v[19:20], v31
	v_cvt_f64_f32_e32 v[17:18], v30
	v_fma_f64 v[9:10], v[19:20], v[61:62], v[9:10]
	v_fma_f64 v[11:12], v[17:18], v[61:62], v[11:12]
	;; [unrolled: 1-line block ×3, first 2 shown]
	v_cvt_f64_f32_e32 v[9:10], v32
	v_fma_f64 v[40:41], -v[19:20], v[63:64], v[11:12]
	v_cvt_f64_f32_e32 v[11:12], v33
	v_fma_f64 v[13:14], v[9:10], v[61:62], v[13:14]
	v_fma_f64 v[46:47], -v[11:12], v[63:64], v[13:14]
	v_fma_f64 v[11:12], v[11:12], v[61:62], v[15:16]
	v_fma_f64 v[49:50], v[9:10], v[63:64], v[11:12]
	global_load_dwordx4 v[9:12], v[26:27], off offset:112
	global_load_dwordx4 v[13:16], v[26:27], off offset:96
	;; [unrolled: 1-line block ×4, first 2 shown]
	s_waitcnt vmcnt(0)
	v_cvt_f64_f32_e32 v[51:52], v30
	v_cvt_f64_f32_e32 v[30:31], v31
	v_fma_f64 v[44:45], v[51:52], v[57:58], v[44:45]
	v_fma_f64 v[44:45], -v[30:31], v[59:60], v[44:45]
	v_fma_f64 v[30:31], v[30:31], v[57:58], v[36:37]
	v_cvt_f64_f32_e32 v[36:37], v32
	v_cvt_f64_f32_e32 v[32:33], v33
	v_fma_f64 v[38:39], v[36:37], v[57:58], v[38:39]
	v_fma_f64 v[30:31], v[51:52], v[59:60], v[30:31]
	v_fma_f64 v[38:39], -v[32:33], v[59:60], v[38:39]
	v_fma_f64 v[32:33], v[32:33], v[57:58], v[34:35]
	v_cvt_f64_f32_e32 v[34:35], v17
	v_cvt_f64_f32_e32 v[17:18], v18
	v_fma_f64 v[32:33], v[36:37], v[59:60], v[32:33]
	v_fma_f64 v[36:37], v[34:35], v[57:58], v[40:41]
	v_fma_f64 v[36:37], -v[17:18], v[59:60], v[36:37]
	v_fma_f64 v[17:18], v[17:18], v[57:58], v[42:43]
	v_fma_f64 v[17:18], v[34:35], v[59:60], v[17:18]
	v_cvt_f64_f32_e32 v[34:35], v19
	v_cvt_f64_f32_e32 v[19:20], v20
	v_fma_f64 v[40:41], v[34:35], v[57:58], v[46:47]
	v_fma_f64 v[40:41], -v[19:20], v[59:60], v[40:41]
	v_fma_f64 v[19:20], v[19:20], v[57:58], v[49:50]
	v_fma_f64 v[19:20], v[34:35], v[59:60], v[19:20]
	v_cvt_f64_f32_e32 v[34:35], v13
	v_cvt_f64_f32_e32 v[13:14], v14
	;; [unrolled: 6-line block ×5, first 2 shown]
	v_fma_f64 v[13:14], v[9:10], v[53:54], v[40:41]
	v_fma_f64 v[67:68], -v[11:12], v[55:56], v[13:14]
	v_fma_f64 v[11:12], v[11:12], v[53:54], v[19:20]
	v_fma_f64 v[53:54], v[9:10], v[55:56], v[11:12]
	global_load_dword v9, v[28:29], off offset:-16
	s_waitcnt vmcnt(0)
	v_subrev_u32_e32 v9, s16, v9
	v_lshlrev_b32_e32 v34, 2, v9
	v_ashrrev_i32_e32 v35, 31, v34
	global_load_dwordx4 v[9:12], v[26:27], off offset:560
	global_load_dwordx4 v[13:16], v[26:27], off offset:544
	;; [unrolled: 1-line block ×4, first 2 shown]
	v_lshlrev_b64 v[34:35], 4, v[34:35]
	v_add_co_u32_e32 v69, vcc, s6, v34
	v_addc_co_u32_e32 v70, vcc, v48, v35, vcc
	global_load_dwordx4 v[34:37], v[69:70], off offset:48
	global_load_dwordx4 v[38:41], v[69:70], off offset:32
	;; [unrolled: 1-line block ×3, first 2 shown]
	global_load_dwordx4 v[49:52], v[69:70], off
	s_waitcnt vmcnt(4)
	v_cvt_f64_f32_e32 v[55:56], v30
	v_cvt_f64_f32_e32 v[30:31], v31
	s_waitcnt vmcnt(0)
	v_fma_f64 v[46:47], v[55:56], v[49:50], v[46:47]
	v_fma_f64 v[46:47], -v[30:31], v[51:52], v[46:47]
	v_fma_f64 v[30:31], v[30:31], v[49:50], v[57:58]
	v_fma_f64 v[30:31], v[55:56], v[51:52], v[30:31]
	v_cvt_f64_f32_e32 v[55:56], v32
	v_cvt_f64_f32_e32 v[32:33], v33
	v_fma_f64 v[57:58], v[55:56], v[49:50], v[59:60]
	v_fma_f64 v[57:58], -v[32:33], v[51:52], v[57:58]
	v_fma_f64 v[32:33], v[32:33], v[49:50], v[61:62]
	v_fma_f64 v[32:33], v[55:56], v[51:52], v[32:33]
	v_cvt_f64_f32_e32 v[55:56], v17
	v_cvt_f64_f32_e32 v[17:18], v18
	;; [unrolled: 6-line block ×3, first 2 shown]
	v_fma_f64 v[61:62], v[55:56], v[49:50], v[67:68]
	v_fma_f64 v[61:62], -v[19:20], v[51:52], v[61:62]
	v_fma_f64 v[19:20], v[19:20], v[49:50], v[53:54]
	v_cvt_f64_f32_e32 v[49:50], v13
	v_cvt_f64_f32_e32 v[13:14], v14
	v_fma_f64 v[46:47], v[49:50], v[42:43], v[46:47]
	v_fma_f64 v[19:20], v[55:56], v[51:52], v[19:20]
	v_fma_f64 v[46:47], -v[13:14], v[44:45], v[46:47]
	v_fma_f64 v[13:14], v[13:14], v[42:43], v[30:31]
	v_fma_f64 v[49:50], v[49:50], v[44:45], v[13:14]
	v_cvt_f64_f32_e32 v[13:14], v15
	v_cvt_f64_f32_e32 v[15:16], v16
	v_fma_f64 v[30:31], v[13:14], v[42:43], v[57:58]
	v_fma_f64 v[51:52], -v[15:16], v[44:45], v[30:31]
	v_fma_f64 v[15:16], v[15:16], v[42:43], v[32:33]
	v_fma_f64 v[53:54], v[13:14], v[44:45], v[15:16]
	v_cvt_f64_f32_e32 v[13:14], v9
	v_cvt_f64_f32_e32 v[9:10], v10
	;; [unrolled: 6-line block ×3, first 2 shown]
	v_fma_f64 v[13:14], v[9:10], v[42:43], v[61:62]
	v_fma_f64 v[59:60], -v[11:12], v[44:45], v[13:14]
	v_fma_f64 v[11:12], v[11:12], v[42:43], v[19:20]
	v_fma_f64 v[42:43], v[9:10], v[44:45], v[11:12]
	global_load_dwordx4 v[9:12], v[26:27], off offset:624
	global_load_dwordx4 v[13:16], v[26:27], off offset:608
	global_load_dwordx4 v[17:20], v[26:27], off offset:592
	global_load_dwordx4 v[30:33], v[26:27], off offset:576
	s_waitcnt vmcnt(0)
	v_cvt_f64_f32_e32 v[44:45], v30
	v_cvt_f64_f32_e32 v[30:31], v31
	v_fma_f64 v[46:47], v[44:45], v[38:39], v[46:47]
	v_fma_f64 v[46:47], -v[30:31], v[40:41], v[46:47]
	v_fma_f64 v[30:31], v[30:31], v[38:39], v[49:50]
	v_fma_f64 v[30:31], v[44:45], v[40:41], v[30:31]
	v_cvt_f64_f32_e32 v[44:45], v32
	v_cvt_f64_f32_e32 v[32:33], v33
	v_fma_f64 v[49:50], v[44:45], v[38:39], v[51:52]
	v_fma_f64 v[49:50], -v[32:33], v[40:41], v[49:50]
	v_fma_f64 v[32:33], v[32:33], v[38:39], v[53:54]
	v_fma_f64 v[32:33], v[44:45], v[40:41], v[32:33]
	;; [unrolled: 6-line block ×3, first 2 shown]
	v_cvt_f64_f32_e32 v[44:45], v19
	v_cvt_f64_f32_e32 v[19:20], v20
	v_fma_f64 v[53:54], v[44:45], v[38:39], v[59:60]
	v_fma_f64 v[53:54], -v[19:20], v[40:41], v[53:54]
	v_fma_f64 v[19:20], v[19:20], v[38:39], v[42:43]
	v_cvt_f64_f32_e32 v[38:39], v13
	v_cvt_f64_f32_e32 v[13:14], v14
	v_fma_f64 v[19:20], v[44:45], v[40:41], v[19:20]
	v_fma_f64 v[40:41], v[38:39], v[34:35], v[46:47]
	v_fma_f64 v[46:47], -v[13:14], v[36:37], v[40:41]
	v_fma_f64 v[13:14], v[13:14], v[34:35], v[30:31]
	v_fma_f64 v[55:56], v[38:39], v[36:37], v[13:14]
	v_cvt_f64_f32_e32 v[13:14], v15
	v_cvt_f64_f32_e32 v[15:16], v16
	v_fma_f64 v[30:31], v[13:14], v[34:35], v[49:50]
	v_fma_f64 v[57:58], -v[15:16], v[36:37], v[30:31]
	v_fma_f64 v[15:16], v[15:16], v[34:35], v[32:33]
	v_fma_f64 v[59:60], v[13:14], v[36:37], v[15:16]
	v_cvt_f64_f32_e32 v[13:14], v9
	v_cvt_f64_f32_e32 v[9:10], v10
	;; [unrolled: 6-line block ×3, first 2 shown]
	v_fma_f64 v[13:14], v[9:10], v[34:35], v[53:54]
	v_fma_f64 v[53:54], -v[11:12], v[36:37], v[13:14]
	v_fma_f64 v[11:12], v[11:12], v[34:35], v[19:20]
	v_fma_f64 v[65:66], v[9:10], v[36:37], v[11:12]
	global_load_dword v9, v[28:29], off
	s_waitcnt vmcnt(0)
	v_subrev_u32_e32 v9, s16, v9
	v_lshlrev_b32_e32 v34, 2, v9
	v_ashrrev_i32_e32 v35, 31, v34
	global_load_dwordx4 v[9:12], v[26:27], off offset:1072
	global_load_dwordx4 v[13:16], v[26:27], off offset:1056
	;; [unrolled: 1-line block ×4, first 2 shown]
	v_lshlrev_b64 v[34:35], 4, v[34:35]
	v_add_co_u32_e32 v69, vcc, s6, v34
	v_addc_co_u32_e32 v70, vcc, v48, v35, vcc
	global_load_dwordx4 v[49:52], v[69:70], off offset:48
	global_load_dwordx4 v[34:37], v[69:70], off offset:32
	;; [unrolled: 1-line block ×3, first 2 shown]
	global_load_dwordx4 v[42:45], v[69:70], off
	s_waitcnt vmcnt(4)
	v_cvt_f64_f32_e32 v[67:68], v30
	v_cvt_f64_f32_e32 v[30:31], v31
	s_waitcnt vmcnt(0)
	v_fma_f64 v[46:47], v[67:68], v[42:43], v[46:47]
	v_fma_f64 v[46:47], -v[30:31], v[44:45], v[46:47]
	v_fma_f64 v[30:31], v[30:31], v[42:43], v[55:56]
	v_cvt_f64_f32_e32 v[55:56], v32
	v_cvt_f64_f32_e32 v[32:33], v33
	v_fma_f64 v[57:58], v[55:56], v[42:43], v[57:58]
	v_fma_f64 v[30:31], v[67:68], v[44:45], v[30:31]
	v_fma_f64 v[57:58], -v[32:33], v[44:45], v[57:58]
	v_fma_f64 v[32:33], v[32:33], v[42:43], v[59:60]
	v_fma_f64 v[32:33], v[55:56], v[44:45], v[32:33]
	v_cvt_f64_f32_e32 v[55:56], v17
	v_cvt_f64_f32_e32 v[17:18], v18
	v_fma_f64 v[59:60], v[55:56], v[42:43], v[61:62]
	v_fma_f64 v[59:60], -v[17:18], v[44:45], v[59:60]
	v_fma_f64 v[17:18], v[17:18], v[42:43], v[63:64]
	v_fma_f64 v[17:18], v[55:56], v[44:45], v[17:18]
	v_cvt_f64_f32_e32 v[55:56], v19
	v_cvt_f64_f32_e32 v[19:20], v20
	v_fma_f64 v[53:54], v[55:56], v[42:43], v[53:54]
	v_fma_f64 v[53:54], -v[19:20], v[44:45], v[53:54]
	v_fma_f64 v[19:20], v[19:20], v[42:43], v[65:66]
	v_cvt_f64_f32_e32 v[42:43], v13
	v_cvt_f64_f32_e32 v[13:14], v14
	v_fma_f64 v[19:20], v[55:56], v[44:45], v[19:20]
	v_fma_f64 v[44:45], v[42:43], v[38:39], v[46:47]
	v_fma_f64 v[44:45], -v[13:14], v[40:41], v[44:45]
	v_fma_f64 v[13:14], v[13:14], v[38:39], v[30:31]
	v_fma_f64 v[42:43], v[42:43], v[40:41], v[13:14]
	v_cvt_f64_f32_e32 v[13:14], v15
	v_cvt_f64_f32_e32 v[15:16], v16
	v_fma_f64 v[30:31], v[13:14], v[38:39], v[57:58]
	v_fma_f64 v[46:47], -v[15:16], v[40:41], v[30:31]
	v_fma_f64 v[15:16], v[15:16], v[38:39], v[32:33]
	v_fma_f64 v[55:56], v[13:14], v[40:41], v[15:16]
	v_cvt_f64_f32_e32 v[13:14], v9
	v_cvt_f64_f32_e32 v[9:10], v10
	;; [unrolled: 6-line block ×3, first 2 shown]
	v_fma_f64 v[13:14], v[9:10], v[38:39], v[53:54]
	v_fma_f64 v[53:54], -v[11:12], v[40:41], v[13:14]
	v_fma_f64 v[11:12], v[11:12], v[38:39], v[19:20]
	v_fma_f64 v[38:39], v[9:10], v[40:41], v[11:12]
	global_load_dwordx4 v[9:12], v[26:27], off offset:1136
	global_load_dwordx4 v[13:16], v[26:27], off offset:1120
	;; [unrolled: 1-line block ×4, first 2 shown]
	s_waitcnt vmcnt(0)
	v_cvt_f64_f32_e32 v[40:41], v30
	v_cvt_f64_f32_e32 v[30:31], v31
	v_fma_f64 v[44:45], v[40:41], v[34:35], v[44:45]
	v_fma_f64 v[44:45], -v[30:31], v[36:37], v[44:45]
	v_fma_f64 v[30:31], v[30:31], v[34:35], v[42:43]
	v_fma_f64 v[30:31], v[40:41], v[36:37], v[30:31]
	v_cvt_f64_f32_e32 v[40:41], v32
	v_cvt_f64_f32_e32 v[32:33], v33
	v_fma_f64 v[42:43], v[40:41], v[34:35], v[46:47]
	v_fma_f64 v[46:47], -v[32:33], v[36:37], v[42:43]
	v_fma_f64 v[32:33], v[32:33], v[34:35], v[55:56]
	v_fma_f64 v[32:33], v[40:41], v[36:37], v[32:33]
	;; [unrolled: 6-line block ×3, first 2 shown]
	v_cvt_f64_f32_e32 v[40:41], v19
	v_cvt_f64_f32_e32 v[19:20], v20
	v_fma_f64 v[42:43], v[40:41], v[34:35], v[53:54]
	v_fma_f64 v[53:54], -v[19:20], v[36:37], v[42:43]
	v_fma_f64 v[19:20], v[19:20], v[34:35], v[38:39]
	v_cvt_f64_f32_e32 v[34:35], v13
	v_cvt_f64_f32_e32 v[13:14], v14
	v_fma_f64 v[19:20], v[40:41], v[36:37], v[19:20]
	v_fma_f64 v[36:37], v[34:35], v[49:50], v[44:45]
	v_fma_f64 v[42:43], -v[13:14], v[51:52], v[36:37]
	v_fma_f64 v[13:14], v[13:14], v[49:50], v[30:31]
	v_fma_f64 v[44:45], v[34:35], v[51:52], v[13:14]
	v_cvt_f64_f32_e32 v[13:14], v15
	v_cvt_f64_f32_e32 v[15:16], v16
	v_fma_f64 v[30:31], v[13:14], v[49:50], v[46:47]
	v_fma_f64 v[38:39], -v[15:16], v[51:52], v[30:31]
	v_fma_f64 v[15:16], v[15:16], v[49:50], v[32:33]
	v_fma_f64 v[40:41], v[13:14], v[51:52], v[15:16]
	v_cvt_f64_f32_e32 v[13:14], v9
	v_cvt_f64_f32_e32 v[9:10], v10
	;; [unrolled: 6-line block ×3, first 2 shown]
	v_fma_f64 v[13:14], v[9:10], v[49:50], v[53:54]
	v_fma_f64 v[30:31], -v[11:12], v[51:52], v[13:14]
	v_fma_f64 v[11:12], v[11:12], v[49:50], v[19:20]
	v_fma_f64 v[32:33], v[9:10], v[51:52], v[11:12]
	global_load_dword v9, v[28:29], off offset:16
	s_waitcnt vmcnt(0)
	v_subrev_u32_e32 v9, s16, v9
	v_lshlrev_b32_e32 v46, 2, v9
	v_ashrrev_i32_e32 v47, 31, v46
	global_load_dwordx4 v[9:12], v[26:27], off offset:1584
	global_load_dwordx4 v[13:16], v[26:27], off offset:1568
	;; [unrolled: 1-line block ×4, first 2 shown]
	v_lshlrev_b64 v[46:47], 4, v[46:47]
	v_add_co_u32_e32 v46, vcc, s6, v46
	v_addc_co_u32_e32 v47, vcc, v48, v47, vcc
	global_load_dwordx4 v[53:56], v[46:47], off offset:48
	global_load_dwordx4 v[57:60], v[46:47], off offset:32
	global_load_dwordx4 v[61:64], v[46:47], off offset:16
	global_load_dwordx4 v[65:68], v[46:47], off
	s_waitcnt vmcnt(4)
	v_cvt_f64_f32_e32 v[69:70], v49
	v_cvt_f64_f32_e32 v[49:50], v50
	;; [unrolled: 1-line block ×3, first 2 shown]
	s_waitcnt vmcnt(0)
	v_fma_f64 v[42:43], v[69:70], v[65:66], v[42:43]
	v_fma_f64 v[44:45], v[49:50], v[65:66], v[44:45]
	;; [unrolled: 1-line block ×3, first 2 shown]
	v_fma_f64 v[42:43], -v[49:50], v[67:68], v[42:43]
	v_cvt_f64_f32_e32 v[49:50], v52
	v_fma_f64 v[44:45], v[69:70], v[67:68], v[44:45]
	v_fma_f64 v[40:41], v[49:50], v[65:66], v[40:41]
	v_fma_f64 v[38:39], -v[49:50], v[67:68], v[38:39]
	v_fma_f64 v[40:41], v[46:47], v[67:68], v[40:41]
	v_cvt_f64_f32_e32 v[46:47], v17
	v_cvt_f64_f32_e32 v[17:18], v18
	v_fma_f64 v[34:35], v[46:47], v[65:66], v[34:35]
	v_fma_f64 v[34:35], -v[17:18], v[67:68], v[34:35]
	v_fma_f64 v[17:18], v[17:18], v[65:66], v[36:37]
	v_cvt_f64_f32_e32 v[36:37], v19
	v_cvt_f64_f32_e32 v[19:20], v20
	v_fma_f64 v[30:31], v[36:37], v[65:66], v[30:31]
	v_fma_f64 v[17:18], v[46:47], v[67:68], v[17:18]
	v_fma_f64 v[30:31], -v[19:20], v[67:68], v[30:31]
	v_fma_f64 v[19:20], v[19:20], v[65:66], v[32:33]
	v_cvt_f64_f32_e32 v[32:33], v13
	v_cvt_f64_f32_e32 v[13:14], v14
	v_fma_f64 v[19:20], v[36:37], v[67:68], v[19:20]
	v_fma_f64 v[36:37], v[32:33], v[61:62], v[42:43]
	v_fma_f64 v[42:43], -v[13:14], v[63:64], v[36:37]
	v_fma_f64 v[13:14], v[13:14], v[61:62], v[44:45]
	v_fma_f64 v[44:45], v[32:33], v[63:64], v[13:14]
	v_cvt_f64_f32_e32 v[13:14], v15
	v_cvt_f64_f32_e32 v[15:16], v16
	v_fma_f64 v[32:33], v[13:14], v[61:62], v[38:39]
	v_fma_f64 v[38:39], -v[15:16], v[63:64], v[32:33]
	v_fma_f64 v[15:16], v[15:16], v[61:62], v[40:41]
	v_fma_f64 v[40:41], v[13:14], v[63:64], v[15:16]
	v_cvt_f64_f32_e32 v[13:14], v9
	v_cvt_f64_f32_e32 v[9:10], v10
	;; [unrolled: 6-line block ×3, first 2 shown]
	v_fma_f64 v[15:16], v[13:14], v[61:62], v[30:31]
	v_fma_f64 v[49:50], -v[11:12], v[63:64], v[15:16]
	v_fma_f64 v[11:12], v[11:12], v[61:62], v[19:20]
	v_fma_f64 v[19:20], v[13:14], v[63:64], v[11:12]
	global_load_dwordx4 v[11:14], v[26:27], off offset:1648
	global_load_dwordx4 v[30:33], v[26:27], off offset:1632
	;; [unrolled: 1-line block ×4, first 2 shown]
	v_add_co_u32_e32 v26, vcc, s7, v26
	v_addc_co_u32_e32 v27, vcc, 0, v27, vcc
	v_add_co_u32_e32 v22, vcc, 16, v22
	v_addc_co_u32_e32 v23, vcc, 0, v23, vcc
	;; [unrolled: 2-line block ×3, first 2 shown]
	v_cmp_ge_i64_e32 vcc, v[22:23], v[24:25]
	s_or_b64 s[8:9], vcc, s[8:9]
	s_waitcnt vmcnt(0)
	v_cvt_f64_f32_e32 v[51:52], v34
	v_cvt_f64_f32_e32 v[34:35], v35
	v_fma_f64 v[42:43], v[51:52], v[57:58], v[42:43]
	v_fma_f64 v[42:43], -v[34:35], v[59:60], v[42:43]
	v_fma_f64 v[34:35], v[34:35], v[57:58], v[44:45]
	v_cvt_f64_f32_e32 v[44:45], v36
	v_cvt_f64_f32_e32 v[36:37], v37
	v_fma_f64 v[38:39], v[44:45], v[57:58], v[38:39]
	v_fma_f64 v[34:35], v[51:52], v[59:60], v[34:35]
	v_fma_f64 v[38:39], -v[36:37], v[59:60], v[38:39]
	v_fma_f64 v[36:37], v[36:37], v[57:58], v[40:41]
	v_cvt_f64_f32_e32 v[40:41], v15
	v_cvt_f64_f32_e32 v[15:16], v16
	v_fma_f64 v[9:10], v[15:16], v[57:58], v[9:10]
	v_fma_f64 v[36:37], v[44:45], v[59:60], v[36:37]
	;; [unrolled: 1-line block ×4, first 2 shown]
	v_fma_f64 v[44:45], -v[15:16], v[59:60], v[44:45]
	v_cvt_f64_f32_e32 v[15:16], v17
	v_cvt_f64_f32_e32 v[17:18], v18
	v_fma_f64 v[40:41], v[15:16], v[57:58], v[49:50]
	v_fma_f64 v[40:41], -v[17:18], v[59:60], v[40:41]
	v_fma_f64 v[17:18], v[17:18], v[57:58], v[19:20]
	v_cvt_f64_f32_e32 v[19:20], v30
	v_cvt_f64_f32_e32 v[30:31], v31
	v_fma_f64 v[15:16], v[15:16], v[59:60], v[17:18]
	v_fma_f64 v[17:18], v[19:20], v[53:54], v[42:43]
	v_fma_f64 v[17:18], -v[30:31], v[55:56], v[17:18]
	v_fma_f64 v[30:31], v[30:31], v[53:54], v[34:35]
	v_fma_f64 v[19:20], v[19:20], v[55:56], v[30:31]
	v_cvt_f64_f32_e32 v[30:31], v32
	v_cvt_f64_f32_e32 v[32:33], v33
	v_fma_f64 v[34:35], v[30:31], v[53:54], v[38:39]
	v_fma_f64 v[38:39], -v[32:33], v[55:56], v[34:35]
	v_fma_f64 v[32:33], v[32:33], v[53:54], v[36:37]
	v_fma_f64 v[36:37], v[30:31], v[55:56], v[32:33]
	v_cvt_f64_f32_e32 v[30:31], v11
	v_cvt_f64_f32_e32 v[32:33], v12
	v_fma_f64 v[11:12], v[30:31], v[53:54], v[44:45]
	v_fma_f64 v[9:10], v[32:33], v[53:54], v[9:10]
	v_fma_f64 v[11:12], -v[32:33], v[55:56], v[11:12]
	v_fma_f64 v[9:10], v[30:31], v[55:56], v[9:10]
	v_cvt_f64_f32_e32 v[30:31], v13
	v_cvt_f64_f32_e32 v[32:33], v14
	v_fma_f64 v[13:14], v[30:31], v[53:54], v[40:41]
	v_fma_f64 v[15:16], v[32:33], v[53:54], v[15:16]
	v_fma_f64 v[13:14], -v[32:33], v[55:56], v[13:14]
	v_fma_f64 v[15:16], v[30:31], v[55:56], v[15:16]
	s_andn2_b64 exec, exec, s[8:9]
	s_cbranch_execnz .LBB170_31
; %bb.32:
	s_or_b64 exec, exec, s[8:9]
.LBB170_33:
	s_or_b64 exec, exec, s[0:1]
.LBB170_34:
	s_or_b64 exec, exec, s[2:3]
.LBB170_35:
	v_mov_b32_dpp v34, v11 row_shr:1 row_mask:0xf bank_mask:0xf
	v_mov_b32_dpp v35, v12 row_shr:1 row_mask:0xf bank_mask:0xf
	;; [unrolled: 1-line block ×4, first 2 shown]
	v_add_f64 v[11:12], v[11:12], v[34:35]
	v_mov_b32_dpp v34, v9 row_shr:1 row_mask:0xf bank_mask:0xf
	v_mov_b32_dpp v35, v10 row_shr:1 row_mask:0xf bank_mask:0xf
	v_add_f64 v[17:18], v[17:18], v[22:23]
	v_mov_b32_dpp v22, v19 row_shr:1 row_mask:0xf bank_mask:0xf
	v_mov_b32_dpp v23, v20 row_shr:1 row_mask:0xf bank_mask:0xf
	v_add_f64 v[9:10], v[9:10], v[34:35]
	v_mov_b32_dpp v34, v13 row_shr:1 row_mask:0xf bank_mask:0xf
	v_mov_b32_dpp v35, v14 row_shr:1 row_mask:0xf bank_mask:0xf
	v_add_f64 v[19:20], v[19:20], v[22:23]
	v_mov_b32_dpp v22, v38 row_shr:1 row_mask:0xf bank_mask:0xf
	v_mov_b32_dpp v23, v39 row_shr:1 row_mask:0xf bank_mask:0xf
	v_mov_b32_dpp v24, v36 row_shr:1 row_mask:0xf bank_mask:0xf
	v_mov_b32_dpp v25, v37 row_shr:1 row_mask:0xf bank_mask:0xf
	v_add_f64 v[13:14], v[13:14], v[34:35]
	v_mov_b32_dpp v34, v15 row_shr:1 row_mask:0xf bank_mask:0xf
	v_mov_b32_dpp v35, v16 row_shr:1 row_mask:0xf bank_mask:0xf
	v_add_f64 v[22:23], v[38:39], v[22:23]
	v_add_f64 v[24:25], v[36:37], v[24:25]
	v_add_f64 v[15:16], v[15:16], v[34:35]
	v_mov_b32_dpp v32, v17 row_shr:2 row_mask:0xf bank_mask:0xf
	v_mov_b32_dpp v33, v18 row_shr:2 row_mask:0xf bank_mask:0xf
	;; [unrolled: 1-line block ×16, first 2 shown]
	v_cmp_eq_u32_e32 vcc, 3, v0
	s_and_b64 exec, exec, vcc
	s_cbranch_execz .LBB170_8
; %bb.36:
	v_add_f64 v[32:33], v[17:18], v[32:33]
	v_add_f64 v[17:18], v[19:20], v[30:31]
	;; [unrolled: 1-line block ×8, first 2 shown]
	v_cmp_eq_f64_e32 vcc, 0, v[1:2]
	v_mul_f64 v[15:16], v[17:18], -v[7:8]
	v_mul_f64 v[26:27], v[5:6], v[17:18]
	v_mul_f64 v[28:29], v[19:20], -v[7:8]
	v_mul_f64 v[30:31], v[5:6], v[19:20]
	;; [unrolled: 2-line block ×4, first 2 shown]
	v_cmp_eq_f64_e64 s[0:1], 0, v[3:4]
	v_fma_f64 v[17:18], v[5:6], v[32:33], v[15:16]
	v_fma_f64 v[19:20], v[7:8], v[32:33], v[26:27]
	v_fma_f64 v[13:14], v[5:6], v[22:23], v[28:29]
	v_fma_f64 v[15:16], v[7:8], v[22:23], v[30:31]
	v_fma_f64 v[9:10], v[5:6], v[11:12], v[34:35]
	v_fma_f64 v[11:12], v[7:8], v[11:12], v[36:37]
	v_fma_f64 v[5:6], v[5:6], v[24:25], v[38:39]
	v_fma_f64 v[7:8], v[7:8], v[24:25], v[40:41]
	s_load_dwordx2 s[2:3], s[4:5], 0x60
	s_and_b64 s[0:1], vcc, s[0:1]
	v_lshlrev_b32_e32 v21, 2, v21
	s_and_saveexec_b64 s[4:5], s[0:1]
	s_xor_b64 s[0:1], exec, s[4:5]
	s_cbranch_execz .LBB170_38
; %bb.37:
	v_ashrrev_i32_e32 v22, 31, v21
	v_lshlrev_b64 v[0:1], 4, v[21:22]
	s_waitcnt lgkmcnt(0)
	v_mov_b32_e32 v2, s3
	v_add_co_u32_e32 v0, vcc, s2, v0
	v_addc_co_u32_e32 v1, vcc, v2, v1, vcc
	global_store_dwordx4 v[0:1], v[17:20], off
	global_store_dwordx4 v[0:1], v[13:16], off offset:16
	global_store_dwordx4 v[0:1], v[9:12], off offset:32
	;; [unrolled: 1-line block ×3, first 2 shown]
                                        ; implicit-def: $vgpr3_vgpr4
                                        ; implicit-def: $vgpr17_vgpr18
                                        ; implicit-def: $vgpr21
                                        ; implicit-def: $vgpr13_vgpr14
                                        ; implicit-def: $vgpr9_vgpr10
                                        ; implicit-def: $vgpr5_vgpr6
.LBB170_38:
	s_andn2_saveexec_b64 s[0:1], s[0:1]
	s_cbranch_execz .LBB170_8
; %bb.39:
	v_ashrrev_i32_e32 v22, 31, v21
	v_lshlrev_b64 v[21:22], 4, v[21:22]
	s_waitcnt lgkmcnt(0)
	v_mov_b32_e32 v0, s3
	v_add_co_u32_e32 v37, vcc, s2, v21
	v_addc_co_u32_e32 v38, vcc, v0, v22, vcc
	global_load_dwordx4 v[21:24], v[37:38], off
	global_load_dwordx4 v[25:28], v[37:38], off offset:16
	global_load_dwordx4 v[29:32], v[37:38], off offset:32
	;; [unrolled: 1-line block ×3, first 2 shown]
	s_waitcnt vmcnt(3)
	v_fma_f64 v[17:18], v[1:2], v[21:22], v[17:18]
	v_fma_f64 v[19:20], v[3:4], v[21:22], v[19:20]
	s_waitcnt vmcnt(2)
	v_fma_f64 v[13:14], v[1:2], v[25:26], v[13:14]
	v_fma_f64 v[15:16], v[3:4], v[25:26], v[15:16]
	;; [unrolled: 3-line block ×4, first 2 shown]
	v_fma_f64 v[5:6], -v[3:4], v[23:24], v[17:18]
	v_fma_f64 v[7:8], v[1:2], v[23:24], v[19:20]
	v_fma_f64 v[9:10], -v[3:4], v[27:28], v[13:14]
	v_fma_f64 v[11:12], v[1:2], v[27:28], v[15:16]
	v_fma_f64 v[13:14], -v[3:4], v[31:32], v[21:22]
	v_fma_f64 v[15:16], v[1:2], v[31:32], v[25:26]
	v_fma_f64 v[17:18], -v[3:4], v[35:36], v[29:30]
	v_fma_f64 v[19:20], v[1:2], v[35:36], v[33:34]
	global_store_dwordx4 v[37:38], v[5:8], off
	global_store_dwordx4 v[37:38], v[9:12], off offset:16
	global_store_dwordx4 v[37:38], v[13:16], off offset:32
	;; [unrolled: 1-line block ×3, first 2 shown]
	s_endpgm
	.section	.rodata,"a",@progbits
	.p2align	6, 0x0
	.amdhsa_kernel _ZN9rocsparseL18bsrxmvn_4x4_kernelILj128ELj4E21rocsparse_complex_numIdEliS1_IfES2_S2_EEvT3_20rocsparse_direction_NS_24const_host_device_scalarIT1_EES4_PKS4_PKT2_SD_SA_PKT4_PKT5_S8_PT6_21rocsparse_index_base_b
		.amdhsa_group_segment_fixed_size 0
		.amdhsa_private_segment_fixed_size 0
		.amdhsa_kernarg_size 112
		.amdhsa_user_sgpr_count 6
		.amdhsa_user_sgpr_private_segment_buffer 1
		.amdhsa_user_sgpr_dispatch_ptr 0
		.amdhsa_user_sgpr_queue_ptr 0
		.amdhsa_user_sgpr_kernarg_segment_ptr 1
		.amdhsa_user_sgpr_dispatch_id 0
		.amdhsa_user_sgpr_flat_scratch_init 0
		.amdhsa_user_sgpr_private_segment_size 0
		.amdhsa_uses_dynamic_stack 0
		.amdhsa_system_sgpr_private_segment_wavefront_offset 0
		.amdhsa_system_sgpr_workgroup_id_x 1
		.amdhsa_system_sgpr_workgroup_id_y 0
		.amdhsa_system_sgpr_workgroup_id_z 0
		.amdhsa_system_sgpr_workgroup_info 0
		.amdhsa_system_vgpr_workitem_id 0
		.amdhsa_next_free_vgpr 85
		.amdhsa_next_free_sgpr 18
		.amdhsa_reserve_vcc 1
		.amdhsa_reserve_flat_scratch 0
		.amdhsa_float_round_mode_32 0
		.amdhsa_float_round_mode_16_64 0
		.amdhsa_float_denorm_mode_32 3
		.amdhsa_float_denorm_mode_16_64 3
		.amdhsa_dx10_clamp 1
		.amdhsa_ieee_mode 1
		.amdhsa_fp16_overflow 0
		.amdhsa_exception_fp_ieee_invalid_op 0
		.amdhsa_exception_fp_denorm_src 0
		.amdhsa_exception_fp_ieee_div_zero 0
		.amdhsa_exception_fp_ieee_overflow 0
		.amdhsa_exception_fp_ieee_underflow 0
		.amdhsa_exception_fp_ieee_inexact 0
		.amdhsa_exception_int_div_zero 0
	.end_amdhsa_kernel
	.section	.text._ZN9rocsparseL18bsrxmvn_4x4_kernelILj128ELj4E21rocsparse_complex_numIdEliS1_IfES2_S2_EEvT3_20rocsparse_direction_NS_24const_host_device_scalarIT1_EES4_PKS4_PKT2_SD_SA_PKT4_PKT5_S8_PT6_21rocsparse_index_base_b,"axG",@progbits,_ZN9rocsparseL18bsrxmvn_4x4_kernelILj128ELj4E21rocsparse_complex_numIdEliS1_IfES2_S2_EEvT3_20rocsparse_direction_NS_24const_host_device_scalarIT1_EES4_PKS4_PKT2_SD_SA_PKT4_PKT5_S8_PT6_21rocsparse_index_base_b,comdat
.Lfunc_end170:
	.size	_ZN9rocsparseL18bsrxmvn_4x4_kernelILj128ELj4E21rocsparse_complex_numIdEliS1_IfES2_S2_EEvT3_20rocsparse_direction_NS_24const_host_device_scalarIT1_EES4_PKS4_PKT2_SD_SA_PKT4_PKT5_S8_PT6_21rocsparse_index_base_b, .Lfunc_end170-_ZN9rocsparseL18bsrxmvn_4x4_kernelILj128ELj4E21rocsparse_complex_numIdEliS1_IfES2_S2_EEvT3_20rocsparse_direction_NS_24const_host_device_scalarIT1_EES4_PKS4_PKT2_SD_SA_PKT4_PKT5_S8_PT6_21rocsparse_index_base_b
                                        ; -- End function
	.set _ZN9rocsparseL18bsrxmvn_4x4_kernelILj128ELj4E21rocsparse_complex_numIdEliS1_IfES2_S2_EEvT3_20rocsparse_direction_NS_24const_host_device_scalarIT1_EES4_PKS4_PKT2_SD_SA_PKT4_PKT5_S8_PT6_21rocsparse_index_base_b.num_vgpr, 85
	.set _ZN9rocsparseL18bsrxmvn_4x4_kernelILj128ELj4E21rocsparse_complex_numIdEliS1_IfES2_S2_EEvT3_20rocsparse_direction_NS_24const_host_device_scalarIT1_EES4_PKS4_PKT2_SD_SA_PKT4_PKT5_S8_PT6_21rocsparse_index_base_b.num_agpr, 0
	.set _ZN9rocsparseL18bsrxmvn_4x4_kernelILj128ELj4E21rocsparse_complex_numIdEliS1_IfES2_S2_EEvT3_20rocsparse_direction_NS_24const_host_device_scalarIT1_EES4_PKS4_PKT2_SD_SA_PKT4_PKT5_S8_PT6_21rocsparse_index_base_b.numbered_sgpr, 18
	.set _ZN9rocsparseL18bsrxmvn_4x4_kernelILj128ELj4E21rocsparse_complex_numIdEliS1_IfES2_S2_EEvT3_20rocsparse_direction_NS_24const_host_device_scalarIT1_EES4_PKS4_PKT2_SD_SA_PKT4_PKT5_S8_PT6_21rocsparse_index_base_b.num_named_barrier, 0
	.set _ZN9rocsparseL18bsrxmvn_4x4_kernelILj128ELj4E21rocsparse_complex_numIdEliS1_IfES2_S2_EEvT3_20rocsparse_direction_NS_24const_host_device_scalarIT1_EES4_PKS4_PKT2_SD_SA_PKT4_PKT5_S8_PT6_21rocsparse_index_base_b.private_seg_size, 0
	.set _ZN9rocsparseL18bsrxmvn_4x4_kernelILj128ELj4E21rocsparse_complex_numIdEliS1_IfES2_S2_EEvT3_20rocsparse_direction_NS_24const_host_device_scalarIT1_EES4_PKS4_PKT2_SD_SA_PKT4_PKT5_S8_PT6_21rocsparse_index_base_b.uses_vcc, 1
	.set _ZN9rocsparseL18bsrxmvn_4x4_kernelILj128ELj4E21rocsparse_complex_numIdEliS1_IfES2_S2_EEvT3_20rocsparse_direction_NS_24const_host_device_scalarIT1_EES4_PKS4_PKT2_SD_SA_PKT4_PKT5_S8_PT6_21rocsparse_index_base_b.uses_flat_scratch, 0
	.set _ZN9rocsparseL18bsrxmvn_4x4_kernelILj128ELj4E21rocsparse_complex_numIdEliS1_IfES2_S2_EEvT3_20rocsparse_direction_NS_24const_host_device_scalarIT1_EES4_PKS4_PKT2_SD_SA_PKT4_PKT5_S8_PT6_21rocsparse_index_base_b.has_dyn_sized_stack, 0
	.set _ZN9rocsparseL18bsrxmvn_4x4_kernelILj128ELj4E21rocsparse_complex_numIdEliS1_IfES2_S2_EEvT3_20rocsparse_direction_NS_24const_host_device_scalarIT1_EES4_PKS4_PKT2_SD_SA_PKT4_PKT5_S8_PT6_21rocsparse_index_base_b.has_recursion, 0
	.set _ZN9rocsparseL18bsrxmvn_4x4_kernelILj128ELj4E21rocsparse_complex_numIdEliS1_IfES2_S2_EEvT3_20rocsparse_direction_NS_24const_host_device_scalarIT1_EES4_PKS4_PKT2_SD_SA_PKT4_PKT5_S8_PT6_21rocsparse_index_base_b.has_indirect_call, 0
	.section	.AMDGPU.csdata,"",@progbits
; Kernel info:
; codeLenInByte = 10372
; TotalNumSgprs: 22
; NumVgprs: 85
; ScratchSize: 0
; MemoryBound: 0
; FloatMode: 240
; IeeeMode: 1
; LDSByteSize: 0 bytes/workgroup (compile time only)
; SGPRBlocks: 2
; VGPRBlocks: 21
; NumSGPRsForWavesPerEU: 22
; NumVGPRsForWavesPerEU: 85
; Occupancy: 2
; WaveLimiterHint : 1
; COMPUTE_PGM_RSRC2:SCRATCH_EN: 0
; COMPUTE_PGM_RSRC2:USER_SGPR: 6
; COMPUTE_PGM_RSRC2:TRAP_HANDLER: 0
; COMPUTE_PGM_RSRC2:TGID_X_EN: 1
; COMPUTE_PGM_RSRC2:TGID_Y_EN: 0
; COMPUTE_PGM_RSRC2:TGID_Z_EN: 0
; COMPUTE_PGM_RSRC2:TIDIG_COMP_CNT: 0
	.section	.text._ZN9rocsparseL18bsrxmvn_4x4_kernelILj128ELj8E21rocsparse_complex_numIdEliS1_IfES2_S2_EEvT3_20rocsparse_direction_NS_24const_host_device_scalarIT1_EES4_PKS4_PKT2_SD_SA_PKT4_PKT5_S8_PT6_21rocsparse_index_base_b,"axG",@progbits,_ZN9rocsparseL18bsrxmvn_4x4_kernelILj128ELj8E21rocsparse_complex_numIdEliS1_IfES2_S2_EEvT3_20rocsparse_direction_NS_24const_host_device_scalarIT1_EES4_PKS4_PKT2_SD_SA_PKT4_PKT5_S8_PT6_21rocsparse_index_base_b,comdat
	.globl	_ZN9rocsparseL18bsrxmvn_4x4_kernelILj128ELj8E21rocsparse_complex_numIdEliS1_IfES2_S2_EEvT3_20rocsparse_direction_NS_24const_host_device_scalarIT1_EES4_PKS4_PKT2_SD_SA_PKT4_PKT5_S8_PT6_21rocsparse_index_base_b ; -- Begin function _ZN9rocsparseL18bsrxmvn_4x4_kernelILj128ELj8E21rocsparse_complex_numIdEliS1_IfES2_S2_EEvT3_20rocsparse_direction_NS_24const_host_device_scalarIT1_EES4_PKS4_PKT2_SD_SA_PKT4_PKT5_S8_PT6_21rocsparse_index_base_b
	.p2align	8
	.type	_ZN9rocsparseL18bsrxmvn_4x4_kernelILj128ELj8E21rocsparse_complex_numIdEliS1_IfES2_S2_EEvT3_20rocsparse_direction_NS_24const_host_device_scalarIT1_EES4_PKS4_PKT2_SD_SA_PKT4_PKT5_S8_PT6_21rocsparse_index_base_b,@function
_ZN9rocsparseL18bsrxmvn_4x4_kernelILj128ELj8E21rocsparse_complex_numIdEliS1_IfES2_S2_EEvT3_20rocsparse_direction_NS_24const_host_device_scalarIT1_EES4_PKS4_PKT2_SD_SA_PKT4_PKT5_S8_PT6_21rocsparse_index_base_b: ; @_ZN9rocsparseL18bsrxmvn_4x4_kernelILj128ELj8E21rocsparse_complex_numIdEliS1_IfES2_S2_EEvT3_20rocsparse_direction_NS_24const_host_device_scalarIT1_EES4_PKS4_PKT2_SD_SA_PKT4_PKT5_S8_PT6_21rocsparse_index_base_b
; %bb.0:
	s_load_dwordx2 s[0:1], s[4:5], 0x8
	s_load_dwordx2 s[16:17], s[4:5], 0x68
	s_add_u32 s7, s4, 8
	s_addc_u32 s8, s5, 0
	s_add_u32 s9, s4, 0x50
	s_addc_u32 s10, s5, 0
	s_waitcnt lgkmcnt(0)
	s_bitcmp1_b32 s17, 0
	s_cselect_b32 s1, s8, s1
	s_cselect_b32 s0, s7, s0
	v_mov_b32_e32 v1, s0
	v_mov_b32_e32 v2, s1
	flat_load_dwordx4 v[5:8], v[1:2]
	s_load_dwordx2 s[2:3], s[4:5], 0x50
	s_waitcnt lgkmcnt(0)
	s_cselect_b32 s0, s10, s3
	s_cselect_b32 s1, s9, s2
	v_mov_b32_e32 v1, s1
	v_mov_b32_e32 v2, s0
	flat_load_dwordx4 v[1:4], v[1:2]
	s_waitcnt vmcnt(0)
	v_cmp_eq_f64_e32 vcc, 0, v[5:6]
	v_cmp_eq_f64_e64 s[0:1], 0, v[7:8]
	s_and_b64 s[8:9], vcc, s[0:1]
	s_mov_b64 s[0:1], -1
	s_and_saveexec_b64 s[2:3], s[8:9]
	s_cbranch_execz .LBB171_2
; %bb.1:
	s_waitcnt lgkmcnt(0)
	v_cmp_neq_f64_e32 vcc, 1.0, v[1:2]
	v_cmp_neq_f64_e64 s[0:1], 0, v[3:4]
	s_or_b64 s[0:1], vcc, s[0:1]
	s_orn2_b64 s[0:1], s[0:1], exec
.LBB171_2:
	s_or_b64 exec, exec, s[2:3]
	s_and_saveexec_b64 s[2:3], s[0:1]
	s_cbranch_execz .LBB171_8
; %bb.3:
	s_load_dwordx2 s[8:9], s[4:5], 0x20
	s_load_dwordx2 s[0:1], s[4:5], 0x0
	v_lshrrev_b32_e32 v9, 3, v0
	v_lshl_or_b32 v21, s6, 4, v9
	s_mov_b64 s[2:3], 0
	s_waitcnt lgkmcnt(0)
	s_cmp_lg_u64 s[8:9], 0
	s_cbranch_scc0 .LBB171_9
; %bb.4:
	s_load_dword s6, s[4:5], 0x18
                                        ; implicit-def: $vgpr9
	s_waitcnt lgkmcnt(0)
	v_cmp_gt_i32_e32 vcc, s6, v21
	s_and_saveexec_b64 s[6:7], vcc
	s_xor_b64 s[6:7], exec, s[6:7]
	s_cbranch_execz .LBB171_6
; %bb.5:
	v_ashrrev_i32_e32 v22, 31, v21
	v_lshlrev_b64 v[9:10], 2, v[21:22]
	v_mov_b32_e32 v11, s9
	v_add_co_u32_e32 v9, vcc, s8, v9
	v_addc_co_u32_e32 v10, vcc, v11, v10, vcc
	global_load_dword v9, v[9:10], off
	s_mov_b64 s[2:3], exec
	s_waitcnt vmcnt(0)
	v_subrev_u32_e32 v9, s16, v9
.LBB171_6:
	s_or_b64 exec, exec, s[6:7]
	s_branch .LBB171_10
.LBB171_7:
	v_cmp_gt_i32_e32 vcc, s0, v21
	s_andn2_b64 s[2:3], s[2:3], exec
	s_and_b64 s[6:7], vcc, exec
	s_or_b64 s[2:3], s[2:3], s[6:7]
	s_and_b64 exec, exec, s[2:3]
	s_cbranch_execnz .LBB171_11
.LBB171_8:
	s_endpgm
.LBB171_9:
                                        ; implicit-def: $vgpr9
	s_cbranch_execnz .LBB171_7
.LBB171_10:
	v_mov_b32_e32 v21, v9
	s_and_b64 exec, exec, s[2:3]
	s_cbranch_execz .LBB171_8
.LBB171_11:
	s_load_dwordx8 s[8:15], s[4:5], 0x28
	v_ashrrev_i32_e32 v22, 31, v21
	v_lshlrev_b64 v[9:10], 3, v[21:22]
	v_and_b32_e32 v0, 7, v0
	s_load_dwordx2 s[6:7], s[4:5], 0x48
	s_waitcnt lgkmcnt(0)
	v_mov_b32_e32 v12, s9
	v_add_co_u32_e32 v11, vcc, s8, v9
	v_addc_co_u32_e32 v12, vcc, v12, v10, vcc
	global_load_dwordx2 v[28:29], v[11:12], off
	v_add_co_u32_e32 v11, vcc, 8, v11
	v_addc_co_u32_e32 v12, vcc, 0, v12, vcc
	v_mov_b32_e32 v13, s11
	v_add_co_u32_e32 v9, vcc, s10, v9
	s_cmp_eq_u64 s[10:11], 0
	v_addc_co_u32_e32 v10, vcc, v13, v10, vcc
	s_cselect_b64 vcc, -1, 0
	v_cndmask_b32_e32 v10, v10, v12, vcc
	v_cndmask_b32_e32 v9, v9, v11, vcc
	global_load_dwordx2 v[9:10], v[9:10], off
	v_mov_b32_e32 v11, s15
	s_cmp_eq_u32 s1, 1
	s_waitcnt vmcnt(1)
	v_subrev_co_u32_e32 v12, vcc, s16, v28
	v_subbrev_co_u32_e32 v13, vcc, 0, v29, vcc
	v_add_co_u32_e32 v22, vcc, v12, v0
	v_addc_co_u32_e32 v23, vcc, 0, v13, vcc
	s_waitcnt vmcnt(0)
	v_subrev_co_u32_e32 v24, vcc, s16, v9
	v_subbrev_co_u32_e32 v25, vcc, 0, v10, vcc
	v_lshlrev_b64 v[9:10], 7, v[22:23]
	v_cmp_lt_i64_e64 s[0:1], v[22:23], v[24:25]
	v_add_co_u32_e32 v26, vcc, s14, v9
	v_addc_co_u32_e32 v27, vcc, v11, v10, vcc
	s_cbranch_scc1 .LBB171_23
; %bb.12:
	v_mov_b32_e32 v19, 0
	v_mov_b32_e32 v17, 0
	v_mov_b32_e32 v36, 0
	v_mov_b32_e32 v38, 0
	v_mov_b32_e32 v9, 0
	v_mov_b32_e32 v11, 0
	v_mov_b32_e32 v15, 0
	v_mov_b32_e32 v13, 0
	v_mov_b32_e32 v20, 0
	v_mov_b32_e32 v18, 0
	v_mov_b32_e32 v37, 0
	v_mov_b32_e32 v39, 0
	v_mov_b32_e32 v10, 0
	v_mov_b32_e32 v12, 0
	v_mov_b32_e32 v16, 0
	v_mov_b32_e32 v14, 0
	s_and_saveexec_b64 s[8:9], s[0:1]
	s_cbranch_execz .LBB171_22
; %bb.13:
	v_or_b32_e32 v9, 8, v0
	v_subrev_co_u32_e32 v9, vcc, s16, v9
	v_subb_co_u32_e64 v10, s[2:3], 0, 0, vcc
	v_add_co_u32_e32 v9, vcc, v9, v28
	v_addc_co_u32_e32 v10, vcc, v10, v29, vcc
	v_cmp_gt_i64_e32 vcc, v[9:10], v[24:25]
	v_not_b32_e32 v12, v28
	v_cndmask_b32_e32 v10, v25, v10, vcc
	v_cndmask_b32_e32 v9, v24, v9, vcc
	v_sub_co_u32_e32 v13, vcc, s16, v0
	v_not_b32_e32 v11, v29
	v_subb_co_u32_e64 v14, s[2:3], 0, 0, vcc
	v_add_co_u32_e32 v12, vcc, v13, v12
	v_addc_co_u32_e32 v11, vcc, v14, v11, vcc
	v_add_co_u32_e32 v34, vcc, v12, v9
	v_addc_co_u32_e32 v35, vcc, v11, v10, vcc
	v_and_b32_e32 v9, 24, v34
	v_mov_b32_e32 v10, 0
	v_cmp_ne_u64_e32 vcc, 24, v[9:10]
	v_mov_b32_e32 v13, 0
	v_mov_b32_e32 v15, 0
	;; [unrolled: 1-line block ×20, first 2 shown]
	s_and_saveexec_b64 s[10:11], vcc
	s_cbranch_execz .LBB171_17
; %bb.14:
	v_lshrrev_b32_e32 v9, 3, v34
	v_add_u32_e32 v9, 1, v9
	v_and_b32_e32 v11, 3, v9
	v_lshlrev_b64 v[9:10], 2, v[22:23]
	v_mov_b32_e32 v12, s13
	v_add_co_u32_e32 v40, vcc, s12, v9
	v_addc_co_u32_e32 v41, vcc, v12, v10, vcc
	v_sub_co_u32_e32 v42, vcc, 0, v11
	v_mov_b32_e32 v19, 0
	v_mov_b32_e32 v31, v23
	;; [unrolled: 1-line block ×10, first 2 shown]
	s_mov_b64 s[14:15], 0
	v_subb_co_u32_e64 v43, s[2:3], 0, 0, vcc
	v_mov_b32_e32 v20, 0
	s_movk_i32 s17, 0x400
	v_mov_b32_e32 v44, s7
	v_mov_b32_e32 v30, v22
	;; [unrolled: 1-line block ×10, first 2 shown]
.LBB171_15:                             ; =>This Inner Loop Header: Depth=1
	global_load_dword v53, v[40:41], off
	global_load_dwordx4 v[45:48], v[32:33], off
	global_load_dwordx4 v[49:52], v[32:33], off offset:32
	v_add_co_u32_e64 v30, s[2:3], 8, v30
	v_addc_co_u32_e64 v31, s[2:3], 0, v31, s[2:3]
	v_add_co_u32_e64 v40, s[2:3], 32, v40
	v_addc_co_u32_e64 v41, s[2:3], 0, v41, s[2:3]
	;; [unrolled: 2-line block ×3, first 2 shown]
	v_cmp_eq_u64_e64 s[2:3], 0, v[42:43]
	s_or_b64 s[14:15], s[2:3], s[14:15]
	s_waitcnt vmcnt(2)
	v_subrev_u32_e32 v53, s16, v53
	v_lshlrev_b32_e32 v53, 2, v53
	v_ashrrev_i32_e32 v54, 31, v53
	v_lshlrev_b64 v[53:54], 4, v[53:54]
	s_waitcnt vmcnt(1)
	v_cvt_f64_f32_e32 v[57:58], v45
	v_add_co_u32_e32 v59, vcc, s6, v53
	v_addc_co_u32_e32 v60, vcc, v44, v54, vcc
	global_load_dwordx4 v[53:56], v[59:60], off
	v_cvt_f64_f32_e32 v[45:46], v46
	s_waitcnt vmcnt(0)
	v_fma_f64 v[17:18], v[57:58], v[53:54], v[17:18]
	v_fma_f64 v[19:20], v[45:46], v[53:54], v[19:20]
	v_fma_f64 v[45:46], -v[45:46], v[55:56], v[17:18]
	v_cvt_f64_f32_e32 v[17:18], v49
	v_fma_f64 v[57:58], v[57:58], v[55:56], v[19:20]
	v_cvt_f64_f32_e32 v[19:20], v50
	v_fma_f64 v[38:39], v[17:18], v[53:54], v[38:39]
	v_fma_f64 v[36:37], v[19:20], v[53:54], v[36:37]
	v_fma_f64 v[38:39], -v[19:20], v[55:56], v[38:39]
	v_fma_f64 v[36:37], v[17:18], v[55:56], v[36:37]
	global_load_dwordx4 v[17:20], v[32:33], off offset:64
	s_waitcnt vmcnt(0)
	v_cvt_f64_f32_e32 v[49:50], v17
	v_cvt_f64_f32_e32 v[17:18], v18
	v_fma_f64 v[11:12], v[49:50], v[53:54], v[11:12]
	v_fma_f64 v[9:10], v[17:18], v[53:54], v[9:10]
	v_fma_f64 v[17:18], -v[17:18], v[55:56], v[11:12]
	v_fma_f64 v[49:50], v[49:50], v[55:56], v[9:10]
	global_load_dwordx4 v[9:12], v[32:33], off offset:96
	s_waitcnt vmcnt(0)
	v_cvt_f64_f32_e32 v[61:62], v9
	v_cvt_f64_f32_e32 v[9:10], v10
	;; [unrolled: 1-line block ×4, first 2 shown]
	v_fma_f64 v[13:14], v[61:62], v[53:54], v[13:14]
	v_fma_f64 v[15:16], v[9:10], v[53:54], v[15:16]
	v_fma_f64 v[53:54], -v[9:10], v[55:56], v[13:14]
	global_load_dwordx4 v[9:12], v[59:60], off offset:16
	v_fma_f64 v[55:56], v[61:62], v[55:56], v[15:16]
	v_cvt_f64_f32_e32 v[13:14], v47
	v_cvt_f64_f32_e32 v[15:16], v48
	;; [unrolled: 1-line block ×6, first 2 shown]
	s_waitcnt vmcnt(0)
	v_fma_f64 v[45:46], v[13:14], v[9:10], v[45:46]
	v_fma_f64 v[57:58], v[15:16], v[9:10], v[57:58]
	;; [unrolled: 1-line block ×3, first 2 shown]
	v_fma_f64 v[45:46], -v[15:16], v[11:12], v[45:46]
	v_fma_f64 v[57:58], v[13:14], v[11:12], v[57:58]
	v_fma_f64 v[13:14], v[47:48], v[9:10], v[38:39]
	;; [unrolled: 1-line block ×3, first 2 shown]
	v_fma_f64 v[36:37], -v[51:52], v[11:12], v[13:14]
	v_fma_f64 v[38:39], v[47:48], v[11:12], v[15:16]
	v_fma_f64 v[47:48], v[19:20], v[9:10], v[49:50]
	;; [unrolled: 1-line block ×4, first 2 shown]
	global_load_dwordx4 v[13:16], v[32:33], off offset:16
	v_fma_f64 v[49:50], -v[19:20], v[11:12], v[17:18]
	global_load_dwordx4 v[17:20], v[32:33], off offset:48
	v_fma_f64 v[47:48], v[61:62], v[11:12], v[47:48]
	v_fma_f64 v[51:52], -v[65:66], v[11:12], v[51:52]
	v_fma_f64 v[55:56], v[63:64], v[11:12], v[9:10]
	global_load_dwordx4 v[9:12], v[59:60], off offset:32
	s_waitcnt vmcnt(2)
	v_cvt_f64_f32_e32 v[53:54], v13
	v_cvt_f64_f32_e32 v[13:14], v14
	s_waitcnt vmcnt(0)
	v_fma_f64 v[45:46], v[53:54], v[9:10], v[45:46]
	v_fma_f64 v[57:58], v[13:14], v[9:10], v[57:58]
	v_fma_f64 v[61:62], -v[13:14], v[11:12], v[45:46]
	v_cvt_f64_f32_e32 v[13:14], v17
	v_cvt_f64_f32_e32 v[17:18], v18
	v_fma_f64 v[53:54], v[53:54], v[11:12], v[57:58]
	v_fma_f64 v[36:37], v[13:14], v[9:10], v[36:37]
	;; [unrolled: 1-line block ×3, first 2 shown]
	v_fma_f64 v[57:58], -v[17:18], v[11:12], v[36:37]
	v_fma_f64 v[63:64], v[13:14], v[11:12], v[38:39]
	global_load_dwordx4 v[36:39], v[32:33], off offset:80
	s_waitcnt vmcnt(0)
	v_cvt_f64_f32_e32 v[13:14], v36
	v_cvt_f64_f32_e32 v[36:37], v37
	;; [unrolled: 1-line block ×4, first 2 shown]
	v_fma_f64 v[17:18], v[13:14], v[9:10], v[49:50]
	v_fma_f64 v[45:46], v[36:37], v[9:10], v[47:48]
	v_fma_f64 v[36:37], -v[36:37], v[11:12], v[17:18]
	v_fma_f64 v[49:50], v[13:14], v[11:12], v[45:46]
	global_load_dwordx4 v[45:48], v[32:33], off offset:112
	v_add_co_u32_e32 v32, vcc, s17, v32
	v_addc_co_u32_e32 v33, vcc, 0, v33, vcc
	s_waitcnt vmcnt(0)
	v_cvt_f64_f32_e32 v[13:14], v45
	v_cvt_f64_f32_e32 v[45:46], v46
	v_cvt_f64_f32_e32 v[69:70], v47
	v_cvt_f64_f32_e32 v[47:48], v48
	v_fma_f64 v[17:18], v[13:14], v[9:10], v[51:52]
	v_fma_f64 v[9:10], v[45:46], v[9:10], v[55:56]
	v_cvt_f64_f32_e32 v[51:52], v19
	v_cvt_f64_f32_e32 v[55:56], v20
	v_fma_f64 v[45:46], -v[45:46], v[11:12], v[17:18]
	v_fma_f64 v[9:10], v[13:14], v[11:12], v[9:10]
	v_cvt_f64_f32_e32 v[11:12], v15
	v_cvt_f64_f32_e32 v[17:18], v16
	global_load_dwordx4 v[13:16], v[59:60], off offset:48
	s_waitcnt vmcnt(0)
	v_fma_f64 v[19:20], v[11:12], v[13:14], v[61:62]
	v_fma_f64 v[38:39], v[17:18], v[13:14], v[53:54]
	;; [unrolled: 1-line block ×8, first 2 shown]
	v_fma_f64 v[17:18], -v[17:18], v[15:16], v[19:20]
	v_fma_f64 v[19:20], v[11:12], v[15:16], v[38:39]
	v_fma_f64 v[38:39], -v[55:56], v[15:16], v[53:54]
	v_fma_f64 v[36:37], v[51:52], v[15:16], v[57:58]
	;; [unrolled: 2-line block ×4, first 2 shown]
	s_andn2_b64 exec, exec, s[14:15]
	s_cbranch_execnz .LBB171_15
; %bb.16:
	s_or_b64 exec, exec, s[14:15]
.LBB171_17:
	s_or_b64 exec, exec, s[10:11]
	v_cmp_lt_u64_e32 vcc, 23, v[34:35]
	s_and_saveexec_b64 s[2:3], vcc
	s_cbranch_execz .LBB171_21
; %bb.18:
	v_lshlrev_b64 v[34:35], 2, v[30:31]
	v_mov_b32_e32 v40, s13
	v_add_co_u32_e32 v34, vcc, s12, v34
	v_addc_co_u32_e32 v35, vcc, v40, v35, vcc
	v_add_co_u32_e32 v34, vcc, 64, v34
	v_addc_co_u32_e32 v35, vcc, 0, v35, vcc
	s_mov_b64 s[10:11], 0
	v_mov_b32_e32 v54, s7
	s_movk_i32 s14, 0x1000
.LBB171_19:                             ; =>This Inner Loop Header: Depth=1
	global_load_dword v40, v[34:35], off offset:-64
	s_waitcnt vmcnt(0)
	v_subrev_u32_e32 v40, s16, v40
	v_lshlrev_b32_e32 v52, 2, v40
	v_ashrrev_i32_e32 v53, 31, v52
	global_load_dwordx4 v[40:43], v[32:33], off offset:48
	global_load_dwordx4 v[44:47], v[32:33], off offset:32
	;; [unrolled: 1-line block ×3, first 2 shown]
	global_load_dwordx4 v[55:58], v[32:33], off
	v_lshlrev_b64 v[52:53], 4, v[52:53]
	v_add_co_u32_e32 v52, vcc, s6, v52
	v_addc_co_u32_e32 v53, vcc, v54, v53, vcc
	global_load_dwordx4 v[59:62], v[52:53], off offset:48
	global_load_dwordx4 v[63:66], v[52:53], off offset:32
	;; [unrolled: 1-line block ×3, first 2 shown]
	global_load_dwordx4 v[71:74], v[52:53], off
	s_waitcnt vmcnt(4)
	v_cvt_f64_f32_e32 v[75:76], v55
	v_cvt_f64_f32_e32 v[55:56], v56
	;; [unrolled: 1-line block ×3, first 2 shown]
	s_waitcnt vmcnt(0)
	v_fma_f64 v[17:18], v[75:76], v[71:72], v[17:18]
	v_fma_f64 v[19:20], v[55:56], v[71:72], v[19:20]
	v_fma_f64 v[17:18], -v[55:56], v[73:74], v[17:18]
	v_fma_f64 v[19:20], v[75:76], v[73:74], v[19:20]
	v_cvt_f64_f32_e32 v[55:56], v58
	v_fma_f64 v[17:18], v[52:53], v[67:68], v[17:18]
	v_fma_f64 v[19:20], v[55:56], v[67:68], v[19:20]
	v_fma_f64 v[17:18], -v[55:56], v[69:70], v[17:18]
	v_fma_f64 v[19:20], v[52:53], v[69:70], v[19:20]
	v_cvt_f64_f32_e32 v[52:53], v48
	v_cvt_f64_f32_e32 v[48:49], v49
	v_fma_f64 v[17:18], v[52:53], v[63:64], v[17:18]
	v_fma_f64 v[19:20], v[48:49], v[63:64], v[19:20]
	v_fma_f64 v[17:18], -v[48:49], v[65:66], v[17:18]
	v_cvt_f64_f32_e32 v[48:49], v50
	v_fma_f64 v[19:20], v[52:53], v[65:66], v[19:20]
	v_cvt_f64_f32_e32 v[50:51], v51
	v_fma_f64 v[17:18], v[48:49], v[59:60], v[17:18]
	v_fma_f64 v[52:53], -v[50:51], v[61:62], v[17:18]
	v_fma_f64 v[17:18], v[50:51], v[59:60], v[19:20]
	v_cvt_f64_f32_e32 v[19:20], v45
	v_fma_f64 v[75:76], v[48:49], v[61:62], v[17:18]
	v_cvt_f64_f32_e32 v[17:18], v44
	v_fma_f64 v[38:39], v[17:18], v[71:72], v[38:39]
	v_fma_f64 v[38:39], -v[19:20], v[73:74], v[38:39]
	v_fma_f64 v[19:20], v[19:20], v[71:72], v[36:37]
	v_cvt_f64_f32_e32 v[36:37], v47
	v_fma_f64 v[17:18], v[17:18], v[73:74], v[19:20]
	v_cvt_f64_f32_e32 v[19:20], v46
	v_fma_f64 v[38:39], v[19:20], v[67:68], v[38:39]
	v_fma_f64 v[17:18], v[36:37], v[67:68], v[17:18]
	v_fma_f64 v[38:39], -v[36:37], v[69:70], v[38:39]
	v_cvt_f64_f32_e32 v[36:37], v41
	v_fma_f64 v[17:18], v[19:20], v[69:70], v[17:18]
	v_cvt_f64_f32_e32 v[19:20], v40
	v_fma_f64 v[38:39], v[19:20], v[63:64], v[38:39]
	v_fma_f64 v[17:18], v[36:37], v[63:64], v[17:18]
	v_fma_f64 v[38:39], -v[36:37], v[65:66], v[38:39]
	;; [unrolled: 6-line block ×3, first 2 shown]
	v_fma_f64 v[79:80], v[19:20], v[61:62], v[17:18]
	global_load_dwordx4 v[17:20], v[32:33], off offset:112
	global_load_dwordx4 v[36:39], v[32:33], off offset:96
	;; [unrolled: 1-line block ×4, first 2 shown]
	s_waitcnt vmcnt(0)
	v_cvt_f64_f32_e32 v[48:49], v44
	v_cvt_f64_f32_e32 v[44:45], v45
	v_fma_f64 v[11:12], v[48:49], v[71:72], v[11:12]
	v_fma_f64 v[9:10], v[44:45], v[71:72], v[9:10]
	v_fma_f64 v[11:12], -v[44:45], v[73:74], v[11:12]
	v_fma_f64 v[9:10], v[48:49], v[73:74], v[9:10]
	v_cvt_f64_f32_e32 v[44:45], v46
	v_cvt_f64_f32_e32 v[46:47], v47
	v_fma_f64 v[11:12], v[44:45], v[67:68], v[11:12]
	v_fma_f64 v[9:10], v[46:47], v[67:68], v[9:10]
	v_fma_f64 v[11:12], -v[46:47], v[69:70], v[11:12]
	v_fma_f64 v[9:10], v[44:45], v[69:70], v[9:10]
	;; [unrolled: 6-line block ×4, first 2 shown]
	v_cvt_f64_f32_e32 v[9:10], v36
	v_cvt_f64_f32_e32 v[11:12], v37
	v_fma_f64 v[13:14], v[9:10], v[71:72], v[13:14]
	v_fma_f64 v[13:14], -v[11:12], v[73:74], v[13:14]
	v_fma_f64 v[11:12], v[11:12], v[71:72], v[15:16]
	v_cvt_f64_f32_e32 v[15:16], v39
	v_fma_f64 v[9:10], v[9:10], v[73:74], v[11:12]
	v_cvt_f64_f32_e32 v[11:12], v38
	v_fma_f64 v[13:14], v[11:12], v[67:68], v[13:14]
	v_fma_f64 v[9:10], v[15:16], v[67:68], v[9:10]
	v_fma_f64 v[13:14], -v[15:16], v[69:70], v[13:14]
	v_cvt_f64_f32_e32 v[15:16], v18
	v_fma_f64 v[9:10], v[11:12], v[69:70], v[9:10]
	v_cvt_f64_f32_e32 v[11:12], v17
	v_fma_f64 v[13:14], v[11:12], v[63:64], v[13:14]
	v_fma_f64 v[9:10], v[15:16], v[63:64], v[9:10]
	v_fma_f64 v[13:14], -v[15:16], v[65:66], v[13:14]
	;; [unrolled: 6-line block ×3, first 2 shown]
	v_fma_f64 v[59:60], v[11:12], v[61:62], v[9:10]
	global_load_dword v9, v[34:35], off offset:-32
	s_waitcnt vmcnt(0)
	v_subrev_u32_e32 v9, s16, v9
	v_lshlrev_b32_e32 v40, 2, v9
	v_ashrrev_i32_e32 v41, 31, v40
	global_load_dwordx4 v[9:12], v[32:33], off offset:1072
	global_load_dwordx4 v[13:16], v[32:33], off offset:1056
	;; [unrolled: 1-line block ×4, first 2 shown]
	v_lshlrev_b64 v[40:41], 4, v[40:41]
	v_add_co_u32_e32 v65, vcc, s6, v40
	v_addc_co_u32_e32 v66, vcc, v54, v41, vcc
	global_load_dwordx4 v[40:43], v[65:66], off offset:48
	global_load_dwordx4 v[44:47], v[65:66], off offset:32
	;; [unrolled: 1-line block ×3, first 2 shown]
	global_load_dwordx4 v[55:58], v[65:66], off
	s_waitcnt vmcnt(4)
	v_cvt_f64_f32_e32 v[61:62], v36
	v_cvt_f64_f32_e32 v[36:37], v37
	s_waitcnt vmcnt(0)
	v_fma_f64 v[52:53], v[61:62], v[55:56], v[52:53]
	v_fma_f64 v[52:53], -v[36:37], v[57:58], v[52:53]
	v_fma_f64 v[36:37], v[36:37], v[55:56], v[75:76]
	v_fma_f64 v[36:37], v[61:62], v[57:58], v[36:37]
	v_cvt_f64_f32_e32 v[61:62], v38
	v_cvt_f64_f32_e32 v[38:39], v39
	v_fma_f64 v[52:53], v[61:62], v[48:49], v[52:53]
	v_fma_f64 v[36:37], v[38:39], v[48:49], v[36:37]
	v_fma_f64 v[52:53], -v[38:39], v[50:51], v[52:53]
	v_cvt_f64_f32_e32 v[38:39], v17
	v_cvt_f64_f32_e32 v[17:18], v18
	v_fma_f64 v[36:37], v[61:62], v[50:51], v[36:37]
	v_fma_f64 v[52:53], v[38:39], v[44:45], v[52:53]
	v_fma_f64 v[52:53], -v[17:18], v[46:47], v[52:53]
	v_fma_f64 v[17:18], v[17:18], v[44:45], v[36:37]
	v_cvt_f64_f32_e32 v[36:37], v19
	v_cvt_f64_f32_e32 v[19:20], v20
	v_fma_f64 v[17:18], v[38:39], v[46:47], v[17:18]
	v_fma_f64 v[38:39], v[36:37], v[40:41], v[52:53]
	;; [unrolled: 1-line block ×3, first 2 shown]
	v_fma_f64 v[52:53], -v[19:20], v[42:43], v[38:39]
	v_fma_f64 v[67:68], v[36:37], v[42:43], v[17:18]
	v_cvt_f64_f32_e32 v[17:18], v13
	v_cvt_f64_f32_e32 v[13:14], v14
	v_fma_f64 v[19:20], v[17:18], v[55:56], v[77:78]
	v_fma_f64 v[19:20], -v[13:14], v[57:58], v[19:20]
	v_fma_f64 v[13:14], v[13:14], v[55:56], v[79:80]
	v_fma_f64 v[13:14], v[17:18], v[57:58], v[13:14]
	v_cvt_f64_f32_e32 v[17:18], v15
	v_cvt_f64_f32_e32 v[15:16], v16
	v_fma_f64 v[19:20], v[17:18], v[48:49], v[19:20]
	v_fma_f64 v[13:14], v[15:16], v[48:49], v[13:14]
	v_fma_f64 v[19:20], -v[15:16], v[50:51], v[19:20]
	v_cvt_f64_f32_e32 v[15:16], v9
	v_cvt_f64_f32_e32 v[9:10], v10
	v_fma_f64 v[13:14], v[17:18], v[50:51], v[13:14]
	v_fma_f64 v[17:18], v[15:16], v[44:45], v[19:20]
	v_fma_f64 v[17:18], -v[9:10], v[46:47], v[17:18]
	v_fma_f64 v[9:10], v[9:10], v[44:45], v[13:14]
	v_cvt_f64_f32_e32 v[13:14], v11
	v_cvt_f64_f32_e32 v[11:12], v12
	v_fma_f64 v[9:10], v[15:16], v[46:47], v[9:10]
	v_fma_f64 v[15:16], v[13:14], v[40:41], v[17:18]
	;; [unrolled: 1-line block ×3, first 2 shown]
	v_fma_f64 v[69:70], -v[11:12], v[42:43], v[15:16]
	v_fma_f64 v[71:72], v[13:14], v[42:43], v[9:10]
	global_load_dwordx4 v[9:12], v[32:33], off offset:1136
	global_load_dwordx4 v[13:16], v[32:33], off offset:1120
	;; [unrolled: 1-line block ×4, first 2 shown]
	s_waitcnt vmcnt(0)
	v_cvt_f64_f32_e32 v[61:62], v36
	v_cvt_f64_f32_e32 v[36:37], v37
	v_fma_f64 v[65:66], v[61:62], v[55:56], v[81:82]
	v_fma_f64 v[65:66], -v[36:37], v[57:58], v[65:66]
	v_fma_f64 v[36:37], v[36:37], v[55:56], v[83:84]
	v_fma_f64 v[36:37], v[61:62], v[57:58], v[36:37]
	v_cvt_f64_f32_e32 v[61:62], v38
	v_cvt_f64_f32_e32 v[38:39], v39
	v_fma_f64 v[65:66], v[61:62], v[48:49], v[65:66]
	v_fma_f64 v[36:37], v[38:39], v[48:49], v[36:37]
	v_fma_f64 v[65:66], -v[38:39], v[50:51], v[65:66]
	v_cvt_f64_f32_e32 v[38:39], v17
	v_cvt_f64_f32_e32 v[17:18], v18
	v_fma_f64 v[36:37], v[61:62], v[50:51], v[36:37]
	v_fma_f64 v[61:62], v[38:39], v[44:45], v[65:66]
	v_fma_f64 v[61:62], -v[17:18], v[46:47], v[61:62]
	v_fma_f64 v[17:18], v[17:18], v[44:45], v[36:37]
	v_cvt_f64_f32_e32 v[36:37], v19
	v_cvt_f64_f32_e32 v[19:20], v20
	v_fma_f64 v[17:18], v[38:39], v[46:47], v[17:18]
	v_fma_f64 v[38:39], v[36:37], v[40:41], v[61:62]
	;; [unrolled: 1-line block ×3, first 2 shown]
	v_fma_f64 v[73:74], -v[19:20], v[42:43], v[38:39]
	v_fma_f64 v[75:76], v[36:37], v[42:43], v[17:18]
	v_cvt_f64_f32_e32 v[17:18], v13
	v_cvt_f64_f32_e32 v[13:14], v14
	v_fma_f64 v[19:20], v[17:18], v[55:56], v[63:64]
	v_fma_f64 v[19:20], -v[13:14], v[57:58], v[19:20]
	v_fma_f64 v[13:14], v[13:14], v[55:56], v[59:60]
	v_fma_f64 v[13:14], v[17:18], v[57:58], v[13:14]
	v_cvt_f64_f32_e32 v[17:18], v15
	v_cvt_f64_f32_e32 v[15:16], v16
	v_fma_f64 v[19:20], v[17:18], v[48:49], v[19:20]
	v_fma_f64 v[13:14], v[15:16], v[48:49], v[13:14]
	v_fma_f64 v[19:20], -v[15:16], v[50:51], v[19:20]
	v_cvt_f64_f32_e32 v[15:16], v9
	v_cvt_f64_f32_e32 v[9:10], v10
	v_fma_f64 v[13:14], v[17:18], v[50:51], v[13:14]
	v_fma_f64 v[17:18], v[15:16], v[44:45], v[19:20]
	v_fma_f64 v[17:18], -v[9:10], v[46:47], v[17:18]
	v_fma_f64 v[9:10], v[9:10], v[44:45], v[13:14]
	v_cvt_f64_f32_e32 v[13:14], v11
	v_cvt_f64_f32_e32 v[11:12], v12
	v_fma_f64 v[9:10], v[15:16], v[46:47], v[9:10]
	v_fma_f64 v[15:16], v[13:14], v[40:41], v[17:18]
	;; [unrolled: 1-line block ×3, first 2 shown]
	v_fma_f64 v[77:78], -v[11:12], v[42:43], v[15:16]
	v_fma_f64 v[79:80], v[13:14], v[42:43], v[9:10]
	global_load_dword v9, v[34:35], off
	s_waitcnt vmcnt(0)
	v_subrev_u32_e32 v9, s16, v9
	v_lshlrev_b32_e32 v40, 2, v9
	v_ashrrev_i32_e32 v41, 31, v40
	global_load_dwordx4 v[9:12], v[32:33], off offset:2096
	global_load_dwordx4 v[13:16], v[32:33], off offset:2080
	;; [unrolled: 1-line block ×4, first 2 shown]
	v_lshlrev_b64 v[40:41], 4, v[40:41]
	v_add_co_u32_e32 v46, vcc, s6, v40
	v_addc_co_u32_e32 v47, vcc, v54, v41, vcc
	global_load_dwordx4 v[55:58], v[46:47], off offset:48
	global_load_dwordx4 v[40:43], v[46:47], off offset:32
	global_load_dwordx4 v[59:62], v[46:47], off offset:16
	global_load_dwordx4 v[63:66], v[46:47], off
	s_waitcnt vmcnt(4)
	v_cvt_f64_f32_e32 v[44:45], v36
	v_cvt_f64_f32_e32 v[36:37], v37
	s_waitcnt vmcnt(0)
	v_fma_f64 v[46:47], v[44:45], v[63:64], v[52:53]
	v_fma_f64 v[46:47], -v[36:37], v[65:66], v[46:47]
	v_fma_f64 v[36:37], v[36:37], v[63:64], v[67:68]
	v_fma_f64 v[36:37], v[44:45], v[65:66], v[36:37]
	v_cvt_f64_f32_e32 v[44:45], v38
	v_cvt_f64_f32_e32 v[38:39], v39
	v_fma_f64 v[46:47], v[44:45], v[59:60], v[46:47]
	v_fma_f64 v[36:37], v[38:39], v[59:60], v[36:37]
	v_fma_f64 v[46:47], -v[38:39], v[61:62], v[46:47]
	v_cvt_f64_f32_e32 v[38:39], v17
	v_cvt_f64_f32_e32 v[17:18], v18
	v_fma_f64 v[36:37], v[44:45], v[61:62], v[36:37]
	v_fma_f64 v[44:45], v[38:39], v[40:41], v[46:47]
	v_fma_f64 v[44:45], -v[17:18], v[42:43], v[44:45]
	v_fma_f64 v[17:18], v[17:18], v[40:41], v[36:37]
	v_cvt_f64_f32_e32 v[36:37], v19
	v_cvt_f64_f32_e32 v[19:20], v20
	v_fma_f64 v[17:18], v[38:39], v[42:43], v[17:18]
	v_fma_f64 v[38:39], v[36:37], v[55:56], v[44:45]
	;; [unrolled: 1-line block ×3, first 2 shown]
	v_fma_f64 v[48:49], -v[19:20], v[57:58], v[38:39]
	v_fma_f64 v[50:51], v[36:37], v[57:58], v[17:18]
	v_cvt_f64_f32_e32 v[17:18], v13
	v_cvt_f64_f32_e32 v[13:14], v14
	v_fma_f64 v[19:20], v[17:18], v[63:64], v[69:70]
	v_fma_f64 v[19:20], -v[13:14], v[65:66], v[19:20]
	v_fma_f64 v[13:14], v[13:14], v[63:64], v[71:72]
	v_fma_f64 v[13:14], v[17:18], v[65:66], v[13:14]
	v_cvt_f64_f32_e32 v[17:18], v15
	v_cvt_f64_f32_e32 v[15:16], v16
	v_fma_f64 v[19:20], v[17:18], v[59:60], v[19:20]
	v_fma_f64 v[13:14], v[15:16], v[59:60], v[13:14]
	v_fma_f64 v[19:20], -v[15:16], v[61:62], v[19:20]
	v_cvt_f64_f32_e32 v[15:16], v9
	v_cvt_f64_f32_e32 v[9:10], v10
	v_fma_f64 v[13:14], v[17:18], v[61:62], v[13:14]
	v_fma_f64 v[17:18], v[15:16], v[40:41], v[19:20]
	v_fma_f64 v[17:18], -v[9:10], v[42:43], v[17:18]
	v_fma_f64 v[9:10], v[9:10], v[40:41], v[13:14]
	v_cvt_f64_f32_e32 v[13:14], v11
	v_cvt_f64_f32_e32 v[11:12], v12
	v_fma_f64 v[9:10], v[15:16], v[42:43], v[9:10]
	v_fma_f64 v[15:16], v[13:14], v[55:56], v[17:18]
	;; [unrolled: 1-line block ×3, first 2 shown]
	v_fma_f64 v[36:37], -v[11:12], v[57:58], v[15:16]
	v_fma_f64 v[38:39], v[13:14], v[57:58], v[9:10]
	global_load_dwordx4 v[9:12], v[32:33], off offset:2160
	global_load_dwordx4 v[13:16], v[32:33], off offset:2144
	;; [unrolled: 1-line block ×4, first 2 shown]
	s_waitcnt vmcnt(0)
	v_cvt_f64_f32_e32 v[52:53], v44
	v_cvt_f64_f32_e32 v[44:45], v45
	v_fma_f64 v[67:68], v[52:53], v[63:64], v[73:74]
	v_fma_f64 v[67:68], -v[44:45], v[65:66], v[67:68]
	v_fma_f64 v[44:45], v[44:45], v[63:64], v[75:76]
	v_fma_f64 v[44:45], v[52:53], v[65:66], v[44:45]
	v_cvt_f64_f32_e32 v[52:53], v46
	v_cvt_f64_f32_e32 v[46:47], v47
	v_fma_f64 v[67:68], v[52:53], v[59:60], v[67:68]
	v_fma_f64 v[44:45], v[46:47], v[59:60], v[44:45]
	v_fma_f64 v[67:68], -v[46:47], v[61:62], v[67:68]
	v_cvt_f64_f32_e32 v[46:47], v17
	v_cvt_f64_f32_e32 v[17:18], v18
	v_fma_f64 v[44:45], v[52:53], v[61:62], v[44:45]
	v_fma_f64 v[52:53], v[46:47], v[40:41], v[67:68]
	v_fma_f64 v[52:53], -v[17:18], v[42:43], v[52:53]
	v_fma_f64 v[17:18], v[17:18], v[40:41], v[44:45]
	v_fma_f64 v[17:18], v[46:47], v[42:43], v[17:18]
	v_cvt_f64_f32_e32 v[46:47], v19
	v_cvt_f64_f32_e32 v[19:20], v20
	v_fma_f64 v[44:45], v[46:47], v[55:56], v[52:53]
	v_fma_f64 v[17:18], v[19:20], v[55:56], v[17:18]
	v_fma_f64 v[44:45], -v[19:20], v[57:58], v[44:45]
	v_fma_f64 v[46:47], v[46:47], v[57:58], v[17:18]
	v_cvt_f64_f32_e32 v[17:18], v13
	v_cvt_f64_f32_e32 v[13:14], v14
	v_fma_f64 v[19:20], v[17:18], v[63:64], v[77:78]
	v_fma_f64 v[19:20], -v[13:14], v[65:66], v[19:20]
	v_fma_f64 v[13:14], v[13:14], v[63:64], v[79:80]
	v_fma_f64 v[13:14], v[17:18], v[65:66], v[13:14]
	v_cvt_f64_f32_e32 v[17:18], v15
	v_cvt_f64_f32_e32 v[15:16], v16
	v_fma_f64 v[19:20], v[17:18], v[59:60], v[19:20]
	v_fma_f64 v[13:14], v[15:16], v[59:60], v[13:14]
	v_fma_f64 v[19:20], -v[15:16], v[61:62], v[19:20]
	v_cvt_f64_f32_e32 v[15:16], v9
	v_cvt_f64_f32_e32 v[9:10], v10
	v_fma_f64 v[13:14], v[17:18], v[61:62], v[13:14]
	v_fma_f64 v[17:18], v[15:16], v[40:41], v[19:20]
	v_fma_f64 v[17:18], -v[9:10], v[42:43], v[17:18]
	v_fma_f64 v[9:10], v[9:10], v[40:41], v[13:14]
	v_cvt_f64_f32_e32 v[13:14], v11
	v_cvt_f64_f32_e32 v[11:12], v12
	v_fma_f64 v[9:10], v[15:16], v[42:43], v[9:10]
	v_fma_f64 v[15:16], v[13:14], v[55:56], v[17:18]
	;; [unrolled: 1-line block ×3, first 2 shown]
	v_fma_f64 v[40:41], -v[11:12], v[57:58], v[15:16]
	v_fma_f64 v[42:43], v[13:14], v[57:58], v[9:10]
	global_load_dword v9, v[34:35], off offset:32
	s_waitcnt vmcnt(0)
	v_subrev_u32_e32 v9, s16, v9
	v_lshlrev_b32_e32 v52, 2, v9
	v_ashrrev_i32_e32 v53, 31, v52
	global_load_dwordx4 v[9:12], v[32:33], off offset:3120
	global_load_dwordx4 v[13:16], v[32:33], off offset:3104
	;; [unrolled: 1-line block ×4, first 2 shown]
	v_lshlrev_b64 v[52:53], 4, v[52:53]
	v_add_co_u32_e32 v52, vcc, s6, v52
	v_addc_co_u32_e32 v53, vcc, v54, v53, vcc
	global_load_dwordx4 v[59:62], v[52:53], off offset:48
	global_load_dwordx4 v[63:66], v[52:53], off offset:32
	;; [unrolled: 1-line block ×3, first 2 shown]
	global_load_dwordx4 v[71:74], v[52:53], off
	s_waitcnt vmcnt(4)
	v_cvt_f64_f32_e32 v[75:76], v55
	v_cvt_f64_f32_e32 v[55:56], v56
	;; [unrolled: 1-line block ×3, first 2 shown]
	s_waitcnt vmcnt(0)
	v_fma_f64 v[48:49], v[75:76], v[71:72], v[48:49]
	v_fma_f64 v[50:51], v[55:56], v[71:72], v[50:51]
	v_fma_f64 v[48:49], -v[55:56], v[73:74], v[48:49]
	v_fma_f64 v[50:51], v[75:76], v[73:74], v[50:51]
	v_cvt_f64_f32_e32 v[55:56], v58
	v_fma_f64 v[48:49], v[52:53], v[67:68], v[48:49]
	v_fma_f64 v[50:51], v[55:56], v[67:68], v[50:51]
	v_fma_f64 v[48:49], -v[55:56], v[69:70], v[48:49]
	v_fma_f64 v[50:51], v[52:53], v[69:70], v[50:51]
	v_cvt_f64_f32_e32 v[52:53], v17
	v_cvt_f64_f32_e32 v[17:18], v18
	v_fma_f64 v[48:49], v[52:53], v[63:64], v[48:49]
	v_fma_f64 v[48:49], -v[17:18], v[65:66], v[48:49]
	v_fma_f64 v[17:18], v[17:18], v[63:64], v[50:51]
	v_fma_f64 v[50:51], v[52:53], v[65:66], v[17:18]
	v_cvt_f64_f32_e32 v[52:53], v19
	v_cvt_f64_f32_e32 v[19:20], v20
	v_fma_f64 v[17:18], v[52:53], v[59:60], v[48:49]
	v_cvt_f64_f32_e32 v[48:49], v13
	v_cvt_f64_f32_e32 v[13:14], v14
	v_fma_f64 v[36:37], v[48:49], v[71:72], v[36:37]
	v_fma_f64 v[17:18], -v[19:20], v[61:62], v[17:18]
	v_fma_f64 v[19:20], v[19:20], v[59:60], v[50:51]
	v_fma_f64 v[36:37], -v[13:14], v[73:74], v[36:37]
	v_fma_f64 v[13:14], v[13:14], v[71:72], v[38:39]
	v_cvt_f64_f32_e32 v[38:39], v15
	v_cvt_f64_f32_e32 v[15:16], v16
	v_fma_f64 v[19:20], v[52:53], v[61:62], v[19:20]
	v_fma_f64 v[36:37], v[38:39], v[67:68], v[36:37]
	;; [unrolled: 1-line block ×3, first 2 shown]
	v_fma_f64 v[36:37], -v[15:16], v[69:70], v[36:37]
	v_fma_f64 v[13:14], v[15:16], v[67:68], v[13:14]
	v_cvt_f64_f32_e32 v[15:16], v9
	v_cvt_f64_f32_e32 v[9:10], v10
	v_fma_f64 v[36:37], v[15:16], v[63:64], v[36:37]
	v_fma_f64 v[13:14], v[38:39], v[69:70], v[13:14]
	v_fma_f64 v[36:37], -v[9:10], v[65:66], v[36:37]
	v_fma_f64 v[9:10], v[9:10], v[63:64], v[13:14]
	v_cvt_f64_f32_e32 v[13:14], v11
	v_cvt_f64_f32_e32 v[11:12], v12
	v_fma_f64 v[9:10], v[15:16], v[65:66], v[9:10]
	v_fma_f64 v[15:16], v[13:14], v[59:60], v[36:37]
	;; [unrolled: 1-line block ×3, first 2 shown]
	v_fma_f64 v[38:39], -v[11:12], v[61:62], v[15:16]
	v_fma_f64 v[36:37], v[13:14], v[61:62], v[9:10]
	global_load_dwordx4 v[13:16], v[32:33], off offset:3184
	global_load_dwordx4 v[48:51], v[32:33], off offset:3168
	;; [unrolled: 1-line block ×4, first 2 shown]
	v_add_co_u32_e32 v32, vcc, s14, v32
	v_addc_co_u32_e32 v33, vcc, 0, v33, vcc
	v_add_co_u32_e32 v30, vcc, 32, v30
	v_addc_co_u32_e32 v31, vcc, 0, v31, vcc
	;; [unrolled: 2-line block ×3, first 2 shown]
	v_cmp_ge_i64_e32 vcc, v[30:31], v[24:25]
	s_or_b64 s[10:11], vcc, s[10:11]
	s_waitcnt vmcnt(0)
	v_cvt_f64_f32_e32 v[52:53], v55
	v_cvt_f64_f32_e32 v[55:56], v56
	v_fma_f64 v[44:45], v[52:53], v[71:72], v[44:45]
	v_fma_f64 v[46:47], v[55:56], v[71:72], v[46:47]
	v_fma_f64 v[44:45], -v[55:56], v[73:74], v[44:45]
	v_fma_f64 v[46:47], v[52:53], v[73:74], v[46:47]
	v_cvt_f64_f32_e32 v[52:53], v57
	v_cvt_f64_f32_e32 v[55:56], v58
	v_fma_f64 v[44:45], v[52:53], v[67:68], v[44:45]
	v_fma_f64 v[46:47], v[55:56], v[67:68], v[46:47]
	v_fma_f64 v[44:45], -v[55:56], v[69:70], v[44:45]
	v_fma_f64 v[46:47], v[52:53], v[69:70], v[46:47]
	v_cvt_f64_f32_e32 v[52:53], v9
	v_cvt_f64_f32_e32 v[9:10], v10
	v_fma_f64 v[44:45], v[52:53], v[63:64], v[44:45]
	v_fma_f64 v[44:45], -v[9:10], v[65:66], v[44:45]
	v_fma_f64 v[9:10], v[9:10], v[63:64], v[46:47]
	v_cvt_f64_f32_e32 v[46:47], v11
	v_fma_f64 v[9:10], v[52:53], v[65:66], v[9:10]
	v_cvt_f64_f32_e32 v[52:53], v12
	;; [unrolled: 2-line block ×3, first 2 shown]
	v_fma_f64 v[40:41], v[44:45], v[71:72], v[40:41]
	v_fma_f64 v[9:10], v[52:53], v[59:60], v[9:10]
	v_fma_f64 v[11:12], -v[52:53], v[61:62], v[11:12]
	v_fma_f64 v[9:10], v[46:47], v[61:62], v[9:10]
	v_cvt_f64_f32_e32 v[46:47], v49
	v_fma_f64 v[42:43], v[46:47], v[71:72], v[42:43]
	v_fma_f64 v[40:41], -v[46:47], v[73:74], v[40:41]
	v_cvt_f64_f32_e32 v[46:47], v51
	v_fma_f64 v[42:43], v[44:45], v[73:74], v[42:43]
	v_cvt_f64_f32_e32 v[44:45], v50
	v_fma_f64 v[40:41], v[44:45], v[67:68], v[40:41]
	v_fma_f64 v[42:43], v[46:47], v[67:68], v[42:43]
	v_fma_f64 v[40:41], -v[46:47], v[69:70], v[40:41]
	v_fma_f64 v[42:43], v[44:45], v[69:70], v[42:43]
	v_cvt_f64_f32_e32 v[44:45], v13
	v_cvt_f64_f32_e32 v[13:14], v14
	v_fma_f64 v[40:41], v[44:45], v[63:64], v[40:41]
	v_fma_f64 v[40:41], -v[13:14], v[65:66], v[40:41]
	v_fma_f64 v[13:14], v[13:14], v[63:64], v[42:43]
	v_fma_f64 v[42:43], v[44:45], v[65:66], v[13:14]
	v_cvt_f64_f32_e32 v[44:45], v15
	v_cvt_f64_f32_e32 v[15:16], v16
	v_fma_f64 v[13:14], v[44:45], v[59:60], v[40:41]
	v_fma_f64 v[13:14], -v[15:16], v[61:62], v[13:14]
	v_fma_f64 v[15:16], v[15:16], v[59:60], v[42:43]
	v_fma_f64 v[15:16], v[44:45], v[61:62], v[15:16]
	s_andn2_b64 exec, exec, s[10:11]
	s_cbranch_execnz .LBB171_19
; %bb.20:
	s_or_b64 exec, exec, s[10:11]
.LBB171_21:
	s_or_b64 exec, exec, s[2:3]
.LBB171_22:
	s_or_b64 exec, exec, s[8:9]
	s_cbranch_execz .LBB171_24
	s_branch .LBB171_35
.LBB171_23:
                                        ; implicit-def: $vgpr19_vgpr20
                                        ; implicit-def: $vgpr17_vgpr18
                                        ; implicit-def: $vgpr36_vgpr37
                                        ; implicit-def: $vgpr38_vgpr39
                                        ; implicit-def: $vgpr9_vgpr10
                                        ; implicit-def: $vgpr11_vgpr12
                                        ; implicit-def: $vgpr15_vgpr16
                                        ; implicit-def: $vgpr13_vgpr14
.LBB171_24:
	v_mov_b32_e32 v19, 0
	v_mov_b32_e32 v17, 0
	;; [unrolled: 1-line block ×16, first 2 shown]
	s_and_saveexec_b64 s[2:3], s[0:1]
	s_cbranch_execz .LBB171_34
; %bb.25:
	v_or_b32_e32 v9, 8, v0
	v_subrev_co_u32_e32 v9, vcc, s16, v9
	v_subb_co_u32_e64 v10, s[0:1], 0, 0, vcc
	v_add_co_u32_e32 v9, vcc, v9, v28
	v_addc_co_u32_e32 v10, vcc, v10, v29, vcc
	v_cmp_gt_i64_e32 vcc, v[9:10], v[24:25]
	v_not_b32_e32 v12, v28
	v_cndmask_b32_e32 v10, v25, v10, vcc
	v_cndmask_b32_e32 v9, v24, v9, vcc
	v_sub_co_u32_e32 v13, vcc, s16, v0
	v_not_b32_e32 v11, v29
	v_subb_co_u32_e64 v14, s[0:1], 0, 0, vcc
	v_add_co_u32_e32 v12, vcc, v13, v12
	v_addc_co_u32_e32 v11, vcc, v14, v11, vcc
	v_add_co_u32_e32 v28, vcc, v12, v9
	v_addc_co_u32_e32 v29, vcc, v11, v10, vcc
	v_and_b32_e32 v9, 24, v28
	v_mov_b32_e32 v10, 0
	v_cmp_ne_u64_e32 vcc, 24, v[9:10]
	v_mov_b32_e32 v13, 0
	v_mov_b32_e32 v15, 0
	v_mov_b32_e32 v11, 0
	v_mov_b32_e32 v9, 0
	v_mov_b32_e32 v38, 0
	v_mov_b32_e32 v36, 0
	v_mov_b32_e32 v17, 0
	v_mov_b32_e32 v19, 0
	v_mov_b32_e32 v14, 0
	v_mov_b32_e32 v16, 0
	v_mov_b32_e32 v12, 0
	v_mov_b32_e32 v10, 0
	v_mov_b32_e32 v39, 0
	v_mov_b32_e32 v37, 0
	v_mov_b32_e32 v18, 0
	v_mov_b32_e32 v20, 0
	s_and_saveexec_b64 s[0:1], vcc
	s_cbranch_execz .LBB171_29
; %bb.26:
	v_lshrrev_b32_e32 v9, 3, v28
	v_add_u32_e32 v9, 1, v9
	v_and_b32_e32 v11, 3, v9
	v_lshlrev_b64 v[9:10], 2, v[22:23]
	v_mov_b32_e32 v12, s13
	v_add_co_u32_e32 v30, vcc, s12, v9
	v_addc_co_u32_e32 v31, vcc, v12, v10, vcc
	v_sub_co_u32_e32 v32, vcc, 0, v11
	v_subb_co_u32_e64 v33, s[10:11], 0, 0, vcc
	v_mov_b32_e32 v19, 0
	v_mov_b32_e32 v17, 0
	;; [unrolled: 1-line block ×8, first 2 shown]
	s_mov_b64 s[8:9], 0
	v_mov_b32_e32 v20, 0
	s_movk_i32 s10, 0x400
	v_mov_b32_e32 v18, 0
	v_mov_b32_e32 v37, 0
	;; [unrolled: 1-line block ×8, first 2 shown]
.LBB171_27:                             ; =>This Inner Loop Header: Depth=1
	global_load_dword v35, v[30:31], off
	global_load_dwordx4 v[40:43], v[26:27], off offset:48
	global_load_dwordx4 v[44:47], v[26:27], off offset:32
	;; [unrolled: 1-line block ×3, first 2 shown]
	global_load_dwordx4 v[52:55], v[26:27], off
	s_waitcnt vmcnt(4)
	v_subrev_u32_e32 v35, s16, v35
	v_lshlrev_b32_e32 v56, 2, v35
	v_ashrrev_i32_e32 v57, 31, v56
	v_lshlrev_b64 v[56:57], 4, v[56:57]
	s_waitcnt vmcnt(0)
	v_cvt_f64_f32_e32 v[72:73], v52
	v_add_co_u32_e32 v74, vcc, s6, v56
	v_addc_co_u32_e32 v75, vcc, v34, v57, vcc
	global_load_dwordx4 v[56:59], v[74:75], off offset:48
	global_load_dwordx4 v[60:63], v[74:75], off offset:32
	;; [unrolled: 1-line block ×3, first 2 shown]
	global_load_dwordx4 v[68:71], v[74:75], off
	v_cvt_f64_f32_e32 v[52:53], v53
	s_waitcnt vmcnt(0)
	v_fma_f64 v[17:18], v[72:73], v[68:69], v[17:18]
	v_fma_f64 v[19:20], v[52:53], v[68:69], v[19:20]
	v_fma_f64 v[17:18], -v[52:53], v[70:71], v[17:18]
	v_cvt_f64_f32_e32 v[52:53], v54
	v_cvt_f64_f32_e32 v[54:55], v55
	v_fma_f64 v[19:20], v[72:73], v[70:71], v[19:20]
	v_fma_f64 v[38:39], v[52:53], v[68:69], v[38:39]
	;; [unrolled: 1-line block ×3, first 2 shown]
	v_fma_f64 v[38:39], -v[54:55], v[70:71], v[38:39]
	v_fma_f64 v[35:36], v[52:53], v[70:71], v[35:36]
	v_cvt_f64_f32_e32 v[52:53], v48
	v_cvt_f64_f32_e32 v[48:49], v49
	v_fma_f64 v[11:12], v[52:53], v[68:69], v[11:12]
	v_fma_f64 v[9:10], v[48:49], v[68:69], v[9:10]
	v_fma_f64 v[11:12], -v[48:49], v[70:71], v[11:12]
	v_cvt_f64_f32_e32 v[48:49], v50
	v_cvt_f64_f32_e32 v[50:51], v51
	v_fma_f64 v[9:10], v[52:53], v[70:71], v[9:10]
	v_fma_f64 v[13:14], v[48:49], v[68:69], v[13:14]
	;; [unrolled: 1-line block ×3, first 2 shown]
	v_fma_f64 v[13:14], -v[50:51], v[70:71], v[13:14]
	v_fma_f64 v[15:16], v[48:49], v[70:71], v[15:16]
	v_cvt_f64_f32_e32 v[48:49], v44
	v_cvt_f64_f32_e32 v[44:45], v45
	v_fma_f64 v[17:18], v[48:49], v[64:65], v[17:18]
	v_fma_f64 v[50:51], -v[44:45], v[66:67], v[17:18]
	v_fma_f64 v[17:18], v[44:45], v[64:65], v[19:20]
	v_cvt_f64_f32_e32 v[44:45], v47
	v_fma_f64 v[35:36], v[44:45], v[64:65], v[35:36]
	v_fma_f64 v[19:20], v[48:49], v[66:67], v[17:18]
	v_cvt_f64_f32_e32 v[17:18], v46
	v_fma_f64 v[37:38], v[17:18], v[64:65], v[38:39]
	v_fma_f64 v[46:47], -v[44:45], v[66:67], v[37:38]
	v_fma_f64 v[44:45], v[17:18], v[66:67], v[35:36]
	v_cvt_f64_f32_e32 v[17:18], v40
	v_cvt_f64_f32_e32 v[35:36], v41
	v_fma_f64 v[11:12], v[17:18], v[64:65], v[11:12]
	v_fma_f64 v[9:10], v[35:36], v[64:65], v[9:10]
	v_fma_f64 v[48:49], -v[35:36], v[66:67], v[11:12]
	v_cvt_f64_f32_e32 v[11:12], v42
	v_fma_f64 v[9:10], v[17:18], v[66:67], v[9:10]
	v_cvt_f64_f32_e32 v[17:18], v43
	v_fma_f64 v[13:14], v[11:12], v[64:65], v[13:14]
	v_fma_f64 v[52:53], -v[17:18], v[66:67], v[13:14]
	v_fma_f64 v[13:14], v[17:18], v[64:65], v[15:16]
	v_fma_f64 v[54:55], v[11:12], v[66:67], v[13:14]
	global_load_dwordx4 v[11:14], v[26:27], off offset:112
	global_load_dwordx4 v[35:38], v[26:27], off offset:96
	global_load_dwordx4 v[15:18], v[26:27], off offset:80
	global_load_dwordx4 v[39:42], v[26:27], off offset:64
	v_add_co_u32_e32 v26, vcc, s10, v26
	v_addc_co_u32_e32 v27, vcc, 0, v27, vcc
	v_add_co_u32_e32 v22, vcc, 8, v22
	v_addc_co_u32_e32 v23, vcc, 0, v23, vcc
	;; [unrolled: 2-line block ×4, first 2 shown]
	v_cmp_eq_u64_e32 vcc, 0, v[32:33]
	s_or_b64 s[8:9], vcc, s[8:9]
	s_waitcnt vmcnt(0)
	v_cvt_f64_f32_e32 v[64:65], v39
	v_cvt_f64_f32_e32 v[39:40], v40
	v_fma_f64 v[50:51], v[64:65], v[60:61], v[50:51]
	v_fma_f64 v[19:20], v[39:40], v[60:61], v[19:20]
	v_fma_f64 v[50:51], -v[39:40], v[62:63], v[50:51]
	v_cvt_f64_f32_e32 v[39:40], v41
	v_cvt_f64_f32_e32 v[41:42], v42
	v_fma_f64 v[19:20], v[64:65], v[62:63], v[19:20]
	v_fma_f64 v[46:47], v[39:40], v[60:61], v[46:47]
	v_fma_f64 v[46:47], -v[41:42], v[62:63], v[46:47]
	v_fma_f64 v[41:42], v[41:42], v[60:61], v[44:45]
	v_fma_f64 v[40:41], v[39:40], v[62:63], v[41:42]
	v_cvt_f64_f32_e32 v[42:43], v15
	v_cvt_f64_f32_e32 v[15:16], v16
	v_fma_f64 v[44:45], v[42:43], v[60:61], v[48:49]
	v_fma_f64 v[9:10], v[15:16], v[60:61], v[9:10]
	v_cvt_f64_f32_e32 v[48:49], v35
	v_cvt_f64_f32_e32 v[35:36], v36
	v_fma_f64 v[19:20], v[35:36], v[56:57], v[19:20]
	v_fma_f64 v[44:45], -v[15:16], v[62:63], v[44:45]
	v_cvt_f64_f32_e32 v[15:16], v17
	v_fma_f64 v[9:10], v[42:43], v[62:63], v[9:10]
	v_cvt_f64_f32_e32 v[17:18], v18
	v_fma_f64 v[42:43], v[15:16], v[60:61], v[52:53]
	v_fma_f64 v[19:20], v[48:49], v[58:59], v[19:20]
	v_fma_f64 v[42:43], -v[17:18], v[62:63], v[42:43]
	v_fma_f64 v[17:18], v[17:18], v[60:61], v[54:55]
	v_fma_f64 v[15:16], v[15:16], v[62:63], v[17:18]
	;; [unrolled: 1-line block ×3, first 2 shown]
	v_cvt_f64_f32_e32 v[48:49], v38
	v_fma_f64 v[40:41], v[48:49], v[56:57], v[40:41]
	v_fma_f64 v[17:18], -v[35:36], v[58:59], v[17:18]
	v_cvt_f64_f32_e32 v[35:36], v37
	v_fma_f64 v[37:38], v[35:36], v[56:57], v[46:47]
	v_cvt_f64_f32_e32 v[46:47], v12
	v_fma_f64 v[9:10], v[46:47], v[56:57], v[9:10]
	v_fma_f64 v[38:39], -v[48:49], v[58:59], v[37:38]
	v_fma_f64 v[36:37], v[35:36], v[58:59], v[40:41]
	v_cvt_f64_f32_e32 v[40:41], v11
	v_fma_f64 v[11:12], v[40:41], v[56:57], v[44:45]
	v_fma_f64 v[9:10], v[40:41], v[58:59], v[9:10]
	v_cvt_f64_f32_e32 v[40:41], v13
	v_cvt_f64_f32_e32 v[44:45], v14
	v_fma_f64 v[13:14], v[40:41], v[56:57], v[42:43]
	v_fma_f64 v[15:16], v[44:45], v[56:57], v[15:16]
	v_fma_f64 v[11:12], -v[46:47], v[58:59], v[11:12]
	v_fma_f64 v[13:14], -v[44:45], v[58:59], v[13:14]
	v_fma_f64 v[15:16], v[40:41], v[58:59], v[15:16]
	s_andn2_b64 exec, exec, s[8:9]
	s_cbranch_execnz .LBB171_27
; %bb.28:
	s_or_b64 exec, exec, s[8:9]
.LBB171_29:
	s_or_b64 exec, exec, s[0:1]
	v_cmp_lt_u64_e32 vcc, 23, v[28:29]
	s_and_saveexec_b64 s[0:1], vcc
	s_cbranch_execz .LBB171_33
; %bb.30:
	v_lshlrev_b64 v[28:29], 2, v[22:23]
	v_mov_b32_e32 v30, s13
	v_add_co_u32_e32 v28, vcc, s12, v28
	v_addc_co_u32_e32 v29, vcc, v30, v29, vcc
	v_add_co_u32_e32 v28, vcc, 64, v28
	v_addc_co_u32_e32 v29, vcc, 0, v29, vcc
	s_mov_b64 s[8:9], 0
	v_mov_b32_e32 v48, s7
	s_movk_i32 s7, 0x1000
.LBB171_31:                             ; =>This Inner Loop Header: Depth=1
	global_load_dword v30, v[28:29], off offset:-64
	s_waitcnt vmcnt(0)
	v_subrev_u32_e32 v30, s16, v30
	v_lshlrev_b32_e32 v34, 2, v30
	v_ashrrev_i32_e32 v35, 31, v34
	global_load_dwordx4 v[30:33], v[26:27], off offset:48
	global_load_dwordx4 v[40:43], v[26:27], off offset:32
	;; [unrolled: 1-line block ×3, first 2 shown]
	global_load_dwordx4 v[49:52], v[26:27], off
	v_lshlrev_b64 v[34:35], 4, v[34:35]
	v_add_co_u32_e32 v34, vcc, s6, v34
	v_addc_co_u32_e32 v35, vcc, v48, v35, vcc
	global_load_dwordx4 v[53:56], v[34:35], off offset:48
	global_load_dwordx4 v[57:60], v[34:35], off offset:32
	;; [unrolled: 1-line block ×3, first 2 shown]
	global_load_dwordx4 v[65:68], v[34:35], off
	s_waitcnt vmcnt(4)
	v_cvt_f64_f32_e32 v[69:70], v49
	v_cvt_f64_f32_e32 v[49:50], v50
	v_cvt_f64_f32_e32 v[34:35], v51
	s_waitcnt vmcnt(0)
	v_fma_f64 v[17:18], v[69:70], v[65:66], v[17:18]
	v_fma_f64 v[19:20], v[49:50], v[65:66], v[19:20]
	;; [unrolled: 1-line block ×3, first 2 shown]
	v_fma_f64 v[17:18], -v[49:50], v[67:68], v[17:18]
	v_cvt_f64_f32_e32 v[49:50], v52
	v_fma_f64 v[19:20], v[69:70], v[67:68], v[19:20]
	v_fma_f64 v[36:37], v[49:50], v[65:66], v[36:37]
	v_fma_f64 v[38:39], -v[49:50], v[67:68], v[38:39]
	v_fma_f64 v[34:35], v[34:35], v[67:68], v[36:37]
	v_cvt_f64_f32_e32 v[36:37], v44
	v_cvt_f64_f32_e32 v[44:45], v45
	v_fma_f64 v[11:12], v[36:37], v[65:66], v[11:12]
	v_fma_f64 v[9:10], v[44:45], v[65:66], v[9:10]
	v_fma_f64 v[11:12], -v[44:45], v[67:68], v[11:12]
	v_cvt_f64_f32_e32 v[44:45], v47
	v_fma_f64 v[9:10], v[36:37], v[67:68], v[9:10]
	v_cvt_f64_f32_e32 v[36:37], v46
	v_fma_f64 v[15:16], v[44:45], v[65:66], v[15:16]
	v_fma_f64 v[13:14], v[36:37], v[65:66], v[13:14]
	v_fma_f64 v[15:16], v[36:37], v[67:68], v[15:16]
	v_cvt_f64_f32_e32 v[36:37], v40
	v_cvt_f64_f32_e32 v[40:41], v41
	v_fma_f64 v[13:14], -v[44:45], v[67:68], v[13:14]
	v_fma_f64 v[17:18], v[36:37], v[61:62], v[17:18]
	v_fma_f64 v[44:45], -v[40:41], v[63:64], v[17:18]
	v_fma_f64 v[17:18], v[40:41], v[61:62], v[19:20]
	v_cvt_f64_f32_e32 v[19:20], v43
	v_fma_f64 v[36:37], v[36:37], v[63:64], v[17:18]
	v_cvt_f64_f32_e32 v[17:18], v42
	v_fma_f64 v[38:39], v[17:18], v[61:62], v[38:39]
	v_fma_f64 v[38:39], -v[19:20], v[63:64], v[38:39]
	v_fma_f64 v[19:20], v[19:20], v[61:62], v[34:35]
	v_fma_f64 v[34:35], v[17:18], v[63:64], v[19:20]
	v_cvt_f64_f32_e32 v[19:20], v31
	v_cvt_f64_f32_e32 v[17:18], v30
	v_fma_f64 v[9:10], v[19:20], v[61:62], v[9:10]
	v_fma_f64 v[11:12], v[17:18], v[61:62], v[11:12]
	;; [unrolled: 1-line block ×3, first 2 shown]
	v_cvt_f64_f32_e32 v[9:10], v32
	v_fma_f64 v[40:41], -v[19:20], v[63:64], v[11:12]
	v_cvt_f64_f32_e32 v[11:12], v33
	v_fma_f64 v[13:14], v[9:10], v[61:62], v[13:14]
	v_fma_f64 v[46:47], -v[11:12], v[63:64], v[13:14]
	v_fma_f64 v[11:12], v[11:12], v[61:62], v[15:16]
	v_fma_f64 v[49:50], v[9:10], v[63:64], v[11:12]
	global_load_dwordx4 v[9:12], v[26:27], off offset:112
	global_load_dwordx4 v[13:16], v[26:27], off offset:96
	;; [unrolled: 1-line block ×4, first 2 shown]
	s_waitcnt vmcnt(0)
	v_cvt_f64_f32_e32 v[51:52], v30
	v_cvt_f64_f32_e32 v[30:31], v31
	v_fma_f64 v[44:45], v[51:52], v[57:58], v[44:45]
	v_fma_f64 v[44:45], -v[30:31], v[59:60], v[44:45]
	v_fma_f64 v[30:31], v[30:31], v[57:58], v[36:37]
	v_cvt_f64_f32_e32 v[36:37], v32
	v_cvt_f64_f32_e32 v[32:33], v33
	v_fma_f64 v[38:39], v[36:37], v[57:58], v[38:39]
	v_fma_f64 v[30:31], v[51:52], v[59:60], v[30:31]
	v_fma_f64 v[38:39], -v[32:33], v[59:60], v[38:39]
	v_fma_f64 v[32:33], v[32:33], v[57:58], v[34:35]
	v_cvt_f64_f32_e32 v[34:35], v17
	v_cvt_f64_f32_e32 v[17:18], v18
	v_fma_f64 v[32:33], v[36:37], v[59:60], v[32:33]
	v_fma_f64 v[36:37], v[34:35], v[57:58], v[40:41]
	v_fma_f64 v[36:37], -v[17:18], v[59:60], v[36:37]
	v_fma_f64 v[17:18], v[17:18], v[57:58], v[42:43]
	v_fma_f64 v[17:18], v[34:35], v[59:60], v[17:18]
	v_cvt_f64_f32_e32 v[34:35], v19
	v_cvt_f64_f32_e32 v[19:20], v20
	v_fma_f64 v[40:41], v[34:35], v[57:58], v[46:47]
	v_fma_f64 v[40:41], -v[19:20], v[59:60], v[40:41]
	v_fma_f64 v[19:20], v[19:20], v[57:58], v[49:50]
	v_fma_f64 v[19:20], v[34:35], v[59:60], v[19:20]
	v_cvt_f64_f32_e32 v[34:35], v13
	v_cvt_f64_f32_e32 v[13:14], v14
	;; [unrolled: 6-line block ×5, first 2 shown]
	v_fma_f64 v[13:14], v[9:10], v[53:54], v[40:41]
	v_fma_f64 v[67:68], -v[11:12], v[55:56], v[13:14]
	v_fma_f64 v[11:12], v[11:12], v[53:54], v[19:20]
	v_fma_f64 v[53:54], v[9:10], v[55:56], v[11:12]
	global_load_dword v9, v[28:29], off offset:-32
	s_waitcnt vmcnt(0)
	v_subrev_u32_e32 v9, s16, v9
	v_lshlrev_b32_e32 v34, 2, v9
	v_ashrrev_i32_e32 v35, 31, v34
	global_load_dwordx4 v[9:12], v[26:27], off offset:1072
	global_load_dwordx4 v[13:16], v[26:27], off offset:1056
	;; [unrolled: 1-line block ×4, first 2 shown]
	v_lshlrev_b64 v[34:35], 4, v[34:35]
	v_add_co_u32_e32 v69, vcc, s6, v34
	v_addc_co_u32_e32 v70, vcc, v48, v35, vcc
	global_load_dwordx4 v[34:37], v[69:70], off offset:48
	global_load_dwordx4 v[38:41], v[69:70], off offset:32
	;; [unrolled: 1-line block ×3, first 2 shown]
	global_load_dwordx4 v[49:52], v[69:70], off
	s_waitcnt vmcnt(4)
	v_cvt_f64_f32_e32 v[55:56], v30
	v_cvt_f64_f32_e32 v[30:31], v31
	s_waitcnt vmcnt(0)
	v_fma_f64 v[46:47], v[55:56], v[49:50], v[46:47]
	v_fma_f64 v[46:47], -v[30:31], v[51:52], v[46:47]
	v_fma_f64 v[30:31], v[30:31], v[49:50], v[57:58]
	v_fma_f64 v[30:31], v[55:56], v[51:52], v[30:31]
	v_cvt_f64_f32_e32 v[55:56], v32
	v_cvt_f64_f32_e32 v[32:33], v33
	v_fma_f64 v[57:58], v[55:56], v[49:50], v[59:60]
	v_fma_f64 v[57:58], -v[32:33], v[51:52], v[57:58]
	v_fma_f64 v[32:33], v[32:33], v[49:50], v[61:62]
	v_fma_f64 v[32:33], v[55:56], v[51:52], v[32:33]
	v_cvt_f64_f32_e32 v[55:56], v17
	v_cvt_f64_f32_e32 v[17:18], v18
	;; [unrolled: 6-line block ×3, first 2 shown]
	v_fma_f64 v[61:62], v[55:56], v[49:50], v[67:68]
	v_fma_f64 v[61:62], -v[19:20], v[51:52], v[61:62]
	v_fma_f64 v[19:20], v[19:20], v[49:50], v[53:54]
	v_cvt_f64_f32_e32 v[49:50], v13
	v_cvt_f64_f32_e32 v[13:14], v14
	v_fma_f64 v[46:47], v[49:50], v[42:43], v[46:47]
	v_fma_f64 v[19:20], v[55:56], v[51:52], v[19:20]
	v_fma_f64 v[46:47], -v[13:14], v[44:45], v[46:47]
	v_fma_f64 v[13:14], v[13:14], v[42:43], v[30:31]
	v_fma_f64 v[49:50], v[49:50], v[44:45], v[13:14]
	v_cvt_f64_f32_e32 v[13:14], v15
	v_cvt_f64_f32_e32 v[15:16], v16
	v_fma_f64 v[30:31], v[13:14], v[42:43], v[57:58]
	v_fma_f64 v[51:52], -v[15:16], v[44:45], v[30:31]
	v_fma_f64 v[15:16], v[15:16], v[42:43], v[32:33]
	v_fma_f64 v[53:54], v[13:14], v[44:45], v[15:16]
	v_cvt_f64_f32_e32 v[13:14], v9
	v_cvt_f64_f32_e32 v[9:10], v10
	;; [unrolled: 6-line block ×3, first 2 shown]
	v_fma_f64 v[13:14], v[9:10], v[42:43], v[61:62]
	v_fma_f64 v[59:60], -v[11:12], v[44:45], v[13:14]
	v_fma_f64 v[11:12], v[11:12], v[42:43], v[19:20]
	v_fma_f64 v[42:43], v[9:10], v[44:45], v[11:12]
	global_load_dwordx4 v[9:12], v[26:27], off offset:1136
	global_load_dwordx4 v[13:16], v[26:27], off offset:1120
	;; [unrolled: 1-line block ×4, first 2 shown]
	s_waitcnt vmcnt(0)
	v_cvt_f64_f32_e32 v[44:45], v30
	v_cvt_f64_f32_e32 v[30:31], v31
	v_fma_f64 v[46:47], v[44:45], v[38:39], v[46:47]
	v_fma_f64 v[46:47], -v[30:31], v[40:41], v[46:47]
	v_fma_f64 v[30:31], v[30:31], v[38:39], v[49:50]
	v_fma_f64 v[30:31], v[44:45], v[40:41], v[30:31]
	v_cvt_f64_f32_e32 v[44:45], v32
	v_cvt_f64_f32_e32 v[32:33], v33
	v_fma_f64 v[49:50], v[44:45], v[38:39], v[51:52]
	v_fma_f64 v[49:50], -v[32:33], v[40:41], v[49:50]
	v_fma_f64 v[32:33], v[32:33], v[38:39], v[53:54]
	v_fma_f64 v[32:33], v[44:45], v[40:41], v[32:33]
	;; [unrolled: 6-line block ×3, first 2 shown]
	v_cvt_f64_f32_e32 v[44:45], v19
	v_cvt_f64_f32_e32 v[19:20], v20
	v_fma_f64 v[53:54], v[44:45], v[38:39], v[59:60]
	v_fma_f64 v[53:54], -v[19:20], v[40:41], v[53:54]
	v_fma_f64 v[19:20], v[19:20], v[38:39], v[42:43]
	v_cvt_f64_f32_e32 v[38:39], v13
	v_cvt_f64_f32_e32 v[13:14], v14
	v_fma_f64 v[19:20], v[44:45], v[40:41], v[19:20]
	v_fma_f64 v[40:41], v[38:39], v[34:35], v[46:47]
	v_fma_f64 v[46:47], -v[13:14], v[36:37], v[40:41]
	v_fma_f64 v[13:14], v[13:14], v[34:35], v[30:31]
	v_fma_f64 v[55:56], v[38:39], v[36:37], v[13:14]
	v_cvt_f64_f32_e32 v[13:14], v15
	v_cvt_f64_f32_e32 v[15:16], v16
	v_fma_f64 v[30:31], v[13:14], v[34:35], v[49:50]
	v_fma_f64 v[57:58], -v[15:16], v[36:37], v[30:31]
	v_fma_f64 v[15:16], v[15:16], v[34:35], v[32:33]
	v_fma_f64 v[59:60], v[13:14], v[36:37], v[15:16]
	v_cvt_f64_f32_e32 v[13:14], v9
	v_cvt_f64_f32_e32 v[9:10], v10
	;; [unrolled: 6-line block ×3, first 2 shown]
	v_fma_f64 v[13:14], v[9:10], v[34:35], v[53:54]
	v_fma_f64 v[53:54], -v[11:12], v[36:37], v[13:14]
	v_fma_f64 v[11:12], v[11:12], v[34:35], v[19:20]
	v_fma_f64 v[65:66], v[9:10], v[36:37], v[11:12]
	global_load_dword v9, v[28:29], off
	s_waitcnt vmcnt(0)
	v_subrev_u32_e32 v9, s16, v9
	v_lshlrev_b32_e32 v34, 2, v9
	v_ashrrev_i32_e32 v35, 31, v34
	global_load_dwordx4 v[9:12], v[26:27], off offset:2096
	global_load_dwordx4 v[13:16], v[26:27], off offset:2080
	;; [unrolled: 1-line block ×4, first 2 shown]
	v_lshlrev_b64 v[34:35], 4, v[34:35]
	v_add_co_u32_e32 v69, vcc, s6, v34
	v_addc_co_u32_e32 v70, vcc, v48, v35, vcc
	global_load_dwordx4 v[49:52], v[69:70], off offset:48
	global_load_dwordx4 v[34:37], v[69:70], off offset:32
	;; [unrolled: 1-line block ×3, first 2 shown]
	global_load_dwordx4 v[42:45], v[69:70], off
	s_waitcnt vmcnt(4)
	v_cvt_f64_f32_e32 v[67:68], v30
	v_cvt_f64_f32_e32 v[30:31], v31
	s_waitcnt vmcnt(0)
	v_fma_f64 v[46:47], v[67:68], v[42:43], v[46:47]
	v_fma_f64 v[46:47], -v[30:31], v[44:45], v[46:47]
	v_fma_f64 v[30:31], v[30:31], v[42:43], v[55:56]
	v_cvt_f64_f32_e32 v[55:56], v32
	v_cvt_f64_f32_e32 v[32:33], v33
	v_fma_f64 v[57:58], v[55:56], v[42:43], v[57:58]
	v_fma_f64 v[30:31], v[67:68], v[44:45], v[30:31]
	v_fma_f64 v[57:58], -v[32:33], v[44:45], v[57:58]
	v_fma_f64 v[32:33], v[32:33], v[42:43], v[59:60]
	v_fma_f64 v[32:33], v[55:56], v[44:45], v[32:33]
	v_cvt_f64_f32_e32 v[55:56], v17
	v_cvt_f64_f32_e32 v[17:18], v18
	v_fma_f64 v[59:60], v[55:56], v[42:43], v[61:62]
	v_fma_f64 v[59:60], -v[17:18], v[44:45], v[59:60]
	v_fma_f64 v[17:18], v[17:18], v[42:43], v[63:64]
	v_fma_f64 v[17:18], v[55:56], v[44:45], v[17:18]
	v_cvt_f64_f32_e32 v[55:56], v19
	v_cvt_f64_f32_e32 v[19:20], v20
	v_fma_f64 v[53:54], v[55:56], v[42:43], v[53:54]
	v_fma_f64 v[53:54], -v[19:20], v[44:45], v[53:54]
	v_fma_f64 v[19:20], v[19:20], v[42:43], v[65:66]
	v_cvt_f64_f32_e32 v[42:43], v13
	v_cvt_f64_f32_e32 v[13:14], v14
	v_fma_f64 v[19:20], v[55:56], v[44:45], v[19:20]
	v_fma_f64 v[44:45], v[42:43], v[38:39], v[46:47]
	v_fma_f64 v[44:45], -v[13:14], v[40:41], v[44:45]
	v_fma_f64 v[13:14], v[13:14], v[38:39], v[30:31]
	v_fma_f64 v[42:43], v[42:43], v[40:41], v[13:14]
	v_cvt_f64_f32_e32 v[13:14], v15
	v_cvt_f64_f32_e32 v[15:16], v16
	v_fma_f64 v[30:31], v[13:14], v[38:39], v[57:58]
	v_fma_f64 v[46:47], -v[15:16], v[40:41], v[30:31]
	v_fma_f64 v[15:16], v[15:16], v[38:39], v[32:33]
	v_fma_f64 v[55:56], v[13:14], v[40:41], v[15:16]
	v_cvt_f64_f32_e32 v[13:14], v9
	v_cvt_f64_f32_e32 v[9:10], v10
	;; [unrolled: 6-line block ×3, first 2 shown]
	v_fma_f64 v[13:14], v[9:10], v[38:39], v[53:54]
	v_fma_f64 v[53:54], -v[11:12], v[40:41], v[13:14]
	v_fma_f64 v[11:12], v[11:12], v[38:39], v[19:20]
	v_fma_f64 v[38:39], v[9:10], v[40:41], v[11:12]
	global_load_dwordx4 v[9:12], v[26:27], off offset:2160
	global_load_dwordx4 v[13:16], v[26:27], off offset:2144
	;; [unrolled: 1-line block ×4, first 2 shown]
	s_waitcnt vmcnt(0)
	v_cvt_f64_f32_e32 v[40:41], v30
	v_cvt_f64_f32_e32 v[30:31], v31
	v_fma_f64 v[44:45], v[40:41], v[34:35], v[44:45]
	v_fma_f64 v[44:45], -v[30:31], v[36:37], v[44:45]
	v_fma_f64 v[30:31], v[30:31], v[34:35], v[42:43]
	v_fma_f64 v[30:31], v[40:41], v[36:37], v[30:31]
	v_cvt_f64_f32_e32 v[40:41], v32
	v_cvt_f64_f32_e32 v[32:33], v33
	v_fma_f64 v[42:43], v[40:41], v[34:35], v[46:47]
	v_fma_f64 v[46:47], -v[32:33], v[36:37], v[42:43]
	v_fma_f64 v[32:33], v[32:33], v[34:35], v[55:56]
	v_fma_f64 v[32:33], v[40:41], v[36:37], v[32:33]
	;; [unrolled: 6-line block ×3, first 2 shown]
	v_cvt_f64_f32_e32 v[40:41], v19
	v_cvt_f64_f32_e32 v[19:20], v20
	v_fma_f64 v[42:43], v[40:41], v[34:35], v[53:54]
	v_fma_f64 v[53:54], -v[19:20], v[36:37], v[42:43]
	v_fma_f64 v[19:20], v[19:20], v[34:35], v[38:39]
	v_cvt_f64_f32_e32 v[34:35], v13
	v_cvt_f64_f32_e32 v[13:14], v14
	v_fma_f64 v[19:20], v[40:41], v[36:37], v[19:20]
	v_fma_f64 v[36:37], v[34:35], v[49:50], v[44:45]
	v_fma_f64 v[42:43], -v[13:14], v[51:52], v[36:37]
	v_fma_f64 v[13:14], v[13:14], v[49:50], v[30:31]
	v_fma_f64 v[44:45], v[34:35], v[51:52], v[13:14]
	v_cvt_f64_f32_e32 v[13:14], v15
	v_cvt_f64_f32_e32 v[15:16], v16
	v_fma_f64 v[30:31], v[13:14], v[49:50], v[46:47]
	v_fma_f64 v[38:39], -v[15:16], v[51:52], v[30:31]
	v_fma_f64 v[15:16], v[15:16], v[49:50], v[32:33]
	v_fma_f64 v[40:41], v[13:14], v[51:52], v[15:16]
	v_cvt_f64_f32_e32 v[13:14], v9
	v_cvt_f64_f32_e32 v[9:10], v10
	;; [unrolled: 6-line block ×3, first 2 shown]
	v_fma_f64 v[13:14], v[9:10], v[49:50], v[53:54]
	v_fma_f64 v[30:31], -v[11:12], v[51:52], v[13:14]
	v_fma_f64 v[11:12], v[11:12], v[49:50], v[19:20]
	v_fma_f64 v[32:33], v[9:10], v[51:52], v[11:12]
	global_load_dword v9, v[28:29], off offset:32
	s_waitcnt vmcnt(0)
	v_subrev_u32_e32 v9, s16, v9
	v_lshlrev_b32_e32 v46, 2, v9
	v_ashrrev_i32_e32 v47, 31, v46
	global_load_dwordx4 v[9:12], v[26:27], off offset:3120
	global_load_dwordx4 v[13:16], v[26:27], off offset:3104
	global_load_dwordx4 v[17:20], v[26:27], off offset:3088
	global_load_dwordx4 v[49:52], v[26:27], off offset:3072
	v_lshlrev_b64 v[46:47], 4, v[46:47]
	v_add_co_u32_e32 v46, vcc, s6, v46
	v_addc_co_u32_e32 v47, vcc, v48, v47, vcc
	global_load_dwordx4 v[53:56], v[46:47], off offset:48
	global_load_dwordx4 v[57:60], v[46:47], off offset:32
	global_load_dwordx4 v[61:64], v[46:47], off offset:16
	global_load_dwordx4 v[65:68], v[46:47], off
	s_waitcnt vmcnt(4)
	v_cvt_f64_f32_e32 v[69:70], v49
	v_cvt_f64_f32_e32 v[49:50], v50
	;; [unrolled: 1-line block ×3, first 2 shown]
	s_waitcnt vmcnt(0)
	v_fma_f64 v[42:43], v[69:70], v[65:66], v[42:43]
	v_fma_f64 v[44:45], v[49:50], v[65:66], v[44:45]
	v_fma_f64 v[38:39], v[46:47], v[65:66], v[38:39]
	v_fma_f64 v[42:43], -v[49:50], v[67:68], v[42:43]
	v_cvt_f64_f32_e32 v[49:50], v52
	v_fma_f64 v[44:45], v[69:70], v[67:68], v[44:45]
	v_fma_f64 v[40:41], v[49:50], v[65:66], v[40:41]
	v_fma_f64 v[38:39], -v[49:50], v[67:68], v[38:39]
	v_fma_f64 v[40:41], v[46:47], v[67:68], v[40:41]
	v_cvt_f64_f32_e32 v[46:47], v17
	v_cvt_f64_f32_e32 v[17:18], v18
	v_fma_f64 v[34:35], v[46:47], v[65:66], v[34:35]
	v_fma_f64 v[34:35], -v[17:18], v[67:68], v[34:35]
	v_fma_f64 v[17:18], v[17:18], v[65:66], v[36:37]
	v_cvt_f64_f32_e32 v[36:37], v19
	v_cvt_f64_f32_e32 v[19:20], v20
	v_fma_f64 v[30:31], v[36:37], v[65:66], v[30:31]
	v_fma_f64 v[17:18], v[46:47], v[67:68], v[17:18]
	v_fma_f64 v[30:31], -v[19:20], v[67:68], v[30:31]
	v_fma_f64 v[19:20], v[19:20], v[65:66], v[32:33]
	v_cvt_f64_f32_e32 v[32:33], v13
	v_cvt_f64_f32_e32 v[13:14], v14
	v_fma_f64 v[19:20], v[36:37], v[67:68], v[19:20]
	v_fma_f64 v[36:37], v[32:33], v[61:62], v[42:43]
	v_fma_f64 v[42:43], -v[13:14], v[63:64], v[36:37]
	v_fma_f64 v[13:14], v[13:14], v[61:62], v[44:45]
	v_fma_f64 v[44:45], v[32:33], v[63:64], v[13:14]
	v_cvt_f64_f32_e32 v[13:14], v15
	v_cvt_f64_f32_e32 v[15:16], v16
	v_fma_f64 v[32:33], v[13:14], v[61:62], v[38:39]
	v_fma_f64 v[38:39], -v[15:16], v[63:64], v[32:33]
	v_fma_f64 v[15:16], v[15:16], v[61:62], v[40:41]
	v_fma_f64 v[40:41], v[13:14], v[63:64], v[15:16]
	v_cvt_f64_f32_e32 v[13:14], v9
	v_cvt_f64_f32_e32 v[9:10], v10
	;; [unrolled: 6-line block ×3, first 2 shown]
	v_fma_f64 v[15:16], v[13:14], v[61:62], v[30:31]
	v_fma_f64 v[49:50], -v[11:12], v[63:64], v[15:16]
	v_fma_f64 v[11:12], v[11:12], v[61:62], v[19:20]
	v_fma_f64 v[19:20], v[13:14], v[63:64], v[11:12]
	global_load_dwordx4 v[11:14], v[26:27], off offset:3184
	global_load_dwordx4 v[30:33], v[26:27], off offset:3168
	global_load_dwordx4 v[15:18], v[26:27], off offset:3152
	global_load_dwordx4 v[34:37], v[26:27], off offset:3136
	v_add_co_u32_e32 v26, vcc, s7, v26
	v_addc_co_u32_e32 v27, vcc, 0, v27, vcc
	v_add_co_u32_e32 v22, vcc, 32, v22
	v_addc_co_u32_e32 v23, vcc, 0, v23, vcc
	;; [unrolled: 2-line block ×3, first 2 shown]
	v_cmp_ge_i64_e32 vcc, v[22:23], v[24:25]
	s_or_b64 s[8:9], vcc, s[8:9]
	s_waitcnt vmcnt(0)
	v_cvt_f64_f32_e32 v[51:52], v34
	v_cvt_f64_f32_e32 v[34:35], v35
	v_fma_f64 v[42:43], v[51:52], v[57:58], v[42:43]
	v_fma_f64 v[42:43], -v[34:35], v[59:60], v[42:43]
	v_fma_f64 v[34:35], v[34:35], v[57:58], v[44:45]
	v_cvt_f64_f32_e32 v[44:45], v36
	v_cvt_f64_f32_e32 v[36:37], v37
	v_fma_f64 v[38:39], v[44:45], v[57:58], v[38:39]
	v_fma_f64 v[34:35], v[51:52], v[59:60], v[34:35]
	v_fma_f64 v[38:39], -v[36:37], v[59:60], v[38:39]
	v_fma_f64 v[36:37], v[36:37], v[57:58], v[40:41]
	v_cvt_f64_f32_e32 v[40:41], v15
	v_cvt_f64_f32_e32 v[15:16], v16
	v_fma_f64 v[9:10], v[15:16], v[57:58], v[9:10]
	v_fma_f64 v[36:37], v[44:45], v[59:60], v[36:37]
	v_fma_f64 v[44:45], v[40:41], v[57:58], v[46:47]
	v_fma_f64 v[9:10], v[40:41], v[59:60], v[9:10]
	v_fma_f64 v[44:45], -v[15:16], v[59:60], v[44:45]
	v_cvt_f64_f32_e32 v[15:16], v17
	v_cvt_f64_f32_e32 v[17:18], v18
	v_fma_f64 v[40:41], v[15:16], v[57:58], v[49:50]
	v_fma_f64 v[40:41], -v[17:18], v[59:60], v[40:41]
	v_fma_f64 v[17:18], v[17:18], v[57:58], v[19:20]
	v_cvt_f64_f32_e32 v[19:20], v30
	v_cvt_f64_f32_e32 v[30:31], v31
	v_fma_f64 v[15:16], v[15:16], v[59:60], v[17:18]
	v_fma_f64 v[17:18], v[19:20], v[53:54], v[42:43]
	v_fma_f64 v[17:18], -v[30:31], v[55:56], v[17:18]
	v_fma_f64 v[30:31], v[30:31], v[53:54], v[34:35]
	v_fma_f64 v[19:20], v[19:20], v[55:56], v[30:31]
	v_cvt_f64_f32_e32 v[30:31], v32
	v_cvt_f64_f32_e32 v[32:33], v33
	v_fma_f64 v[34:35], v[30:31], v[53:54], v[38:39]
	v_fma_f64 v[38:39], -v[32:33], v[55:56], v[34:35]
	v_fma_f64 v[32:33], v[32:33], v[53:54], v[36:37]
	v_fma_f64 v[36:37], v[30:31], v[55:56], v[32:33]
	v_cvt_f64_f32_e32 v[30:31], v11
	v_cvt_f64_f32_e32 v[32:33], v12
	v_fma_f64 v[11:12], v[30:31], v[53:54], v[44:45]
	v_fma_f64 v[9:10], v[32:33], v[53:54], v[9:10]
	v_fma_f64 v[11:12], -v[32:33], v[55:56], v[11:12]
	v_fma_f64 v[9:10], v[30:31], v[55:56], v[9:10]
	v_cvt_f64_f32_e32 v[30:31], v13
	v_cvt_f64_f32_e32 v[32:33], v14
	v_fma_f64 v[13:14], v[30:31], v[53:54], v[40:41]
	v_fma_f64 v[15:16], v[32:33], v[53:54], v[15:16]
	v_fma_f64 v[13:14], -v[32:33], v[55:56], v[13:14]
	v_fma_f64 v[15:16], v[30:31], v[55:56], v[15:16]
	s_andn2_b64 exec, exec, s[8:9]
	s_cbranch_execnz .LBB171_31
; %bb.32:
	s_or_b64 exec, exec, s[8:9]
.LBB171_33:
	s_or_b64 exec, exec, s[0:1]
.LBB171_34:
	s_or_b64 exec, exec, s[2:3]
.LBB171_35:
	v_mov_b32_dpp v22, v17 row_shr:1 row_mask:0xf bank_mask:0xf
	v_mov_b32_dpp v23, v18 row_shr:1 row_mask:0xf bank_mask:0xf
	v_add_f64 v[17:18], v[17:18], v[22:23]
	v_mov_b32_dpp v22, v19 row_shr:1 row_mask:0xf bank_mask:0xf
	v_mov_b32_dpp v23, v20 row_shr:1 row_mask:0xf bank_mask:0xf
	;; [unrolled: 1-line block ×4, first 2 shown]
	v_add_f64 v[19:20], v[19:20], v[22:23]
	v_add_f64 v[24:25], v[38:39], v[24:25]
	v_mov_b32_dpp v26, v36 row_shr:1 row_mask:0xf bank_mask:0xf
	v_mov_b32_dpp v27, v37 row_shr:1 row_mask:0xf bank_mask:0xf
	v_add_f64 v[26:27], v[36:37], v[26:27]
	v_mov_b32_dpp v22, v17 row_shr:2 row_mask:0xf bank_mask:0xf
	v_mov_b32_dpp v23, v18 row_shr:2 row_mask:0xf bank_mask:0xf
	;; [unrolled: 3-line block ×5, first 2 shown]
	v_mov_b32_dpp v36, v9 row_shr:1 row_mask:0xf bank_mask:0xf
	v_mov_b32_dpp v37, v10 row_shr:1 row_mask:0xf bank_mask:0xf
	v_add_f64 v[24:25], v[26:27], v[24:25]
	v_mov_b32_dpp v26, v11 row_shr:1 row_mask:0xf bank_mask:0xf
	v_mov_b32_dpp v27, v12 row_shr:1 row_mask:0xf bank_mask:0xf
	v_add_f64 v[36:37], v[9:10], v[36:37]
	;; [unrolled: 3-line block ×3, first 2 shown]
	v_add_f64 v[38:39], v[13:14], v[9:10]
	v_mov_b32_dpp v9, v15 row_shr:1 row_mask:0xf bank_mask:0xf
	v_mov_b32_dpp v10, v16 row_shr:1 row_mask:0xf bank_mask:0xf
	v_add_f64 v[40:41], v[15:16], v[9:10]
	v_mov_b32_dpp v12, v36 row_shr:2 row_mask:0xf bank_mask:0xf
	v_mov_b32_dpp v13, v37 row_shr:2 row_mask:0xf bank_mask:0xf
	;; [unrolled: 3-line block ×4, first 2 shown]
	v_mov_b32_dpp v32, v40 row_shr:2 row_mask:0xf bank_mask:0xf
	v_mov_b32_dpp v33, v41 row_shr:2 row_mask:0xf bank_mask:0xf
	v_add_f64 v[15:16], v[38:39], v[15:16]
	v_add_f64 v[32:33], v[40:41], v[32:33]
	v_mov_b32_dpp v30, v17 row_shr:4 row_mask:0xf bank_mask:0xe
	v_mov_b32_dpp v31, v18 row_shr:4 row_mask:0xf bank_mask:0xe
	;; [unrolled: 1-line block ×16, first 2 shown]
	v_cmp_eq_u32_e32 vcc, 7, v0
	s_and_b64 exec, exec, vcc
	s_cbranch_execz .LBB171_8
; %bb.36:
	v_add_f64 v[30:31], v[17:18], v[30:31]
	v_add_f64 v[17:18], v[19:20], v[28:29]
	;; [unrolled: 1-line block ×8, first 2 shown]
	v_cmp_eq_f64_e32 vcc, 0, v[1:2]
	v_mul_f64 v[15:16], v[17:18], -v[7:8]
	v_mul_f64 v[19:20], v[5:6], v[17:18]
	v_mul_f64 v[28:29], v[11:12], -v[7:8]
	v_mul_f64 v[11:12], v[5:6], v[11:12]
	;; [unrolled: 2-line block ×4, first 2 shown]
	v_cmp_eq_f64_e64 s[0:1], 0, v[3:4]
	v_fma_f64 v[17:18], v[5:6], v[30:31], v[15:16]
	v_fma_f64 v[19:20], v[7:8], v[30:31], v[19:20]
	;; [unrolled: 1-line block ×8, first 2 shown]
	s_load_dwordx2 s[2:3], s[4:5], 0x60
	s_and_b64 s[0:1], vcc, s[0:1]
	v_lshlrev_b32_e32 v21, 2, v21
	s_and_saveexec_b64 s[4:5], s[0:1]
	s_xor_b64 s[0:1], exec, s[4:5]
	s_cbranch_execz .LBB171_38
; %bb.37:
	v_ashrrev_i32_e32 v22, 31, v21
	v_lshlrev_b64 v[0:1], 4, v[21:22]
	s_waitcnt lgkmcnt(0)
	v_mov_b32_e32 v2, s3
	v_add_co_u32_e32 v0, vcc, s2, v0
	v_addc_co_u32_e32 v1, vcc, v2, v1, vcc
	global_store_dwordx4 v[0:1], v[17:20], off
	global_store_dwordx4 v[0:1], v[13:16], off offset:16
	global_store_dwordx4 v[0:1], v[9:12], off offset:32
	;; [unrolled: 1-line block ×3, first 2 shown]
                                        ; implicit-def: $vgpr3_vgpr4
                                        ; implicit-def: $vgpr17_vgpr18
                                        ; implicit-def: $vgpr21
                                        ; implicit-def: $vgpr13_vgpr14
                                        ; implicit-def: $vgpr9_vgpr10
                                        ; implicit-def: $vgpr5_vgpr6
.LBB171_38:
	s_andn2_saveexec_b64 s[0:1], s[0:1]
	s_cbranch_execz .LBB171_8
; %bb.39:
	v_ashrrev_i32_e32 v22, 31, v21
	v_lshlrev_b64 v[21:22], 4, v[21:22]
	s_waitcnt lgkmcnt(0)
	v_mov_b32_e32 v0, s3
	v_add_co_u32_e32 v37, vcc, s2, v21
	v_addc_co_u32_e32 v38, vcc, v0, v22, vcc
	global_load_dwordx4 v[21:24], v[37:38], off
	global_load_dwordx4 v[25:28], v[37:38], off offset:16
	global_load_dwordx4 v[29:32], v[37:38], off offset:32
	;; [unrolled: 1-line block ×3, first 2 shown]
	s_waitcnt vmcnt(3)
	v_fma_f64 v[17:18], v[1:2], v[21:22], v[17:18]
	v_fma_f64 v[19:20], v[3:4], v[21:22], v[19:20]
	s_waitcnt vmcnt(2)
	v_fma_f64 v[13:14], v[1:2], v[25:26], v[13:14]
	v_fma_f64 v[15:16], v[3:4], v[25:26], v[15:16]
	;; [unrolled: 3-line block ×4, first 2 shown]
	v_fma_f64 v[5:6], -v[3:4], v[23:24], v[17:18]
	v_fma_f64 v[7:8], v[1:2], v[23:24], v[19:20]
	v_fma_f64 v[9:10], -v[3:4], v[27:28], v[13:14]
	v_fma_f64 v[11:12], v[1:2], v[27:28], v[15:16]
	;; [unrolled: 2-line block ×4, first 2 shown]
	global_store_dwordx4 v[37:38], v[5:8], off
	global_store_dwordx4 v[37:38], v[9:12], off offset:16
	global_store_dwordx4 v[37:38], v[13:16], off offset:32
	;; [unrolled: 1-line block ×3, first 2 shown]
	s_endpgm
	.section	.rodata,"a",@progbits
	.p2align	6, 0x0
	.amdhsa_kernel _ZN9rocsparseL18bsrxmvn_4x4_kernelILj128ELj8E21rocsparse_complex_numIdEliS1_IfES2_S2_EEvT3_20rocsparse_direction_NS_24const_host_device_scalarIT1_EES4_PKS4_PKT2_SD_SA_PKT4_PKT5_S8_PT6_21rocsparse_index_base_b
		.amdhsa_group_segment_fixed_size 0
		.amdhsa_private_segment_fixed_size 0
		.amdhsa_kernarg_size 112
		.amdhsa_user_sgpr_count 6
		.amdhsa_user_sgpr_private_segment_buffer 1
		.amdhsa_user_sgpr_dispatch_ptr 0
		.amdhsa_user_sgpr_queue_ptr 0
		.amdhsa_user_sgpr_kernarg_segment_ptr 1
		.amdhsa_user_sgpr_dispatch_id 0
		.amdhsa_user_sgpr_flat_scratch_init 0
		.amdhsa_user_sgpr_private_segment_size 0
		.amdhsa_uses_dynamic_stack 0
		.amdhsa_system_sgpr_private_segment_wavefront_offset 0
		.amdhsa_system_sgpr_workgroup_id_x 1
		.amdhsa_system_sgpr_workgroup_id_y 0
		.amdhsa_system_sgpr_workgroup_id_z 0
		.amdhsa_system_sgpr_workgroup_info 0
		.amdhsa_system_vgpr_workitem_id 0
		.amdhsa_next_free_vgpr 85
		.amdhsa_next_free_sgpr 18
		.amdhsa_reserve_vcc 1
		.amdhsa_reserve_flat_scratch 0
		.amdhsa_float_round_mode_32 0
		.amdhsa_float_round_mode_16_64 0
		.amdhsa_float_denorm_mode_32 3
		.amdhsa_float_denorm_mode_16_64 3
		.amdhsa_dx10_clamp 1
		.amdhsa_ieee_mode 1
		.amdhsa_fp16_overflow 0
		.amdhsa_exception_fp_ieee_invalid_op 0
		.amdhsa_exception_fp_denorm_src 0
		.amdhsa_exception_fp_ieee_div_zero 0
		.amdhsa_exception_fp_ieee_overflow 0
		.amdhsa_exception_fp_ieee_underflow 0
		.amdhsa_exception_fp_ieee_inexact 0
		.amdhsa_exception_int_div_zero 0
	.end_amdhsa_kernel
	.section	.text._ZN9rocsparseL18bsrxmvn_4x4_kernelILj128ELj8E21rocsparse_complex_numIdEliS1_IfES2_S2_EEvT3_20rocsparse_direction_NS_24const_host_device_scalarIT1_EES4_PKS4_PKT2_SD_SA_PKT4_PKT5_S8_PT6_21rocsparse_index_base_b,"axG",@progbits,_ZN9rocsparseL18bsrxmvn_4x4_kernelILj128ELj8E21rocsparse_complex_numIdEliS1_IfES2_S2_EEvT3_20rocsparse_direction_NS_24const_host_device_scalarIT1_EES4_PKS4_PKT2_SD_SA_PKT4_PKT5_S8_PT6_21rocsparse_index_base_b,comdat
.Lfunc_end171:
	.size	_ZN9rocsparseL18bsrxmvn_4x4_kernelILj128ELj8E21rocsparse_complex_numIdEliS1_IfES2_S2_EEvT3_20rocsparse_direction_NS_24const_host_device_scalarIT1_EES4_PKS4_PKT2_SD_SA_PKT4_PKT5_S8_PT6_21rocsparse_index_base_b, .Lfunc_end171-_ZN9rocsparseL18bsrxmvn_4x4_kernelILj128ELj8E21rocsparse_complex_numIdEliS1_IfES2_S2_EEvT3_20rocsparse_direction_NS_24const_host_device_scalarIT1_EES4_PKS4_PKT2_SD_SA_PKT4_PKT5_S8_PT6_21rocsparse_index_base_b
                                        ; -- End function
	.set _ZN9rocsparseL18bsrxmvn_4x4_kernelILj128ELj8E21rocsparse_complex_numIdEliS1_IfES2_S2_EEvT3_20rocsparse_direction_NS_24const_host_device_scalarIT1_EES4_PKS4_PKT2_SD_SA_PKT4_PKT5_S8_PT6_21rocsparse_index_base_b.num_vgpr, 85
	.set _ZN9rocsparseL18bsrxmvn_4x4_kernelILj128ELj8E21rocsparse_complex_numIdEliS1_IfES2_S2_EEvT3_20rocsparse_direction_NS_24const_host_device_scalarIT1_EES4_PKS4_PKT2_SD_SA_PKT4_PKT5_S8_PT6_21rocsparse_index_base_b.num_agpr, 0
	.set _ZN9rocsparseL18bsrxmvn_4x4_kernelILj128ELj8E21rocsparse_complex_numIdEliS1_IfES2_S2_EEvT3_20rocsparse_direction_NS_24const_host_device_scalarIT1_EES4_PKS4_PKT2_SD_SA_PKT4_PKT5_S8_PT6_21rocsparse_index_base_b.numbered_sgpr, 18
	.set _ZN9rocsparseL18bsrxmvn_4x4_kernelILj128ELj8E21rocsparse_complex_numIdEliS1_IfES2_S2_EEvT3_20rocsparse_direction_NS_24const_host_device_scalarIT1_EES4_PKS4_PKT2_SD_SA_PKT4_PKT5_S8_PT6_21rocsparse_index_base_b.num_named_barrier, 0
	.set _ZN9rocsparseL18bsrxmvn_4x4_kernelILj128ELj8E21rocsparse_complex_numIdEliS1_IfES2_S2_EEvT3_20rocsparse_direction_NS_24const_host_device_scalarIT1_EES4_PKS4_PKT2_SD_SA_PKT4_PKT5_S8_PT6_21rocsparse_index_base_b.private_seg_size, 0
	.set _ZN9rocsparseL18bsrxmvn_4x4_kernelILj128ELj8E21rocsparse_complex_numIdEliS1_IfES2_S2_EEvT3_20rocsparse_direction_NS_24const_host_device_scalarIT1_EES4_PKS4_PKT2_SD_SA_PKT4_PKT5_S8_PT6_21rocsparse_index_base_b.uses_vcc, 1
	.set _ZN9rocsparseL18bsrxmvn_4x4_kernelILj128ELj8E21rocsparse_complex_numIdEliS1_IfES2_S2_EEvT3_20rocsparse_direction_NS_24const_host_device_scalarIT1_EES4_PKS4_PKT2_SD_SA_PKT4_PKT5_S8_PT6_21rocsparse_index_base_b.uses_flat_scratch, 0
	.set _ZN9rocsparseL18bsrxmvn_4x4_kernelILj128ELj8E21rocsparse_complex_numIdEliS1_IfES2_S2_EEvT3_20rocsparse_direction_NS_24const_host_device_scalarIT1_EES4_PKS4_PKT2_SD_SA_PKT4_PKT5_S8_PT6_21rocsparse_index_base_b.has_dyn_sized_stack, 0
	.set _ZN9rocsparseL18bsrxmvn_4x4_kernelILj128ELj8E21rocsparse_complex_numIdEliS1_IfES2_S2_EEvT3_20rocsparse_direction_NS_24const_host_device_scalarIT1_EES4_PKS4_PKT2_SD_SA_PKT4_PKT5_S8_PT6_21rocsparse_index_base_b.has_recursion, 0
	.set _ZN9rocsparseL18bsrxmvn_4x4_kernelILj128ELj8E21rocsparse_complex_numIdEliS1_IfES2_S2_EEvT3_20rocsparse_direction_NS_24const_host_device_scalarIT1_EES4_PKS4_PKT2_SD_SA_PKT4_PKT5_S8_PT6_21rocsparse_index_base_b.has_indirect_call, 0
	.section	.AMDGPU.csdata,"",@progbits
; Kernel info:
; codeLenInByte = 10572
; TotalNumSgprs: 22
; NumVgprs: 85
; ScratchSize: 0
; MemoryBound: 0
; FloatMode: 240
; IeeeMode: 1
; LDSByteSize: 0 bytes/workgroup (compile time only)
; SGPRBlocks: 2
; VGPRBlocks: 21
; NumSGPRsForWavesPerEU: 22
; NumVGPRsForWavesPerEU: 85
; Occupancy: 2
; WaveLimiterHint : 1
; COMPUTE_PGM_RSRC2:SCRATCH_EN: 0
; COMPUTE_PGM_RSRC2:USER_SGPR: 6
; COMPUTE_PGM_RSRC2:TRAP_HANDLER: 0
; COMPUTE_PGM_RSRC2:TGID_X_EN: 1
; COMPUTE_PGM_RSRC2:TGID_Y_EN: 0
; COMPUTE_PGM_RSRC2:TGID_Z_EN: 0
; COMPUTE_PGM_RSRC2:TIDIG_COMP_CNT: 0
	.section	.text._ZN9rocsparseL18bsrxmvn_4x4_kernelILj128ELj16E21rocsparse_complex_numIdEliS1_IfES2_S2_EEvT3_20rocsparse_direction_NS_24const_host_device_scalarIT1_EES4_PKS4_PKT2_SD_SA_PKT4_PKT5_S8_PT6_21rocsparse_index_base_b,"axG",@progbits,_ZN9rocsparseL18bsrxmvn_4x4_kernelILj128ELj16E21rocsparse_complex_numIdEliS1_IfES2_S2_EEvT3_20rocsparse_direction_NS_24const_host_device_scalarIT1_EES4_PKS4_PKT2_SD_SA_PKT4_PKT5_S8_PT6_21rocsparse_index_base_b,comdat
	.globl	_ZN9rocsparseL18bsrxmvn_4x4_kernelILj128ELj16E21rocsparse_complex_numIdEliS1_IfES2_S2_EEvT3_20rocsparse_direction_NS_24const_host_device_scalarIT1_EES4_PKS4_PKT2_SD_SA_PKT4_PKT5_S8_PT6_21rocsparse_index_base_b ; -- Begin function _ZN9rocsparseL18bsrxmvn_4x4_kernelILj128ELj16E21rocsparse_complex_numIdEliS1_IfES2_S2_EEvT3_20rocsparse_direction_NS_24const_host_device_scalarIT1_EES4_PKS4_PKT2_SD_SA_PKT4_PKT5_S8_PT6_21rocsparse_index_base_b
	.p2align	8
	.type	_ZN9rocsparseL18bsrxmvn_4x4_kernelILj128ELj16E21rocsparse_complex_numIdEliS1_IfES2_S2_EEvT3_20rocsparse_direction_NS_24const_host_device_scalarIT1_EES4_PKS4_PKT2_SD_SA_PKT4_PKT5_S8_PT6_21rocsparse_index_base_b,@function
_ZN9rocsparseL18bsrxmvn_4x4_kernelILj128ELj16E21rocsparse_complex_numIdEliS1_IfES2_S2_EEvT3_20rocsparse_direction_NS_24const_host_device_scalarIT1_EES4_PKS4_PKT2_SD_SA_PKT4_PKT5_S8_PT6_21rocsparse_index_base_b: ; @_ZN9rocsparseL18bsrxmvn_4x4_kernelILj128ELj16E21rocsparse_complex_numIdEliS1_IfES2_S2_EEvT3_20rocsparse_direction_NS_24const_host_device_scalarIT1_EES4_PKS4_PKT2_SD_SA_PKT4_PKT5_S8_PT6_21rocsparse_index_base_b
; %bb.0:
	s_load_dwordx2 s[0:1], s[4:5], 0x8
	s_load_dwordx2 s[16:17], s[4:5], 0x68
	s_add_u32 s7, s4, 8
	s_addc_u32 s8, s5, 0
	s_add_u32 s9, s4, 0x50
	s_addc_u32 s10, s5, 0
	s_waitcnt lgkmcnt(0)
	s_bitcmp1_b32 s17, 0
	s_cselect_b32 s1, s8, s1
	s_cselect_b32 s0, s7, s0
	v_mov_b32_e32 v1, s0
	v_mov_b32_e32 v2, s1
	flat_load_dwordx4 v[5:8], v[1:2]
	s_load_dwordx2 s[2:3], s[4:5], 0x50
	s_waitcnt lgkmcnt(0)
	s_cselect_b32 s0, s10, s3
	s_cselect_b32 s1, s9, s2
	v_mov_b32_e32 v1, s1
	v_mov_b32_e32 v2, s0
	flat_load_dwordx4 v[1:4], v[1:2]
	s_waitcnt vmcnt(0)
	v_cmp_eq_f64_e32 vcc, 0, v[5:6]
	v_cmp_eq_f64_e64 s[0:1], 0, v[7:8]
	s_and_b64 s[8:9], vcc, s[0:1]
	s_mov_b64 s[0:1], -1
	s_and_saveexec_b64 s[2:3], s[8:9]
	s_cbranch_execz .LBB172_2
; %bb.1:
	s_waitcnt lgkmcnt(0)
	v_cmp_neq_f64_e32 vcc, 1.0, v[1:2]
	v_cmp_neq_f64_e64 s[0:1], 0, v[3:4]
	s_or_b64 s[0:1], vcc, s[0:1]
	s_orn2_b64 s[0:1], s[0:1], exec
.LBB172_2:
	s_or_b64 exec, exec, s[2:3]
	s_and_saveexec_b64 s[2:3], s[0:1]
	s_cbranch_execz .LBB172_8
; %bb.3:
	s_load_dwordx2 s[8:9], s[4:5], 0x20
	s_load_dwordx2 s[0:1], s[4:5], 0x0
	v_lshrrev_b32_e32 v9, 4, v0
	v_lshl_or_b32 v21, s6, 3, v9
	s_mov_b64 s[2:3], 0
	s_waitcnt lgkmcnt(0)
	s_cmp_lg_u64 s[8:9], 0
	s_cbranch_scc0 .LBB172_9
; %bb.4:
	s_load_dword s6, s[4:5], 0x18
                                        ; implicit-def: $vgpr9
	s_waitcnt lgkmcnt(0)
	v_cmp_gt_i32_e32 vcc, s6, v21
	s_and_saveexec_b64 s[6:7], vcc
	s_xor_b64 s[6:7], exec, s[6:7]
	s_cbranch_execz .LBB172_6
; %bb.5:
	v_ashrrev_i32_e32 v22, 31, v21
	v_lshlrev_b64 v[9:10], 2, v[21:22]
	v_mov_b32_e32 v11, s9
	v_add_co_u32_e32 v9, vcc, s8, v9
	v_addc_co_u32_e32 v10, vcc, v11, v10, vcc
	global_load_dword v9, v[9:10], off
	s_mov_b64 s[2:3], exec
	s_waitcnt vmcnt(0)
	v_subrev_u32_e32 v9, s16, v9
.LBB172_6:
	s_or_b64 exec, exec, s[6:7]
	s_branch .LBB172_10
.LBB172_7:
	v_cmp_gt_i32_e32 vcc, s0, v21
	s_andn2_b64 s[2:3], s[2:3], exec
	s_and_b64 s[6:7], vcc, exec
	s_or_b64 s[2:3], s[2:3], s[6:7]
	s_and_b64 exec, exec, s[2:3]
	s_cbranch_execnz .LBB172_11
.LBB172_8:
	s_endpgm
.LBB172_9:
                                        ; implicit-def: $vgpr9
	s_cbranch_execnz .LBB172_7
.LBB172_10:
	v_mov_b32_e32 v21, v9
	s_and_b64 exec, exec, s[2:3]
	s_cbranch_execz .LBB172_8
.LBB172_11:
	s_load_dwordx8 s[8:15], s[4:5], 0x28
	v_ashrrev_i32_e32 v22, 31, v21
	v_lshlrev_b64 v[9:10], 3, v[21:22]
	v_and_b32_e32 v0, 15, v0
	s_load_dwordx2 s[6:7], s[4:5], 0x48
	s_waitcnt lgkmcnt(0)
	v_mov_b32_e32 v12, s9
	v_add_co_u32_e32 v11, vcc, s8, v9
	v_addc_co_u32_e32 v12, vcc, v12, v10, vcc
	global_load_dwordx2 v[28:29], v[11:12], off
	v_add_co_u32_e32 v11, vcc, 8, v11
	v_addc_co_u32_e32 v12, vcc, 0, v12, vcc
	v_mov_b32_e32 v13, s11
	v_add_co_u32_e32 v9, vcc, s10, v9
	s_cmp_eq_u64 s[10:11], 0
	v_addc_co_u32_e32 v10, vcc, v13, v10, vcc
	s_cselect_b64 vcc, -1, 0
	v_cndmask_b32_e32 v10, v10, v12, vcc
	v_cndmask_b32_e32 v9, v9, v11, vcc
	global_load_dwordx2 v[9:10], v[9:10], off
	v_mov_b32_e32 v11, s15
	s_cmp_eq_u32 s1, 1
	s_waitcnt vmcnt(1)
	v_subrev_co_u32_e32 v12, vcc, s16, v28
	v_subbrev_co_u32_e32 v13, vcc, 0, v29, vcc
	v_add_co_u32_e32 v22, vcc, v12, v0
	v_addc_co_u32_e32 v23, vcc, 0, v13, vcc
	s_waitcnt vmcnt(0)
	v_subrev_co_u32_e32 v24, vcc, s16, v9
	v_subbrev_co_u32_e32 v25, vcc, 0, v10, vcc
	v_lshlrev_b64 v[9:10], 7, v[22:23]
	v_cmp_lt_i64_e64 s[0:1], v[22:23], v[24:25]
	v_add_co_u32_e32 v26, vcc, s14, v9
	v_addc_co_u32_e32 v27, vcc, v11, v10, vcc
	s_cbranch_scc1 .LBB172_23
; %bb.12:
	v_mov_b32_e32 v19, 0
	v_mov_b32_e32 v17, 0
	v_mov_b32_e32 v36, 0
	v_mov_b32_e32 v38, 0
	v_mov_b32_e32 v9, 0
	v_mov_b32_e32 v15, 0
	v_mov_b32_e32 v11, 0
	v_mov_b32_e32 v13, 0
	v_mov_b32_e32 v20, 0
	v_mov_b32_e32 v18, 0
	v_mov_b32_e32 v37, 0
	v_mov_b32_e32 v39, 0
	v_mov_b32_e32 v10, 0
	v_mov_b32_e32 v16, 0
	v_mov_b32_e32 v12, 0
	v_mov_b32_e32 v14, 0
	s_and_saveexec_b64 s[8:9], s[0:1]
	s_cbranch_execz .LBB172_22
; %bb.13:
	v_or_b32_e32 v9, 16, v0
	v_subrev_co_u32_e32 v9, vcc, s16, v9
	v_subb_co_u32_e64 v10, s[2:3], 0, 0, vcc
	v_add_co_u32_e32 v9, vcc, v9, v28
	v_addc_co_u32_e32 v10, vcc, v10, v29, vcc
	v_cmp_gt_i64_e32 vcc, v[9:10], v[24:25]
	v_not_b32_e32 v12, v28
	v_cndmask_b32_e32 v10, v25, v10, vcc
	v_cndmask_b32_e32 v9, v24, v9, vcc
	v_sub_co_u32_e32 v13, vcc, s16, v0
	v_not_b32_e32 v11, v29
	v_subb_co_u32_e64 v14, s[2:3], 0, 0, vcc
	v_add_co_u32_e32 v12, vcc, v13, v12
	v_addc_co_u32_e32 v11, vcc, v14, v11, vcc
	v_add_co_u32_e32 v34, vcc, v12, v9
	v_addc_co_u32_e32 v35, vcc, v11, v10, vcc
	v_and_b32_e32 v9, 48, v34
	v_mov_b32_e32 v10, 0
	v_cmp_ne_u64_e32 vcc, 48, v[9:10]
	v_mov_b32_e32 v13, 0
	v_mov_b32_e32 v11, 0
	;; [unrolled: 1-line block ×20, first 2 shown]
	s_and_saveexec_b64 s[10:11], vcc
	s_cbranch_execz .LBB172_17
; %bb.14:
	v_lshrrev_b32_e32 v9, 4, v34
	v_add_u32_e32 v9, 1, v9
	v_and_b32_e32 v11, 3, v9
	v_lshlrev_b64 v[9:10], 2, v[22:23]
	v_mov_b32_e32 v12, s13
	v_add_co_u32_e32 v40, vcc, s12, v9
	v_addc_co_u32_e32 v41, vcc, v12, v10, vcc
	v_sub_co_u32_e32 v42, vcc, 0, v11
	v_mov_b32_e32 v19, 0
	v_mov_b32_e32 v31, v23
	;; [unrolled: 1-line block ×10, first 2 shown]
	s_mov_b64 s[14:15], 0
	v_subb_co_u32_e64 v43, s[2:3], 0, 0, vcc
	v_mov_b32_e32 v20, 0
	s_movk_i32 s17, 0x800
	v_mov_b32_e32 v44, s7
	v_mov_b32_e32 v30, v22
	;; [unrolled: 1-line block ×10, first 2 shown]
.LBB172_15:                             ; =>This Inner Loop Header: Depth=1
	global_load_dword v53, v[40:41], off
	global_load_dwordx4 v[45:48], v[32:33], off
	global_load_dwordx4 v[49:52], v[32:33], off offset:32
	v_add_co_u32_e64 v30, s[2:3], 16, v30
	v_addc_co_u32_e64 v31, s[2:3], 0, v31, s[2:3]
	v_add_co_u32_e64 v40, s[2:3], 64, v40
	v_addc_co_u32_e64 v41, s[2:3], 0, v41, s[2:3]
	;; [unrolled: 2-line block ×3, first 2 shown]
	v_cmp_eq_u64_e64 s[2:3], 0, v[42:43]
	s_or_b64 s[14:15], s[2:3], s[14:15]
	s_waitcnt vmcnt(2)
	v_subrev_u32_e32 v53, s16, v53
	v_lshlrev_b32_e32 v53, 2, v53
	v_ashrrev_i32_e32 v54, 31, v53
	v_lshlrev_b64 v[53:54], 4, v[53:54]
	s_waitcnt vmcnt(1)
	v_cvt_f64_f32_e32 v[57:58], v45
	v_add_co_u32_e32 v59, vcc, s6, v53
	v_addc_co_u32_e32 v60, vcc, v44, v54, vcc
	global_load_dwordx4 v[53:56], v[59:60], off
	v_cvt_f64_f32_e32 v[45:46], v46
	s_waitcnt vmcnt(0)
	v_fma_f64 v[17:18], v[57:58], v[53:54], v[17:18]
	v_fma_f64 v[19:20], v[45:46], v[53:54], v[19:20]
	v_fma_f64 v[45:46], -v[45:46], v[55:56], v[17:18]
	v_cvt_f64_f32_e32 v[17:18], v49
	v_fma_f64 v[57:58], v[57:58], v[55:56], v[19:20]
	v_cvt_f64_f32_e32 v[19:20], v50
	v_fma_f64 v[38:39], v[17:18], v[53:54], v[38:39]
	v_fma_f64 v[36:37], v[19:20], v[53:54], v[36:37]
	v_fma_f64 v[38:39], -v[19:20], v[55:56], v[38:39]
	v_fma_f64 v[36:37], v[17:18], v[55:56], v[36:37]
	global_load_dwordx4 v[17:20], v[32:33], off offset:64
	s_waitcnt vmcnt(0)
	v_cvt_f64_f32_e32 v[49:50], v17
	v_cvt_f64_f32_e32 v[17:18], v18
	;; [unrolled: 1-line block ×4, first 2 shown]
	v_fma_f64 v[15:16], v[49:50], v[53:54], v[15:16]
	v_fma_f64 v[9:10], v[17:18], v[53:54], v[9:10]
	v_fma_f64 v[61:62], -v[17:18], v[55:56], v[15:16]
	global_load_dwordx4 v[15:18], v[32:33], off offset:96
	v_fma_f64 v[49:50], v[49:50], v[55:56], v[9:10]
	s_waitcnt vmcnt(0)
	v_cvt_f64_f32_e32 v[9:10], v15
	v_cvt_f64_f32_e32 v[15:16], v16
	;; [unrolled: 1-line block ×4, first 2 shown]
	v_fma_f64 v[13:14], v[9:10], v[53:54], v[13:14]
	v_fma_f64 v[11:12], v[15:16], v[53:54], v[11:12]
	v_fma_f64 v[53:54], -v[15:16], v[55:56], v[13:14]
	v_fma_f64 v[55:56], v[9:10], v[55:56], v[11:12]
	global_load_dwordx4 v[9:12], v[59:60], off offset:16
	v_cvt_f64_f32_e32 v[13:14], v47
	v_cvt_f64_f32_e32 v[15:16], v48
	;; [unrolled: 1-line block ×4, first 2 shown]
	s_waitcnt vmcnt(0)
	v_fma_f64 v[17:18], v[13:14], v[9:10], v[45:46]
	v_fma_f64 v[45:46], v[15:16], v[9:10], v[57:58]
	v_fma_f64 v[57:58], -v[15:16], v[11:12], v[17:18]
	v_fma_f64 v[45:46], v[13:14], v[11:12], v[45:46]
	v_fma_f64 v[13:14], v[47:48], v[9:10], v[38:39]
	;; [unrolled: 1-line block ×4, first 2 shown]
	v_fma_f64 v[36:37], -v[51:52], v[11:12], v[13:14]
	v_fma_f64 v[38:39], v[47:48], v[11:12], v[15:16]
	v_fma_f64 v[47:48], v[19:20], v[9:10], v[49:50]
	v_fma_f64 v[51:52], v[65:66], v[9:10], v[53:54]
	v_fma_f64 v[9:10], v[67:68], v[9:10], v[55:56]
	global_load_dwordx4 v[13:16], v[32:33], off offset:16
	v_fma_f64 v[49:50], -v[19:20], v[11:12], v[17:18]
	global_load_dwordx4 v[17:20], v[32:33], off offset:48
	v_fma_f64 v[47:48], v[63:64], v[11:12], v[47:48]
	v_fma_f64 v[51:52], -v[67:68], v[11:12], v[51:52]
	v_fma_f64 v[55:56], v[65:66], v[11:12], v[9:10]
	global_load_dwordx4 v[9:12], v[59:60], off offset:32
	s_waitcnt vmcnt(2)
	v_cvt_f64_f32_e32 v[53:54], v13
	v_cvt_f64_f32_e32 v[13:14], v14
	s_waitcnt vmcnt(1)
	v_cvt_f64_f32_e32 v[63:64], v19
	v_cvt_f64_f32_e32 v[65:66], v20
	s_waitcnt vmcnt(0)
	v_fma_f64 v[57:58], v[53:54], v[9:10], v[57:58]
	v_fma_f64 v[45:46], v[13:14], v[9:10], v[45:46]
	v_fma_f64 v[13:14], -v[13:14], v[11:12], v[57:58]
	v_cvt_f64_f32_e32 v[57:58], v17
	v_cvt_f64_f32_e32 v[17:18], v18
	v_fma_f64 v[53:54], v[53:54], v[11:12], v[45:46]
	v_fma_f64 v[36:37], v[57:58], v[9:10], v[36:37]
	;; [unrolled: 1-line block ×3, first 2 shown]
	v_fma_f64 v[61:62], -v[17:18], v[11:12], v[36:37]
	v_fma_f64 v[57:58], v[57:58], v[11:12], v[38:39]
	global_load_dwordx4 v[36:39], v[32:33], off offset:80
	s_waitcnt vmcnt(0)
	v_cvt_f64_f32_e32 v[17:18], v36
	v_cvt_f64_f32_e32 v[36:37], v37
	;; [unrolled: 1-line block ×4, first 2 shown]
	v_fma_f64 v[45:46], v[17:18], v[9:10], v[49:50]
	v_fma_f64 v[47:48], v[36:37], v[9:10], v[47:48]
	v_fma_f64 v[36:37], -v[36:37], v[11:12], v[45:46]
	v_fma_f64 v[49:50], v[17:18], v[11:12], v[47:48]
	global_load_dwordx4 v[45:48], v[32:33], off offset:112
	v_add_co_u32_e32 v32, vcc, s17, v32
	v_addc_co_u32_e32 v33, vcc, 0, v33, vcc
	s_waitcnt vmcnt(0)
	v_cvt_f64_f32_e32 v[17:18], v45
	v_cvt_f64_f32_e32 v[45:46], v46
	;; [unrolled: 1-line block ×4, first 2 shown]
	v_fma_f64 v[51:52], v[17:18], v[9:10], v[51:52]
	v_fma_f64 v[9:10], v[45:46], v[9:10], v[55:56]
	v_cvt_f64_f32_e32 v[55:56], v15
	v_cvt_f64_f32_e32 v[15:16], v16
	v_fma_f64 v[45:46], -v[45:46], v[11:12], v[51:52]
	v_fma_f64 v[51:52], v[17:18], v[11:12], v[9:10]
	global_load_dwordx4 v[9:12], v[59:60], off offset:48
	s_waitcnt vmcnt(0)
	v_fma_f64 v[13:14], v[55:56], v[9:10], v[13:14]
	v_fma_f64 v[19:20], v[15:16], v[9:10], v[53:54]
	;; [unrolled: 1-line block ×6, first 2 shown]
	v_fma_f64 v[17:18], -v[15:16], v[11:12], v[13:14]
	v_fma_f64 v[13:14], v[63:64], v[9:10], v[61:62]
	v_fma_f64 v[15:16], v[65:66], v[9:10], v[57:58]
	;; [unrolled: 1-line block ×4, first 2 shown]
	v_fma_f64 v[38:39], -v[65:66], v[11:12], v[13:14]
	v_fma_f64 v[36:37], v[63:64], v[11:12], v[15:16]
	v_fma_f64 v[15:16], -v[69:70], v[11:12], v[53:54]
	v_fma_f64 v[13:14], -v[47:48], v[11:12], v[45:46]
	v_fma_f64 v[11:12], v[71:72], v[11:12], v[51:52]
	s_andn2_b64 exec, exec, s[14:15]
	s_cbranch_execnz .LBB172_15
; %bb.16:
	s_or_b64 exec, exec, s[14:15]
.LBB172_17:
	s_or_b64 exec, exec, s[10:11]
	v_cmp_lt_u64_e32 vcc, 47, v[34:35]
	s_and_saveexec_b64 s[10:11], vcc
	s_cbranch_execz .LBB172_21
; %bb.18:
	v_lshlrev_b64 v[34:35], 2, v[30:31]
	v_mov_b32_e32 v40, s13
	v_add_co_u32_e32 v34, vcc, s12, v34
	v_addc_co_u32_e32 v35, vcc, v40, v35, vcc
	v_add_co_u32_e32 v34, vcc, 0x80, v34
	v_addc_co_u32_e32 v35, vcc, 0, v35, vcc
	s_mov_b64 s[14:15], 0
	v_mov_b32_e32 v56, s7
	s_movk_i32 s17, 0x1000
.LBB172_19:                             ; =>This Inner Loop Header: Depth=1
	global_load_dword v40, v[34:35], off offset:-128
	s_waitcnt vmcnt(0)
	v_subrev_u32_e32 v40, s16, v40
	v_lshlrev_b32_e32 v57, 2, v40
	v_ashrrev_i32_e32 v58, 31, v57
	global_load_dwordx4 v[40:43], v[32:33], off offset:48
	global_load_dwordx4 v[44:47], v[32:33], off offset:32
	;; [unrolled: 1-line block ×3, first 2 shown]
	global_load_dwordx4 v[52:55], v[32:33], off
	v_lshlrev_b64 v[57:58], 4, v[57:58]
	v_add_co_u32_e32 v75, vcc, s6, v57
	v_addc_co_u32_e32 v76, vcc, v56, v58, vcc
	global_load_dwordx4 v[57:60], v[75:76], off offset:48
	global_load_dwordx4 v[61:64], v[75:76], off offset:32
	;; [unrolled: 1-line block ×3, first 2 shown]
	global_load_dwordx4 v[69:72], v[75:76], off
	s_waitcnt vmcnt(4)
	v_cvt_f64_f32_e32 v[73:74], v52
	v_cvt_f64_f32_e32 v[52:53], v53
	s_waitcnt vmcnt(0)
	v_fma_f64 v[17:18], v[73:74], v[69:70], v[17:18]
	v_fma_f64 v[19:20], v[52:53], v[69:70], v[19:20]
	v_fma_f64 v[17:18], -v[52:53], v[71:72], v[17:18]
	v_fma_f64 v[19:20], v[73:74], v[71:72], v[19:20]
	v_cvt_f64_f32_e32 v[52:53], v54
	v_cvt_f64_f32_e32 v[54:55], v55
	v_fma_f64 v[17:18], v[52:53], v[65:66], v[17:18]
	v_fma_f64 v[19:20], v[54:55], v[65:66], v[19:20]
	v_fma_f64 v[17:18], -v[54:55], v[67:68], v[17:18]
	v_fma_f64 v[19:20], v[52:53], v[67:68], v[19:20]
	v_cvt_f64_f32_e32 v[52:53], v48
	v_cvt_f64_f32_e32 v[48:49], v49
	v_fma_f64 v[17:18], v[52:53], v[61:62], v[17:18]
	v_fma_f64 v[19:20], v[48:49], v[61:62], v[19:20]
	v_fma_f64 v[17:18], -v[48:49], v[63:64], v[17:18]
	v_cvt_f64_f32_e32 v[48:49], v50
	v_fma_f64 v[19:20], v[52:53], v[63:64], v[19:20]
	v_cvt_f64_f32_e32 v[50:51], v51
	v_fma_f64 v[17:18], v[48:49], v[57:58], v[17:18]
	v_fma_f64 v[73:74], -v[50:51], v[59:60], v[17:18]
	v_fma_f64 v[17:18], v[50:51], v[57:58], v[19:20]
	v_cvt_f64_f32_e32 v[19:20], v45
	v_fma_f64 v[75:76], v[48:49], v[59:60], v[17:18]
	v_cvt_f64_f32_e32 v[17:18], v44
	v_fma_f64 v[38:39], v[17:18], v[69:70], v[38:39]
	v_fma_f64 v[38:39], -v[19:20], v[71:72], v[38:39]
	v_fma_f64 v[19:20], v[19:20], v[69:70], v[36:37]
	v_cvt_f64_f32_e32 v[36:37], v47
	v_fma_f64 v[17:18], v[17:18], v[71:72], v[19:20]
	v_cvt_f64_f32_e32 v[19:20], v46
	v_fma_f64 v[38:39], v[19:20], v[65:66], v[38:39]
	v_fma_f64 v[17:18], v[36:37], v[65:66], v[17:18]
	v_fma_f64 v[38:39], -v[36:37], v[67:68], v[38:39]
	v_cvt_f64_f32_e32 v[36:37], v41
	v_fma_f64 v[17:18], v[19:20], v[67:68], v[17:18]
	v_cvt_f64_f32_e32 v[19:20], v40
	v_fma_f64 v[38:39], v[19:20], v[61:62], v[38:39]
	v_fma_f64 v[17:18], v[36:37], v[61:62], v[17:18]
	v_fma_f64 v[38:39], -v[36:37], v[63:64], v[38:39]
	;; [unrolled: 6-line block ×3, first 2 shown]
	v_fma_f64 v[79:80], v[19:20], v[59:60], v[17:18]
	global_load_dwordx4 v[17:20], v[32:33], off offset:112
	global_load_dwordx4 v[36:39], v[32:33], off offset:96
	;; [unrolled: 1-line block ×4, first 2 shown]
	s_waitcnt vmcnt(0)
	v_cvt_f64_f32_e32 v[48:49], v44
	v_cvt_f64_f32_e32 v[44:45], v45
	v_fma_f64 v[15:16], v[48:49], v[69:70], v[15:16]
	v_fma_f64 v[9:10], v[44:45], v[69:70], v[9:10]
	v_fma_f64 v[15:16], -v[44:45], v[71:72], v[15:16]
	v_fma_f64 v[9:10], v[48:49], v[71:72], v[9:10]
	v_cvt_f64_f32_e32 v[44:45], v46
	v_cvt_f64_f32_e32 v[46:47], v47
	v_fma_f64 v[15:16], v[44:45], v[65:66], v[15:16]
	v_fma_f64 v[9:10], v[46:47], v[65:66], v[9:10]
	v_fma_f64 v[15:16], -v[46:47], v[67:68], v[15:16]
	v_fma_f64 v[9:10], v[44:45], v[67:68], v[9:10]
	;; [unrolled: 6-line block ×3, first 2 shown]
	v_cvt_f64_f32_e32 v[40:41], v42
	v_cvt_f64_f32_e32 v[42:43], v43
	v_fma_f64 v[15:16], v[40:41], v[57:58], v[15:16]
	v_fma_f64 v[9:10], v[42:43], v[57:58], v[9:10]
	v_fma_f64 v[81:82], -v[42:43], v[59:60], v[15:16]
	v_cvt_f64_f32_e32 v[15:16], v37
	v_fma_f64 v[83:84], v[40:41], v[59:60], v[9:10]
	v_cvt_f64_f32_e32 v[9:10], v36
	v_fma_f64 v[11:12], v[15:16], v[69:70], v[11:12]
	v_fma_f64 v[13:14], v[9:10], v[69:70], v[13:14]
	v_fma_f64 v[9:10], v[9:10], v[71:72], v[11:12]
	v_cvt_f64_f32_e32 v[11:12], v38
	v_fma_f64 v[13:14], -v[15:16], v[71:72], v[13:14]
	v_cvt_f64_f32_e32 v[15:16], v39
	v_fma_f64 v[9:10], v[15:16], v[65:66], v[9:10]
	v_fma_f64 v[13:14], v[11:12], v[65:66], v[13:14]
	v_fma_f64 v[9:10], v[11:12], v[67:68], v[9:10]
	v_cvt_f64_f32_e32 v[11:12], v17
	v_fma_f64 v[13:14], -v[15:16], v[67:68], v[13:14]
	;; [unrolled: 6-line block ×3, first 2 shown]
	v_cvt_f64_f32_e32 v[15:16], v20
	v_fma_f64 v[9:10], v[15:16], v[57:58], v[9:10]
	v_fma_f64 v[13:14], v[11:12], v[57:58], v[13:14]
	;; [unrolled: 1-line block ×3, first 2 shown]
	global_load_dword v9, v[34:35], off offset:-64
	v_fma_f64 v[61:62], -v[15:16], v[59:60], v[13:14]
	s_waitcnt vmcnt(0)
	v_subrev_u32_e32 v9, s16, v9
	v_lshlrev_b32_e32 v40, 2, v9
	v_ashrrev_i32_e32 v41, 31, v40
	global_load_dwordx4 v[9:12], v[32:33], off offset:2096
	global_load_dwordx4 v[13:16], v[32:33], off offset:2080
	;; [unrolled: 1-line block ×4, first 2 shown]
	v_lshlrev_b64 v[40:41], 4, v[40:41]
	v_add_co_u32_e32 v63, vcc, s6, v40
	v_addc_co_u32_e32 v64, vcc, v56, v41, vcc
	global_load_dwordx4 v[40:43], v[63:64], off offset:48
	global_load_dwordx4 v[44:47], v[63:64], off offset:32
	;; [unrolled: 1-line block ×3, first 2 shown]
	global_load_dwordx4 v[52:55], v[63:64], off
	s_waitcnt vmcnt(4)
	v_cvt_f64_f32_e32 v[59:60], v36
	v_cvt_f64_f32_e32 v[36:37], v37
	s_waitcnt vmcnt(0)
	v_fma_f64 v[63:64], v[59:60], v[52:53], v[73:74]
	v_fma_f64 v[63:64], -v[36:37], v[54:55], v[63:64]
	v_fma_f64 v[36:37], v[36:37], v[52:53], v[75:76]
	v_fma_f64 v[36:37], v[59:60], v[54:55], v[36:37]
	v_cvt_f64_f32_e32 v[59:60], v38
	v_cvt_f64_f32_e32 v[38:39], v39
	v_fma_f64 v[63:64], v[59:60], v[48:49], v[63:64]
	v_fma_f64 v[36:37], v[38:39], v[48:49], v[36:37]
	v_fma_f64 v[63:64], -v[38:39], v[50:51], v[63:64]
	v_cvt_f64_f32_e32 v[38:39], v17
	v_cvt_f64_f32_e32 v[17:18], v18
	v_fma_f64 v[36:37], v[59:60], v[50:51], v[36:37]
	v_fma_f64 v[59:60], v[38:39], v[44:45], v[63:64]
	v_fma_f64 v[59:60], -v[17:18], v[46:47], v[59:60]
	v_fma_f64 v[17:18], v[17:18], v[44:45], v[36:37]
	v_cvt_f64_f32_e32 v[36:37], v19
	v_cvt_f64_f32_e32 v[19:20], v20
	v_fma_f64 v[17:18], v[38:39], v[46:47], v[17:18]
	v_fma_f64 v[38:39], v[36:37], v[40:41], v[59:60]
	;; [unrolled: 1-line block ×3, first 2 shown]
	v_fma_f64 v[69:70], -v[19:20], v[42:43], v[38:39]
	v_fma_f64 v[71:72], v[36:37], v[42:43], v[17:18]
	v_cvt_f64_f32_e32 v[17:18], v13
	v_cvt_f64_f32_e32 v[13:14], v14
	v_fma_f64 v[19:20], v[17:18], v[52:53], v[77:78]
	v_fma_f64 v[19:20], -v[13:14], v[54:55], v[19:20]
	v_fma_f64 v[13:14], v[13:14], v[52:53], v[79:80]
	v_fma_f64 v[13:14], v[17:18], v[54:55], v[13:14]
	v_cvt_f64_f32_e32 v[17:18], v15
	v_cvt_f64_f32_e32 v[15:16], v16
	v_fma_f64 v[19:20], v[17:18], v[48:49], v[19:20]
	v_fma_f64 v[13:14], v[15:16], v[48:49], v[13:14]
	v_fma_f64 v[19:20], -v[15:16], v[50:51], v[19:20]
	v_cvt_f64_f32_e32 v[15:16], v9
	v_cvt_f64_f32_e32 v[9:10], v10
	v_fma_f64 v[13:14], v[17:18], v[50:51], v[13:14]
	v_fma_f64 v[17:18], v[15:16], v[44:45], v[19:20]
	v_fma_f64 v[17:18], -v[9:10], v[46:47], v[17:18]
	v_fma_f64 v[9:10], v[9:10], v[44:45], v[13:14]
	v_cvt_f64_f32_e32 v[13:14], v11
	v_cvt_f64_f32_e32 v[11:12], v12
	v_fma_f64 v[9:10], v[15:16], v[46:47], v[9:10]
	v_fma_f64 v[15:16], v[13:14], v[40:41], v[17:18]
	;; [unrolled: 1-line block ×3, first 2 shown]
	v_fma_f64 v[73:74], -v[11:12], v[42:43], v[15:16]
	v_fma_f64 v[75:76], v[13:14], v[42:43], v[9:10]
	global_load_dwordx4 v[9:12], v[32:33], off offset:2160
	global_load_dwordx4 v[13:16], v[32:33], off offset:2144
	global_load_dwordx4 v[17:20], v[32:33], off offset:2128
	global_load_dwordx4 v[36:39], v[32:33], off offset:2112
	s_waitcnt vmcnt(0)
	v_cvt_f64_f32_e32 v[59:60], v36
	v_cvt_f64_f32_e32 v[36:37], v37
	v_fma_f64 v[63:64], v[59:60], v[52:53], v[81:82]
	v_fma_f64 v[63:64], -v[36:37], v[54:55], v[63:64]
	v_fma_f64 v[36:37], v[36:37], v[52:53], v[83:84]
	v_fma_f64 v[36:37], v[59:60], v[54:55], v[36:37]
	v_cvt_f64_f32_e32 v[59:60], v38
	v_cvt_f64_f32_e32 v[38:39], v39
	v_fma_f64 v[63:64], v[59:60], v[48:49], v[63:64]
	v_fma_f64 v[36:37], v[38:39], v[48:49], v[36:37]
	v_fma_f64 v[63:64], -v[38:39], v[50:51], v[63:64]
	v_cvt_f64_f32_e32 v[38:39], v17
	v_cvt_f64_f32_e32 v[17:18], v18
	v_fma_f64 v[36:37], v[59:60], v[50:51], v[36:37]
	v_fma_f64 v[59:60], v[38:39], v[44:45], v[63:64]
	v_fma_f64 v[59:60], -v[17:18], v[46:47], v[59:60]
	v_fma_f64 v[17:18], v[17:18], v[44:45], v[36:37]
	v_cvt_f64_f32_e32 v[36:37], v19
	v_cvt_f64_f32_e32 v[19:20], v20
	v_fma_f64 v[17:18], v[38:39], v[46:47], v[17:18]
	v_fma_f64 v[38:39], v[36:37], v[40:41], v[59:60]
	;; [unrolled: 1-line block ×3, first 2 shown]
	v_fma_f64 v[77:78], -v[19:20], v[42:43], v[38:39]
	v_fma_f64 v[79:80], v[36:37], v[42:43], v[17:18]
	v_cvt_f64_f32_e32 v[17:18], v13
	v_cvt_f64_f32_e32 v[13:14], v14
	v_fma_f64 v[19:20], v[17:18], v[52:53], v[61:62]
	v_fma_f64 v[19:20], -v[13:14], v[54:55], v[19:20]
	v_fma_f64 v[13:14], v[13:14], v[52:53], v[57:58]
	v_fma_f64 v[13:14], v[17:18], v[54:55], v[13:14]
	v_cvt_f64_f32_e32 v[17:18], v15
	v_cvt_f64_f32_e32 v[15:16], v16
	v_fma_f64 v[19:20], v[17:18], v[48:49], v[19:20]
	v_fma_f64 v[13:14], v[15:16], v[48:49], v[13:14]
	v_fma_f64 v[19:20], -v[15:16], v[50:51], v[19:20]
	v_cvt_f64_f32_e32 v[15:16], v9
	v_cvt_f64_f32_e32 v[9:10], v10
	v_fma_f64 v[13:14], v[17:18], v[50:51], v[13:14]
	v_fma_f64 v[17:18], v[15:16], v[44:45], v[19:20]
	v_fma_f64 v[17:18], -v[9:10], v[46:47], v[17:18]
	v_fma_f64 v[9:10], v[9:10], v[44:45], v[13:14]
	v_cvt_f64_f32_e32 v[13:14], v11
	v_cvt_f64_f32_e32 v[11:12], v12
	v_fma_f64 v[9:10], v[15:16], v[46:47], v[9:10]
	v_fma_f64 v[15:16], v[13:14], v[40:41], v[17:18]
	;; [unrolled: 1-line block ×3, first 2 shown]
	v_fma_f64 v[54:55], -v[11:12], v[42:43], v[15:16]
	v_add_co_u32_e32 v40, vcc, s17, v32
	v_addc_co_u32_e32 v41, vcc, 0, v33, vcc
	v_fma_f64 v[81:82], v[13:14], v[42:43], v[9:10]
	global_load_dword v9, v[34:35], off
	s_waitcnt vmcnt(0)
	v_subrev_u32_e32 v9, s16, v9
	v_lshlrev_b32_e32 v42, 2, v9
	v_ashrrev_i32_e32 v43, 31, v42
	v_lshlrev_b64 v[42:43], 4, v[42:43]
	global_load_dwordx4 v[9:12], v[40:41], off
	global_load_dwordx4 v[13:16], v[40:41], off offset:48
	global_load_dwordx4 v[17:20], v[40:41], off offset:32
	;; [unrolled: 1-line block ×3, first 2 shown]
	v_add_co_u32_e32 v48, vcc, s6, v42
	v_addc_co_u32_e32 v49, vcc, v56, v43, vcc
	global_load_dwordx4 v[57:60], v[48:49], off offset:48
	global_load_dwordx4 v[42:45], v[48:49], off offset:32
	;; [unrolled: 1-line block ×3, first 2 shown]
	global_load_dwordx4 v[65:68], v[48:49], off
	s_waitcnt vmcnt(7)
	v_cvt_f64_f32_e32 v[46:47], v9
	v_cvt_f64_f32_e32 v[9:10], v10
	s_waitcnt vmcnt(0)
	v_fma_f64 v[48:49], v[46:47], v[65:66], v[69:70]
	v_fma_f64 v[48:49], -v[9:10], v[67:68], v[48:49]
	v_fma_f64 v[9:10], v[9:10], v[65:66], v[71:72]
	v_fma_f64 v[9:10], v[46:47], v[67:68], v[9:10]
	v_cvt_f64_f32_e32 v[46:47], v11
	v_cvt_f64_f32_e32 v[11:12], v12
	v_fma_f64 v[48:49], v[46:47], v[61:62], v[48:49]
	v_fma_f64 v[9:10], v[11:12], v[61:62], v[9:10]
	v_fma_f64 v[48:49], -v[11:12], v[63:64], v[48:49]
	v_cvt_f64_f32_e32 v[11:12], v36
	v_cvt_f64_f32_e32 v[36:37], v37
	v_fma_f64 v[9:10], v[46:47], v[63:64], v[9:10]
	v_fma_f64 v[46:47], v[11:12], v[42:43], v[48:49]
	;; [unrolled: 1-line block ×3, first 2 shown]
	v_fma_f64 v[46:47], -v[36:37], v[44:45], v[46:47]
	v_cvt_f64_f32_e32 v[36:37], v39
	v_fma_f64 v[9:10], v[11:12], v[44:45], v[9:10]
	v_cvt_f64_f32_e32 v[11:12], v38
	v_fma_f64 v[38:39], v[11:12], v[57:58], v[46:47]
	v_fma_f64 v[9:10], v[36:37], v[57:58], v[9:10]
	v_fma_f64 v[50:51], -v[36:37], v[59:60], v[38:39]
	v_fma_f64 v[52:53], v[11:12], v[59:60], v[9:10]
	v_cvt_f64_f32_e32 v[9:10], v17
	v_cvt_f64_f32_e32 v[11:12], v18
	v_fma_f64 v[17:18], v[9:10], v[65:66], v[73:74]
	v_fma_f64 v[17:18], -v[11:12], v[67:68], v[17:18]
	v_fma_f64 v[11:12], v[11:12], v[65:66], v[75:76]
	v_fma_f64 v[9:10], v[9:10], v[67:68], v[11:12]
	v_cvt_f64_f32_e32 v[11:12], v19
	v_cvt_f64_f32_e32 v[19:20], v20
	v_fma_f64 v[17:18], v[11:12], v[61:62], v[17:18]
	v_fma_f64 v[9:10], v[19:20], v[61:62], v[9:10]
	v_fma_f64 v[17:18], -v[19:20], v[63:64], v[17:18]
	v_fma_f64 v[9:10], v[11:12], v[63:64], v[9:10]
	v_cvt_f64_f32_e32 v[11:12], v13
	v_cvt_f64_f32_e32 v[13:14], v14
	v_fma_f64 v[17:18], v[11:12], v[42:43], v[17:18]
	v_fma_f64 v[9:10], v[13:14], v[42:43], v[9:10]
	v_fma_f64 v[17:18], -v[13:14], v[44:45], v[17:18]
	v_cvt_f64_f32_e32 v[13:14], v16
	v_fma_f64 v[9:10], v[11:12], v[44:45], v[9:10]
	v_cvt_f64_f32_e32 v[11:12], v15
	v_fma_f64 v[15:16], v[11:12], v[57:58], v[17:18]
	v_fma_f64 v[9:10], v[13:14], v[57:58], v[9:10]
	v_fma_f64 v[36:37], -v[13:14], v[59:60], v[15:16]
	v_fma_f64 v[38:39], v[11:12], v[59:60], v[9:10]
	global_load_dwordx4 v[9:12], v[40:41], off offset:112
	global_load_dwordx4 v[13:16], v[40:41], off offset:96
	;; [unrolled: 1-line block ×4, first 2 shown]
	s_waitcnt vmcnt(0)
	v_cvt_f64_f32_e32 v[69:70], v46
	v_cvt_f64_f32_e32 v[46:47], v47
	v_fma_f64 v[71:72], v[69:70], v[65:66], v[77:78]
	v_fma_f64 v[71:72], -v[46:47], v[67:68], v[71:72]
	v_fma_f64 v[46:47], v[46:47], v[65:66], v[79:80]
	v_fma_f64 v[46:47], v[69:70], v[67:68], v[46:47]
	v_cvt_f64_f32_e32 v[69:70], v48
	v_cvt_f64_f32_e32 v[48:49], v49
	v_fma_f64 v[71:72], v[69:70], v[61:62], v[71:72]
	v_fma_f64 v[46:47], v[48:49], v[61:62], v[46:47]
	v_fma_f64 v[71:72], -v[48:49], v[63:64], v[71:72]
	v_cvt_f64_f32_e32 v[48:49], v17
	v_cvt_f64_f32_e32 v[17:18], v18
	v_fma_f64 v[46:47], v[69:70], v[63:64], v[46:47]
	v_fma_f64 v[69:70], v[48:49], v[42:43], v[71:72]
	v_fma_f64 v[69:70], -v[17:18], v[44:45], v[69:70]
	v_fma_f64 v[17:18], v[17:18], v[42:43], v[46:47]
	v_fma_f64 v[17:18], v[48:49], v[44:45], v[17:18]
	v_cvt_f64_f32_e32 v[48:49], v19
	v_cvt_f64_f32_e32 v[19:20], v20
	v_fma_f64 v[46:47], v[48:49], v[57:58], v[69:70]
	v_fma_f64 v[17:18], v[19:20], v[57:58], v[17:18]
	v_fma_f64 v[46:47], -v[19:20], v[59:60], v[46:47]
	v_fma_f64 v[48:49], v[48:49], v[59:60], v[17:18]
	v_cvt_f64_f32_e32 v[17:18], v13
	v_cvt_f64_f32_e32 v[13:14], v14
	v_fma_f64 v[19:20], v[17:18], v[65:66], v[54:55]
	v_fma_f64 v[19:20], -v[13:14], v[67:68], v[19:20]
	v_fma_f64 v[13:14], v[13:14], v[65:66], v[81:82]
	v_fma_f64 v[13:14], v[17:18], v[67:68], v[13:14]
	v_cvt_f64_f32_e32 v[17:18], v15
	v_cvt_f64_f32_e32 v[15:16], v16
	v_fma_f64 v[19:20], v[17:18], v[61:62], v[19:20]
	v_fma_f64 v[13:14], v[15:16], v[61:62], v[13:14]
	v_fma_f64 v[19:20], -v[15:16], v[63:64], v[19:20]
	v_cvt_f64_f32_e32 v[15:16], v9
	v_cvt_f64_f32_e32 v[9:10], v10
	v_fma_f64 v[13:14], v[17:18], v[63:64], v[13:14]
	v_fma_f64 v[17:18], v[15:16], v[42:43], v[19:20]
	v_fma_f64 v[17:18], -v[9:10], v[44:45], v[17:18]
	v_fma_f64 v[9:10], v[9:10], v[42:43], v[13:14]
	v_cvt_f64_f32_e32 v[13:14], v11
	v_cvt_f64_f32_e32 v[11:12], v12
	v_fma_f64 v[9:10], v[15:16], v[44:45], v[9:10]
	v_fma_f64 v[15:16], v[13:14], v[57:58], v[17:18]
	v_fma_f64 v[9:10], v[11:12], v[57:58], v[9:10]
	v_fma_f64 v[42:43], -v[11:12], v[59:60], v[15:16]
	v_fma_f64 v[44:45], v[13:14], v[59:60], v[9:10]
	global_load_dword v9, v[34:35], off offset:64
	s_waitcnt vmcnt(0)
	v_subrev_u32_e32 v9, s16, v9
	v_lshlrev_b32_e32 v54, 2, v9
	v_ashrrev_i32_e32 v55, 31, v54
	global_load_dwordx4 v[9:12], v[40:41], off offset:2096
	global_load_dwordx4 v[13:16], v[40:41], off offset:2080
	;; [unrolled: 1-line block ×4, first 2 shown]
	v_lshlrev_b64 v[54:55], 4, v[54:55]
	v_add_co_u32_e32 v54, vcc, s6, v54
	v_addc_co_u32_e32 v55, vcc, v56, v55, vcc
	global_load_dwordx4 v[61:64], v[54:55], off offset:48
	global_load_dwordx4 v[65:68], v[54:55], off offset:32
	;; [unrolled: 1-line block ×3, first 2 shown]
	global_load_dwordx4 v[73:76], v[54:55], off
	v_add_co_u32_e32 v30, vcc, 64, v30
	v_addc_co_u32_e32 v31, vcc, 0, v31, vcc
	v_add_co_u32_e32 v34, vcc, 0x100, v34
	v_addc_co_u32_e32 v35, vcc, 0, v35, vcc
	v_cmp_ge_i64_e64 s[2:3], v[30:31], v[24:25]
	v_add_co_u32_e32 v32, vcc, 0x2000, v32
	v_addc_co_u32_e32 v33, vcc, 0, v33, vcc
	s_or_b64 s[14:15], s[2:3], s[14:15]
	s_waitcnt vmcnt(4)
	v_cvt_f64_f32_e32 v[77:78], v57
	v_cvt_f64_f32_e32 v[57:58], v58
	;; [unrolled: 1-line block ×3, first 2 shown]
	s_waitcnt vmcnt(0)
	v_fma_f64 v[50:51], v[77:78], v[73:74], v[50:51]
	v_fma_f64 v[52:53], v[57:58], v[73:74], v[52:53]
	v_fma_f64 v[50:51], -v[57:58], v[75:76], v[50:51]
	v_fma_f64 v[52:53], v[77:78], v[75:76], v[52:53]
	v_cvt_f64_f32_e32 v[57:58], v60
	v_fma_f64 v[50:51], v[54:55], v[69:70], v[50:51]
	v_fma_f64 v[52:53], v[57:58], v[69:70], v[52:53]
	v_fma_f64 v[50:51], -v[57:58], v[71:72], v[50:51]
	v_fma_f64 v[52:53], v[54:55], v[71:72], v[52:53]
	v_cvt_f64_f32_e32 v[54:55], v17
	v_cvt_f64_f32_e32 v[17:18], v18
	v_fma_f64 v[50:51], v[54:55], v[65:66], v[50:51]
	v_fma_f64 v[50:51], -v[17:18], v[67:68], v[50:51]
	v_fma_f64 v[17:18], v[17:18], v[65:66], v[52:53]
	v_fma_f64 v[52:53], v[54:55], v[67:68], v[17:18]
	v_cvt_f64_f32_e32 v[54:55], v19
	v_cvt_f64_f32_e32 v[19:20], v20
	v_fma_f64 v[17:18], v[54:55], v[61:62], v[50:51]
	v_cvt_f64_f32_e32 v[50:51], v13
	v_cvt_f64_f32_e32 v[13:14], v14
	v_fma_f64 v[36:37], v[50:51], v[73:74], v[36:37]
	v_fma_f64 v[17:18], -v[19:20], v[63:64], v[17:18]
	v_fma_f64 v[19:20], v[19:20], v[61:62], v[52:53]
	v_fma_f64 v[36:37], -v[13:14], v[75:76], v[36:37]
	v_fma_f64 v[13:14], v[13:14], v[73:74], v[38:39]
	v_cvt_f64_f32_e32 v[38:39], v15
	v_cvt_f64_f32_e32 v[15:16], v16
	v_fma_f64 v[19:20], v[54:55], v[63:64], v[19:20]
	v_fma_f64 v[36:37], v[38:39], v[69:70], v[36:37]
	;; [unrolled: 1-line block ×3, first 2 shown]
	v_fma_f64 v[36:37], -v[15:16], v[71:72], v[36:37]
	v_fma_f64 v[13:14], v[15:16], v[69:70], v[13:14]
	v_cvt_f64_f32_e32 v[15:16], v9
	v_cvt_f64_f32_e32 v[9:10], v10
	v_fma_f64 v[36:37], v[15:16], v[65:66], v[36:37]
	v_fma_f64 v[13:14], v[38:39], v[71:72], v[13:14]
	v_fma_f64 v[36:37], -v[9:10], v[67:68], v[36:37]
	v_fma_f64 v[9:10], v[9:10], v[65:66], v[13:14]
	v_cvt_f64_f32_e32 v[13:14], v11
	v_cvt_f64_f32_e32 v[11:12], v12
	v_fma_f64 v[9:10], v[15:16], v[67:68], v[9:10]
	v_fma_f64 v[15:16], v[13:14], v[61:62], v[36:37]
	v_fma_f64 v[9:10], v[11:12], v[61:62], v[9:10]
	v_fma_f64 v[38:39], -v[11:12], v[63:64], v[15:16]
	v_fma_f64 v[36:37], v[13:14], v[63:64], v[9:10]
	global_load_dwordx4 v[11:14], v[40:41], off offset:2160
	global_load_dwordx4 v[50:53], v[40:41], off offset:2144
	;; [unrolled: 1-line block ×4, first 2 shown]
	s_waitcnt vmcnt(0)
	v_cvt_f64_f32_e32 v[9:10], v77
	v_cvt_f64_f32_e32 v[15:16], v78
	v_fma_f64 v[40:41], v[9:10], v[73:74], v[46:47]
	v_cvt_f64_f32_e32 v[46:47], v80
	v_fma_f64 v[40:41], -v[15:16], v[75:76], v[40:41]
	v_fma_f64 v[15:16], v[15:16], v[73:74], v[48:49]
	v_cvt_f64_f32_e32 v[48:49], v60
	v_fma_f64 v[9:10], v[9:10], v[75:76], v[15:16]
	v_cvt_f64_f32_e32 v[15:16], v79
	v_fma_f64 v[40:41], v[15:16], v[69:70], v[40:41]
	v_fma_f64 v[9:10], v[46:47], v[69:70], v[9:10]
	v_fma_f64 v[40:41], -v[46:47], v[71:72], v[40:41]
	v_cvt_f64_f32_e32 v[46:47], v58
	v_fma_f64 v[9:10], v[15:16], v[71:72], v[9:10]
	v_cvt_f64_f32_e32 v[15:16], v57
	v_fma_f64 v[40:41], v[15:16], v[65:66], v[40:41]
	v_fma_f64 v[9:10], v[46:47], v[65:66], v[9:10]
	v_fma_f64 v[40:41], -v[46:47], v[67:68], v[40:41]
	v_cvt_f64_f32_e32 v[46:47], v59
	v_fma_f64 v[9:10], v[15:16], v[67:68], v[9:10]
	v_fma_f64 v[15:16], v[46:47], v[61:62], v[40:41]
	v_cvt_f64_f32_e32 v[40:41], v50
	v_fma_f64 v[9:10], v[48:49], v[61:62], v[9:10]
	v_fma_f64 v[42:43], v[40:41], v[73:74], v[42:43]
	v_fma_f64 v[15:16], -v[48:49], v[63:64], v[15:16]
	v_fma_f64 v[9:10], v[46:47], v[63:64], v[9:10]
	v_cvt_f64_f32_e32 v[46:47], v51
	v_fma_f64 v[44:45], v[46:47], v[73:74], v[44:45]
	v_fma_f64 v[42:43], -v[46:47], v[75:76], v[42:43]
	v_cvt_f64_f32_e32 v[46:47], v53
	v_fma_f64 v[40:41], v[40:41], v[75:76], v[44:45]
	v_cvt_f64_f32_e32 v[44:45], v52
	v_fma_f64 v[42:43], v[44:45], v[69:70], v[42:43]
	v_fma_f64 v[40:41], v[46:47], v[69:70], v[40:41]
	v_fma_f64 v[42:43], -v[46:47], v[71:72], v[42:43]
	v_fma_f64 v[40:41], v[44:45], v[71:72], v[40:41]
	v_cvt_f64_f32_e32 v[44:45], v11
	v_cvt_f64_f32_e32 v[11:12], v12
	v_fma_f64 v[42:43], v[44:45], v[65:66], v[42:43]
	v_fma_f64 v[42:43], -v[11:12], v[67:68], v[42:43]
	v_fma_f64 v[11:12], v[11:12], v[65:66], v[40:41]
	v_cvt_f64_f32_e32 v[40:41], v13
	v_fma_f64 v[11:12], v[44:45], v[67:68], v[11:12]
	v_cvt_f64_f32_e32 v[44:45], v14
	v_fma_f64 v[13:14], v[40:41], v[61:62], v[42:43]
	v_fma_f64 v[11:12], v[44:45], v[61:62], v[11:12]
	v_fma_f64 v[13:14], -v[44:45], v[63:64], v[13:14]
	v_fma_f64 v[11:12], v[40:41], v[63:64], v[11:12]
	s_andn2_b64 exec, exec, s[14:15]
	s_cbranch_execnz .LBB172_19
; %bb.20:
	s_or_b64 exec, exec, s[14:15]
.LBB172_21:
	s_or_b64 exec, exec, s[10:11]
.LBB172_22:
	s_or_b64 exec, exec, s[8:9]
	s_cbranch_execz .LBB172_24
	s_branch .LBB172_35
.LBB172_23:
                                        ; implicit-def: $vgpr19_vgpr20
                                        ; implicit-def: $vgpr17_vgpr18
                                        ; implicit-def: $vgpr36_vgpr37
                                        ; implicit-def: $vgpr38_vgpr39
                                        ; implicit-def: $vgpr9_vgpr10
                                        ; implicit-def: $vgpr15_vgpr16
                                        ; implicit-def: $vgpr11_vgpr12
                                        ; implicit-def: $vgpr13_vgpr14
.LBB172_24:
	v_mov_b32_e32 v19, 0
	v_mov_b32_e32 v17, 0
	;; [unrolled: 1-line block ×16, first 2 shown]
	s_and_saveexec_b64 s[2:3], s[0:1]
	s_cbranch_execz .LBB172_34
; %bb.25:
	v_or_b32_e32 v9, 16, v0
	v_subrev_co_u32_e32 v9, vcc, s16, v9
	v_subb_co_u32_e64 v10, s[0:1], 0, 0, vcc
	v_add_co_u32_e32 v9, vcc, v9, v28
	v_addc_co_u32_e32 v10, vcc, v10, v29, vcc
	v_cmp_gt_i64_e32 vcc, v[9:10], v[24:25]
	v_not_b32_e32 v12, v28
	v_cndmask_b32_e32 v10, v25, v10, vcc
	v_cndmask_b32_e32 v9, v24, v9, vcc
	v_sub_co_u32_e32 v13, vcc, s16, v0
	v_not_b32_e32 v11, v29
	v_subb_co_u32_e64 v14, s[0:1], 0, 0, vcc
	v_add_co_u32_e32 v12, vcc, v13, v12
	v_addc_co_u32_e32 v11, vcc, v14, v11, vcc
	v_add_co_u32_e32 v28, vcc, v12, v9
	v_addc_co_u32_e32 v29, vcc, v11, v10, vcc
	v_and_b32_e32 v9, 48, v28
	v_mov_b32_e32 v10, 0
	v_cmp_ne_u64_e32 vcc, 48, v[9:10]
	v_mov_b32_e32 v13, 0
	v_mov_b32_e32 v11, 0
	;; [unrolled: 1-line block ×16, first 2 shown]
	s_and_saveexec_b64 s[0:1], vcc
	s_cbranch_execz .LBB172_29
; %bb.26:
	v_lshrrev_b32_e32 v9, 4, v28
	v_add_u32_e32 v9, 1, v9
	v_and_b32_e32 v11, 3, v9
	v_lshlrev_b64 v[9:10], 2, v[22:23]
	v_mov_b32_e32 v12, s13
	v_add_co_u32_e32 v30, vcc, s12, v9
	v_addc_co_u32_e32 v31, vcc, v12, v10, vcc
	v_sub_co_u32_e32 v32, vcc, 0, v11
	v_subb_co_u32_e64 v33, s[10:11], 0, 0, vcc
	v_mov_b32_e32 v19, 0
	v_mov_b32_e32 v17, 0
	;; [unrolled: 1-line block ×8, first 2 shown]
	s_mov_b64 s[8:9], 0
	v_mov_b32_e32 v20, 0
	s_movk_i32 s10, 0x800
	v_mov_b32_e32 v18, 0
	v_mov_b32_e32 v37, 0
	;; [unrolled: 1-line block ×8, first 2 shown]
.LBB172_27:                             ; =>This Inner Loop Header: Depth=1
	global_load_dword v35, v[30:31], off
	global_load_dwordx4 v[40:43], v[26:27], off offset:48
	global_load_dwordx4 v[44:47], v[26:27], off offset:32
	;; [unrolled: 1-line block ×3, first 2 shown]
	global_load_dwordx4 v[52:55], v[26:27], off
	s_waitcnt vmcnt(4)
	v_subrev_u32_e32 v35, s16, v35
	v_lshlrev_b32_e32 v56, 2, v35
	v_ashrrev_i32_e32 v57, 31, v56
	v_lshlrev_b64 v[56:57], 4, v[56:57]
	s_waitcnt vmcnt(0)
	v_cvt_f64_f32_e32 v[72:73], v52
	v_add_co_u32_e32 v74, vcc, s6, v56
	v_addc_co_u32_e32 v75, vcc, v34, v57, vcc
	global_load_dwordx4 v[56:59], v[74:75], off offset:48
	global_load_dwordx4 v[60:63], v[74:75], off offset:32
	;; [unrolled: 1-line block ×3, first 2 shown]
	global_load_dwordx4 v[68:71], v[74:75], off
	v_cvt_f64_f32_e32 v[52:53], v53
	s_waitcnt vmcnt(0)
	v_fma_f64 v[17:18], v[72:73], v[68:69], v[17:18]
	v_fma_f64 v[19:20], v[52:53], v[68:69], v[19:20]
	v_fma_f64 v[17:18], -v[52:53], v[70:71], v[17:18]
	v_cvt_f64_f32_e32 v[52:53], v54
	v_cvt_f64_f32_e32 v[54:55], v55
	v_fma_f64 v[19:20], v[72:73], v[70:71], v[19:20]
	v_fma_f64 v[38:39], v[52:53], v[68:69], v[38:39]
	;; [unrolled: 1-line block ×3, first 2 shown]
	v_fma_f64 v[38:39], -v[54:55], v[70:71], v[38:39]
	v_fma_f64 v[35:36], v[52:53], v[70:71], v[35:36]
	v_cvt_f64_f32_e32 v[52:53], v48
	v_cvt_f64_f32_e32 v[48:49], v49
	v_fma_f64 v[15:16], v[52:53], v[68:69], v[15:16]
	v_fma_f64 v[9:10], v[48:49], v[68:69], v[9:10]
	v_fma_f64 v[15:16], -v[48:49], v[70:71], v[15:16]
	v_cvt_f64_f32_e32 v[48:49], v50
	v_cvt_f64_f32_e32 v[50:51], v51
	v_fma_f64 v[9:10], v[52:53], v[70:71], v[9:10]
	v_fma_f64 v[13:14], v[48:49], v[68:69], v[13:14]
	;; [unrolled: 1-line block ×3, first 2 shown]
	v_fma_f64 v[13:14], -v[50:51], v[70:71], v[13:14]
	v_fma_f64 v[11:12], v[48:49], v[70:71], v[11:12]
	v_cvt_f64_f32_e32 v[48:49], v44
	v_cvt_f64_f32_e32 v[44:45], v45
	v_fma_f64 v[17:18], v[48:49], v[64:65], v[17:18]
	v_fma_f64 v[50:51], -v[44:45], v[66:67], v[17:18]
	v_fma_f64 v[17:18], v[44:45], v[64:65], v[19:20]
	v_cvt_f64_f32_e32 v[19:20], v47
	v_fma_f64 v[44:45], v[48:49], v[66:67], v[17:18]
	v_cvt_f64_f32_e32 v[17:18], v46
	v_fma_f64 v[37:38], v[17:18], v[64:65], v[38:39]
	v_fma_f64 v[46:47], -v[19:20], v[66:67], v[37:38]
	v_fma_f64 v[19:20], v[19:20], v[64:65], v[35:36]
	v_fma_f64 v[48:49], v[17:18], v[66:67], v[19:20]
	v_cvt_f64_f32_e32 v[17:18], v40
	v_cvt_f64_f32_e32 v[19:20], v41
	v_fma_f64 v[15:16], v[17:18], v[64:65], v[15:16]
	v_fma_f64 v[9:10], v[19:20], v[64:65], v[9:10]
	v_fma_f64 v[39:40], -v[19:20], v[66:67], v[15:16]
	v_fma_f64 v[52:53], v[17:18], v[66:67], v[9:10]
	v_cvt_f64_f32_e32 v[9:10], v42
	v_cvt_f64_f32_e32 v[15:16], v43
	v_fma_f64 v[13:14], v[9:10], v[64:65], v[13:14]
	v_fma_f64 v[11:12], v[15:16], v[64:65], v[11:12]
	v_fma_f64 v[41:42], -v[15:16], v[66:67], v[13:14]
	v_fma_f64 v[54:55], v[9:10], v[66:67], v[11:12]
	global_load_dwordx4 v[9:12], v[26:27], off offset:112
	global_load_dwordx4 v[13:16], v[26:27], off offset:96
	;; [unrolled: 1-line block ×4, first 2 shown]
	v_add_co_u32_e32 v26, vcc, s10, v26
	v_addc_co_u32_e32 v27, vcc, 0, v27, vcc
	v_add_co_u32_e32 v22, vcc, 16, v22
	v_addc_co_u32_e32 v23, vcc, 0, v23, vcc
	v_add_co_u32_e32 v30, vcc, 64, v30
	v_addc_co_u32_e32 v31, vcc, 0, v31, vcc
	v_add_co_u32_e32 v32, vcc, 1, v32
	v_addc_co_u32_e32 v33, vcc, 0, v33, vcc
	v_cmp_eq_u64_e32 vcc, 0, v[32:33]
	s_or_b64 s[8:9], vcc, s[8:9]
	s_waitcnt vmcnt(0)
	v_cvt_f64_f32_e32 v[64:65], v35
	v_cvt_f64_f32_e32 v[35:36], v36
	v_fma_f64 v[50:51], v[64:65], v[60:61], v[50:51]
	v_fma_f64 v[50:51], -v[35:36], v[62:63], v[50:51]
	v_fma_f64 v[35:36], v[35:36], v[60:61], v[44:45]
	v_cvt_f64_f32_e32 v[43:44], v37
	v_cvt_f64_f32_e32 v[37:38], v38
	v_fma_f64 v[45:46], v[43:44], v[60:61], v[46:47]
	v_fma_f64 v[35:36], v[64:65], v[62:63], v[35:36]
	v_fma_f64 v[45:46], -v[37:38], v[62:63], v[45:46]
	v_fma_f64 v[37:38], v[37:38], v[60:61], v[48:49]
	v_fma_f64 v[43:44], v[43:44], v[62:63], v[37:38]
	v_cvt_f64_f32_e32 v[37:38], v17
	v_cvt_f64_f32_e32 v[17:18], v18
	v_fma_f64 v[39:40], v[37:38], v[60:61], v[39:40]
	v_fma_f64 v[47:48], -v[17:18], v[62:63], v[39:40]
	v_fma_f64 v[17:18], v[17:18], v[60:61], v[52:53]
	v_fma_f64 v[52:53], v[37:38], v[62:63], v[17:18]
	v_cvt_f64_f32_e32 v[17:18], v19
	v_cvt_f64_f32_e32 v[19:20], v20
	;; [unrolled: 6-line block ×4, first 2 shown]
	v_fma_f64 v[35:36], v[13:14], v[56:57], v[45:46]
	v_fma_f64 v[38:39], -v[15:16], v[58:59], v[35:36]
	v_fma_f64 v[15:16], v[15:16], v[56:57], v[43:44]
	v_cvt_f64_f32_e32 v[42:43], v11
	v_cvt_f64_f32_e32 v[11:12], v12
	v_fma_f64 v[36:37], v[13:14], v[58:59], v[15:16]
	v_cvt_f64_f32_e32 v[13:14], v9
	v_cvt_f64_f32_e32 v[9:10], v10
	v_fma_f64 v[15:16], v[13:14], v[56:57], v[47:48]
	v_fma_f64 v[15:16], -v[9:10], v[58:59], v[15:16]
	v_fma_f64 v[9:10], v[9:10], v[56:57], v[52:53]
	v_fma_f64 v[9:10], v[13:14], v[58:59], v[9:10]
	;; [unrolled: 1-line block ×3, first 2 shown]
	v_fma_f64 v[13:14], -v[11:12], v[58:59], v[13:14]
	v_fma_f64 v[11:12], v[11:12], v[56:57], v[54:55]
	v_fma_f64 v[11:12], v[42:43], v[58:59], v[11:12]
	s_andn2_b64 exec, exec, s[8:9]
	s_cbranch_execnz .LBB172_27
; %bb.28:
	s_or_b64 exec, exec, s[8:9]
.LBB172_29:
	s_or_b64 exec, exec, s[0:1]
	v_cmp_lt_u64_e32 vcc, 47, v[28:29]
	s_and_saveexec_b64 s[8:9], vcc
	s_cbranch_execz .LBB172_33
; %bb.30:
	v_lshlrev_b64 v[28:29], 2, v[22:23]
	v_mov_b32_e32 v30, s13
	v_add_co_u32_e32 v28, vcc, s12, v28
	v_addc_co_u32_e32 v29, vcc, v30, v29, vcc
	v_add_co_u32_e32 v28, vcc, 0x80, v28
	v_addc_co_u32_e32 v29, vcc, 0, v29, vcc
	s_mov_b64 s[10:11], 0
	v_mov_b32_e32 v50, s7
	s_movk_i32 s7, 0x1000
.LBB172_31:                             ; =>This Inner Loop Header: Depth=1
	global_load_dword v30, v[28:29], off offset:-128
	s_waitcnt vmcnt(0)
	v_subrev_u32_e32 v30, s16, v30
	v_lshlrev_b32_e32 v34, 2, v30
	v_ashrrev_i32_e32 v35, 31, v34
	global_load_dwordx4 v[30:33], v[26:27], off offset:48
	global_load_dwordx4 v[40:43], v[26:27], off offset:32
	;; [unrolled: 1-line block ×3, first 2 shown]
	global_load_dwordx4 v[51:54], v[26:27], off
	v_lshlrev_b64 v[34:35], 4, v[34:35]
	v_add_co_u32_e32 v34, vcc, s6, v34
	v_addc_co_u32_e32 v35, vcc, v50, v35, vcc
	global_load_dwordx4 v[55:58], v[34:35], off offset:48
	global_load_dwordx4 v[59:62], v[34:35], off offset:32
	;; [unrolled: 1-line block ×3, first 2 shown]
	global_load_dwordx4 v[67:70], v[34:35], off
	s_waitcnt vmcnt(4)
	v_cvt_f64_f32_e32 v[48:49], v51
	v_cvt_f64_f32_e32 v[51:52], v52
	;; [unrolled: 1-line block ×3, first 2 shown]
	s_waitcnt vmcnt(0)
	v_fma_f64 v[19:20], v[51:52], v[67:68], v[19:20]
	v_fma_f64 v[17:18], v[48:49], v[67:68], v[17:18]
	;; [unrolled: 1-line block ×4, first 2 shown]
	v_cvt_f64_f32_e32 v[48:49], v54
	v_fma_f64 v[17:18], -v[51:52], v[69:70], v[17:18]
	v_fma_f64 v[36:37], v[48:49], v[67:68], v[36:37]
	v_fma_f64 v[38:39], -v[48:49], v[69:70], v[38:39]
	v_fma_f64 v[34:35], v[34:35], v[69:70], v[36:37]
	v_cvt_f64_f32_e32 v[36:37], v44
	v_cvt_f64_f32_e32 v[44:45], v45
	v_fma_f64 v[15:16], v[36:37], v[67:68], v[15:16]
	v_fma_f64 v[9:10], v[44:45], v[67:68], v[9:10]
	v_fma_f64 v[15:16], -v[44:45], v[69:70], v[15:16]
	v_cvt_f64_f32_e32 v[44:45], v47
	v_fma_f64 v[9:10], v[36:37], v[69:70], v[9:10]
	v_cvt_f64_f32_e32 v[36:37], v46
	v_fma_f64 v[11:12], v[44:45], v[67:68], v[11:12]
	v_fma_f64 v[13:14], v[36:37], v[67:68], v[13:14]
	;; [unrolled: 1-line block ×3, first 2 shown]
	v_cvt_f64_f32_e32 v[36:37], v40
	v_cvt_f64_f32_e32 v[40:41], v41
	v_fma_f64 v[13:14], -v[44:45], v[69:70], v[13:14]
	v_fma_f64 v[17:18], v[36:37], v[63:64], v[17:18]
	v_fma_f64 v[44:45], -v[40:41], v[65:66], v[17:18]
	v_fma_f64 v[17:18], v[40:41], v[63:64], v[19:20]
	v_cvt_f64_f32_e32 v[19:20], v43
	v_fma_f64 v[36:37], v[36:37], v[65:66], v[17:18]
	v_cvt_f64_f32_e32 v[17:18], v42
	v_fma_f64 v[38:39], v[17:18], v[63:64], v[38:39]
	v_fma_f64 v[38:39], -v[19:20], v[65:66], v[38:39]
	v_fma_f64 v[19:20], v[19:20], v[63:64], v[34:35]
	v_fma_f64 v[34:35], v[17:18], v[65:66], v[19:20]
	v_cvt_f64_f32_e32 v[17:18], v30
	v_cvt_f64_f32_e32 v[19:20], v31
	v_fma_f64 v[15:16], v[17:18], v[63:64], v[15:16]
	v_fma_f64 v[9:10], v[19:20], v[63:64], v[9:10]
	v_fma_f64 v[40:41], -v[19:20], v[65:66], v[15:16]
	v_fma_f64 v[42:43], v[17:18], v[65:66], v[9:10]
	v_cvt_f64_f32_e32 v[9:10], v32
	v_cvt_f64_f32_e32 v[15:16], v33
	v_fma_f64 v[13:14], v[9:10], v[63:64], v[13:14]
	v_fma_f64 v[11:12], v[15:16], v[63:64], v[11:12]
	v_fma_f64 v[46:47], -v[15:16], v[65:66], v[13:14]
	v_fma_f64 v[48:49], v[9:10], v[65:66], v[11:12]
	global_load_dwordx4 v[9:12], v[26:27], off offset:112
	global_load_dwordx4 v[13:16], v[26:27], off offset:96
	;; [unrolled: 1-line block ×4, first 2 shown]
	s_waitcnt vmcnt(0)
	v_cvt_f64_f32_e32 v[51:52], v30
	v_cvt_f64_f32_e32 v[30:31], v31
	v_fma_f64 v[44:45], v[51:52], v[59:60], v[44:45]
	v_fma_f64 v[44:45], -v[30:31], v[61:62], v[44:45]
	v_fma_f64 v[30:31], v[30:31], v[59:60], v[36:37]
	v_cvt_f64_f32_e32 v[36:37], v32
	v_cvt_f64_f32_e32 v[32:33], v33
	v_fma_f64 v[38:39], v[36:37], v[59:60], v[38:39]
	v_fma_f64 v[30:31], v[51:52], v[61:62], v[30:31]
	v_fma_f64 v[38:39], -v[32:33], v[61:62], v[38:39]
	v_fma_f64 v[32:33], v[32:33], v[59:60], v[34:35]
	v_cvt_f64_f32_e32 v[34:35], v17
	v_cvt_f64_f32_e32 v[17:18], v18
	v_fma_f64 v[32:33], v[36:37], v[61:62], v[32:33]
	v_fma_f64 v[36:37], v[34:35], v[59:60], v[40:41]
	v_fma_f64 v[36:37], -v[17:18], v[61:62], v[36:37]
	v_fma_f64 v[17:18], v[17:18], v[59:60], v[42:43]
	v_fma_f64 v[17:18], v[34:35], v[61:62], v[17:18]
	v_cvt_f64_f32_e32 v[34:35], v19
	v_cvt_f64_f32_e32 v[19:20], v20
	v_fma_f64 v[40:41], v[34:35], v[59:60], v[46:47]
	v_fma_f64 v[40:41], -v[19:20], v[61:62], v[40:41]
	v_fma_f64 v[19:20], v[19:20], v[59:60], v[48:49]
	v_fma_f64 v[19:20], v[34:35], v[61:62], v[19:20]
	v_cvt_f64_f32_e32 v[34:35], v13
	v_cvt_f64_f32_e32 v[13:14], v14
	;; [unrolled: 6-line block ×5, first 2 shown]
	v_fma_f64 v[13:14], v[9:10], v[55:56], v[40:41]
	v_fma_f64 v[67:68], -v[11:12], v[57:58], v[13:14]
	v_fma_f64 v[11:12], v[11:12], v[55:56], v[19:20]
	v_fma_f64 v[55:56], v[9:10], v[57:58], v[11:12]
	global_load_dword v9, v[28:29], off offset:-64
	s_waitcnt vmcnt(0)
	v_subrev_u32_e32 v9, s16, v9
	v_lshlrev_b32_e32 v34, 2, v9
	v_ashrrev_i32_e32 v35, 31, v34
	global_load_dwordx4 v[9:12], v[26:27], off offset:2096
	global_load_dwordx4 v[13:16], v[26:27], off offset:2080
	;; [unrolled: 1-line block ×4, first 2 shown]
	v_lshlrev_b64 v[34:35], 4, v[34:35]
	v_add_co_u32_e32 v69, vcc, s6, v34
	v_addc_co_u32_e32 v70, vcc, v50, v35, vcc
	global_load_dwordx4 v[34:37], v[69:70], off offset:48
	global_load_dwordx4 v[38:41], v[69:70], off offset:32
	;; [unrolled: 1-line block ×3, first 2 shown]
	global_load_dwordx4 v[46:49], v[69:70], off
	s_waitcnt vmcnt(4)
	v_cvt_f64_f32_e32 v[57:58], v30
	v_cvt_f64_f32_e32 v[30:31], v31
	s_waitcnt vmcnt(0)
	v_fma_f64 v[51:52], v[57:58], v[46:47], v[51:52]
	v_fma_f64 v[51:52], -v[30:31], v[48:49], v[51:52]
	v_fma_f64 v[30:31], v[30:31], v[46:47], v[53:54]
	v_cvt_f64_f32_e32 v[53:54], v32
	v_cvt_f64_f32_e32 v[32:33], v33
	v_fma_f64 v[30:31], v[57:58], v[48:49], v[30:31]
	v_fma_f64 v[57:58], v[53:54], v[46:47], v[59:60]
	v_fma_f64 v[57:58], -v[32:33], v[48:49], v[57:58]
	v_fma_f64 v[32:33], v[32:33], v[46:47], v[61:62]
	v_fma_f64 v[32:33], v[53:54], v[48:49], v[32:33]
	v_cvt_f64_f32_e32 v[53:54], v17
	v_cvt_f64_f32_e32 v[17:18], v18
	v_fma_f64 v[59:60], v[53:54], v[46:47], v[63:64]
	v_fma_f64 v[59:60], -v[17:18], v[48:49], v[59:60]
	v_fma_f64 v[17:18], v[17:18], v[46:47], v[65:66]
	v_fma_f64 v[17:18], v[53:54], v[48:49], v[17:18]
	v_cvt_f64_f32_e32 v[53:54], v19
	v_cvt_f64_f32_e32 v[19:20], v20
	v_fma_f64 v[61:62], v[53:54], v[46:47], v[67:68]
	v_fma_f64 v[61:62], -v[19:20], v[48:49], v[61:62]
	v_fma_f64 v[19:20], v[19:20], v[46:47], v[55:56]
	v_cvt_f64_f32_e32 v[46:47], v13
	v_cvt_f64_f32_e32 v[13:14], v14
	v_fma_f64 v[19:20], v[53:54], v[48:49], v[19:20]
	v_fma_f64 v[48:49], v[46:47], v[42:43], v[51:52]
	v_fma_f64 v[48:49], -v[13:14], v[44:45], v[48:49]
	v_fma_f64 v[13:14], v[13:14], v[42:43], v[30:31]
	v_fma_f64 v[46:47], v[46:47], v[44:45], v[13:14]
	v_cvt_f64_f32_e32 v[13:14], v15
	v_cvt_f64_f32_e32 v[15:16], v16
	v_fma_f64 v[30:31], v[13:14], v[42:43], v[57:58]
	v_fma_f64 v[51:52], -v[15:16], v[44:45], v[30:31]
	v_fma_f64 v[15:16], v[15:16], v[42:43], v[32:33]
	v_fma_f64 v[53:54], v[13:14], v[44:45], v[15:16]
	v_cvt_f64_f32_e32 v[13:14], v9
	v_cvt_f64_f32_e32 v[9:10], v10
	;; [unrolled: 6-line block ×3, first 2 shown]
	v_fma_f64 v[13:14], v[9:10], v[42:43], v[61:62]
	v_fma_f64 v[59:60], -v[11:12], v[44:45], v[13:14]
	v_fma_f64 v[11:12], v[11:12], v[42:43], v[19:20]
	v_fma_f64 v[42:43], v[9:10], v[44:45], v[11:12]
	global_load_dwordx4 v[9:12], v[26:27], off offset:2160
	global_load_dwordx4 v[13:16], v[26:27], off offset:2144
	;; [unrolled: 1-line block ×4, first 2 shown]
	s_waitcnt vmcnt(0)
	v_cvt_f64_f32_e32 v[44:45], v30
	v_cvt_f64_f32_e32 v[30:31], v31
	v_fma_f64 v[48:49], v[44:45], v[38:39], v[48:49]
	v_fma_f64 v[48:49], -v[30:31], v[40:41], v[48:49]
	v_fma_f64 v[30:31], v[30:31], v[38:39], v[46:47]
	v_fma_f64 v[30:31], v[44:45], v[40:41], v[30:31]
	v_cvt_f64_f32_e32 v[44:45], v32
	v_cvt_f64_f32_e32 v[32:33], v33
	v_fma_f64 v[46:47], v[44:45], v[38:39], v[51:52]
	v_fma_f64 v[46:47], -v[32:33], v[40:41], v[46:47]
	v_fma_f64 v[32:33], v[32:33], v[38:39], v[53:54]
	v_fma_f64 v[32:33], v[44:45], v[40:41], v[32:33]
	;; [unrolled: 6-line block ×3, first 2 shown]
	v_cvt_f64_f32_e32 v[44:45], v19
	v_cvt_f64_f32_e32 v[19:20], v20
	v_fma_f64 v[53:54], v[44:45], v[38:39], v[59:60]
	v_fma_f64 v[53:54], -v[19:20], v[40:41], v[53:54]
	v_fma_f64 v[19:20], v[19:20], v[38:39], v[42:43]
	v_cvt_f64_f32_e32 v[38:39], v13
	v_cvt_f64_f32_e32 v[13:14], v14
	v_fma_f64 v[19:20], v[44:45], v[40:41], v[19:20]
	v_fma_f64 v[40:41], v[38:39], v[34:35], v[48:49]
	v_fma_f64 v[48:49], -v[13:14], v[36:37], v[40:41]
	v_fma_f64 v[13:14], v[13:14], v[34:35], v[30:31]
	v_fma_f64 v[55:56], v[38:39], v[36:37], v[13:14]
	v_cvt_f64_f32_e32 v[13:14], v15
	v_cvt_f64_f32_e32 v[15:16], v16
	v_fma_f64 v[30:31], v[13:14], v[34:35], v[46:47]
	v_fma_f64 v[57:58], -v[15:16], v[36:37], v[30:31]
	v_fma_f64 v[15:16], v[15:16], v[34:35], v[32:33]
	v_add_co_u32_e32 v30, vcc, s7, v26
	v_addc_co_u32_e32 v31, vcc, 0, v27, vcc
	v_fma_f64 v[59:60], v[13:14], v[36:37], v[15:16]
	v_cvt_f64_f32_e32 v[13:14], v9
	v_cvt_f64_f32_e32 v[9:10], v10
	v_fma_f64 v[15:16], v[13:14], v[34:35], v[51:52]
	v_fma_f64 v[61:62], -v[9:10], v[36:37], v[15:16]
	v_fma_f64 v[9:10], v[9:10], v[34:35], v[17:18]
	v_fma_f64 v[63:64], v[13:14], v[36:37], v[9:10]
	v_cvt_f64_f32_e32 v[9:10], v11
	v_cvt_f64_f32_e32 v[11:12], v12
	v_fma_f64 v[13:14], v[9:10], v[34:35], v[53:54]
	v_fma_f64 v[65:66], -v[11:12], v[36:37], v[13:14]
	v_fma_f64 v[11:12], v[11:12], v[34:35], v[19:20]
	v_fma_f64 v[67:68], v[9:10], v[36:37], v[11:12]
	global_load_dword v9, v[28:29], off
	s_waitcnt vmcnt(0)
	v_subrev_u32_e32 v9, s16, v9
	v_lshlrev_b32_e32 v36, 2, v9
	v_ashrrev_i32_e32 v37, 31, v36
	v_lshlrev_b64 v[36:37], 4, v[36:37]
	global_load_dwordx4 v[9:12], v[30:31], off
	global_load_dwordx4 v[13:16], v[30:31], off offset:48
	global_load_dwordx4 v[17:20], v[30:31], off offset:32
	;; [unrolled: 1-line block ×3, first 2 shown]
	v_add_co_u32_e32 v71, vcc, s6, v36
	v_addc_co_u32_e32 v72, vcc, v50, v37, vcc
	global_load_dwordx4 v[51:54], v[71:72], off offset:48
	global_load_dwordx4 v[36:39], v[71:72], off offset:32
	;; [unrolled: 1-line block ×3, first 2 shown]
	global_load_dwordx4 v[44:47], v[71:72], off
	s_waitcnt vmcnt(7)
	v_cvt_f64_f32_e32 v[69:70], v9
	v_cvt_f64_f32_e32 v[9:10], v10
	s_waitcnt vmcnt(0)
	v_fma_f64 v[48:49], v[69:70], v[44:45], v[48:49]
	v_fma_f64 v[48:49], -v[9:10], v[46:47], v[48:49]
	v_fma_f64 v[9:10], v[9:10], v[44:45], v[55:56]
	v_cvt_f64_f32_e32 v[55:56], v11
	v_cvt_f64_f32_e32 v[11:12], v12
	v_fma_f64 v[57:58], v[55:56], v[44:45], v[57:58]
	v_fma_f64 v[9:10], v[69:70], v[46:47], v[9:10]
	v_fma_f64 v[57:58], -v[11:12], v[46:47], v[57:58]
	v_fma_f64 v[11:12], v[11:12], v[44:45], v[59:60]
	v_fma_f64 v[11:12], v[55:56], v[46:47], v[11:12]
	v_cvt_f64_f32_e32 v[55:56], v32
	v_cvt_f64_f32_e32 v[32:33], v33
	v_fma_f64 v[59:60], v[55:56], v[44:45], v[61:62]
	v_fma_f64 v[59:60], -v[32:33], v[46:47], v[59:60]
	v_fma_f64 v[32:33], v[32:33], v[44:45], v[63:64]
	v_fma_f64 v[32:33], v[55:56], v[46:47], v[32:33]
	v_cvt_f64_f32_e32 v[55:56], v34
	v_cvt_f64_f32_e32 v[34:35], v35
	v_fma_f64 v[61:62], v[55:56], v[44:45], v[65:66]
	v_fma_f64 v[61:62], -v[34:35], v[46:47], v[61:62]
	v_fma_f64 v[34:35], v[34:35], v[44:45], v[67:68]
	v_cvt_f64_f32_e32 v[44:45], v17
	v_cvt_f64_f32_e32 v[17:18], v18
	v_fma_f64 v[9:10], v[17:18], v[40:41], v[9:10]
	v_fma_f64 v[34:35], v[55:56], v[46:47], v[34:35]
	;; [unrolled: 1-line block ×4, first 2 shown]
	v_cvt_f64_f32_e32 v[9:10], v19
	v_fma_f64 v[46:47], -v[17:18], v[42:43], v[46:47]
	v_cvt_f64_f32_e32 v[17:18], v20
	v_fma_f64 v[19:20], v[9:10], v[40:41], v[57:58]
	v_fma_f64 v[11:12], v[17:18], v[40:41], v[11:12]
	v_fma_f64 v[48:49], -v[17:18], v[42:43], v[19:20]
	v_fma_f64 v[55:56], v[9:10], v[42:43], v[11:12]
	v_cvt_f64_f32_e32 v[9:10], v13
	v_cvt_f64_f32_e32 v[11:12], v14
	v_fma_f64 v[13:14], v[9:10], v[40:41], v[59:60]
	v_fma_f64 v[57:58], -v[11:12], v[42:43], v[13:14]
	v_fma_f64 v[11:12], v[11:12], v[40:41], v[32:33]
	v_fma_f64 v[59:60], v[9:10], v[42:43], v[11:12]
	v_cvt_f64_f32_e32 v[9:10], v15
	v_cvt_f64_f32_e32 v[11:12], v16
	v_fma_f64 v[13:14], v[9:10], v[40:41], v[61:62]
	v_fma_f64 v[61:62], -v[11:12], v[42:43], v[13:14]
	v_fma_f64 v[11:12], v[11:12], v[40:41], v[34:35]
	v_fma_f64 v[40:41], v[9:10], v[42:43], v[11:12]
	global_load_dwordx4 v[9:12], v[30:31], off offset:112
	global_load_dwordx4 v[13:16], v[30:31], off offset:96
	;; [unrolled: 1-line block ×4, first 2 shown]
	s_waitcnt vmcnt(0)
	v_cvt_f64_f32_e32 v[42:43], v32
	v_cvt_f64_f32_e32 v[32:33], v33
	v_fma_f64 v[46:47], v[42:43], v[36:37], v[46:47]
	v_fma_f64 v[46:47], -v[32:33], v[38:39], v[46:47]
	v_fma_f64 v[32:33], v[32:33], v[36:37], v[44:45]
	v_fma_f64 v[32:33], v[42:43], v[38:39], v[32:33]
	v_cvt_f64_f32_e32 v[42:43], v34
	v_cvt_f64_f32_e32 v[34:35], v35
	v_fma_f64 v[44:45], v[42:43], v[36:37], v[48:49]
	v_fma_f64 v[48:49], -v[34:35], v[38:39], v[44:45]
	v_fma_f64 v[34:35], v[34:35], v[36:37], v[55:56]
	v_fma_f64 v[34:35], v[42:43], v[38:39], v[34:35]
	;; [unrolled: 6-line block ×3, first 2 shown]
	v_cvt_f64_f32_e32 v[42:43], v19
	v_cvt_f64_f32_e32 v[19:20], v20
	v_fma_f64 v[44:45], v[42:43], v[36:37], v[61:62]
	v_fma_f64 v[57:58], -v[19:20], v[38:39], v[44:45]
	v_fma_f64 v[19:20], v[19:20], v[36:37], v[40:41]
	v_cvt_f64_f32_e32 v[36:37], v13
	v_cvt_f64_f32_e32 v[13:14], v14
	v_fma_f64 v[19:20], v[42:43], v[38:39], v[19:20]
	v_fma_f64 v[38:39], v[36:37], v[51:52], v[46:47]
	v_fma_f64 v[44:45], -v[13:14], v[53:54], v[38:39]
	v_fma_f64 v[13:14], v[13:14], v[51:52], v[32:33]
	v_fma_f64 v[46:47], v[36:37], v[53:54], v[13:14]
	v_cvt_f64_f32_e32 v[13:14], v15
	v_cvt_f64_f32_e32 v[15:16], v16
	v_fma_f64 v[32:33], v[13:14], v[51:52], v[48:49]
	v_fma_f64 v[40:41], -v[15:16], v[53:54], v[32:33]
	v_fma_f64 v[15:16], v[15:16], v[51:52], v[34:35]
	v_fma_f64 v[42:43], v[13:14], v[53:54], v[15:16]
	v_cvt_f64_f32_e32 v[13:14], v9
	v_cvt_f64_f32_e32 v[9:10], v10
	;; [unrolled: 6-line block ×3, first 2 shown]
	v_fma_f64 v[13:14], v[9:10], v[51:52], v[57:58]
	v_fma_f64 v[32:33], -v[11:12], v[53:54], v[13:14]
	v_fma_f64 v[11:12], v[11:12], v[51:52], v[19:20]
	v_fma_f64 v[34:35], v[9:10], v[53:54], v[11:12]
	global_load_dword v9, v[28:29], off offset:64
	s_waitcnt vmcnt(0)
	v_subrev_u32_e32 v9, s16, v9
	v_lshlrev_b32_e32 v48, 2, v9
	v_ashrrev_i32_e32 v49, 31, v48
	global_load_dwordx4 v[9:12], v[30:31], off offset:2096
	global_load_dwordx4 v[13:16], v[30:31], off offset:2080
	;; [unrolled: 1-line block ×4, first 2 shown]
	v_lshlrev_b64 v[48:49], 4, v[48:49]
	v_add_co_u32_e32 v48, vcc, s6, v48
	v_addc_co_u32_e32 v49, vcc, v50, v49, vcc
	global_load_dwordx4 v[55:58], v[48:49], off offset:48
	global_load_dwordx4 v[59:62], v[48:49], off offset:32
	;; [unrolled: 1-line block ×3, first 2 shown]
	global_load_dwordx4 v[67:70], v[48:49], off
	v_add_co_u32_e32 v22, vcc, 64, v22
	v_addc_co_u32_e32 v23, vcc, 0, v23, vcc
	v_add_co_u32_e32 v28, vcc, 0x100, v28
	v_addc_co_u32_e32 v29, vcc, 0, v29, vcc
	v_cmp_ge_i64_e64 s[0:1], v[22:23], v[24:25]
	v_add_co_u32_e32 v26, vcc, 0x2000, v26
	v_addc_co_u32_e32 v27, vcc, 0, v27, vcc
	s_or_b64 s[10:11], s[0:1], s[10:11]
	s_waitcnt vmcnt(4)
	v_cvt_f64_f32_e32 v[71:72], v51
	v_cvt_f64_f32_e32 v[51:52], v52
	;; [unrolled: 1-line block ×3, first 2 shown]
	s_waitcnt vmcnt(0)
	v_fma_f64 v[44:45], v[71:72], v[67:68], v[44:45]
	v_fma_f64 v[46:47], v[51:52], v[67:68], v[46:47]
	v_fma_f64 v[40:41], v[48:49], v[67:68], v[40:41]
	v_fma_f64 v[44:45], -v[51:52], v[69:70], v[44:45]
	v_cvt_f64_f32_e32 v[51:52], v54
	v_fma_f64 v[46:47], v[71:72], v[69:70], v[46:47]
	v_fma_f64 v[42:43], v[51:52], v[67:68], v[42:43]
	v_fma_f64 v[40:41], -v[51:52], v[69:70], v[40:41]
	v_fma_f64 v[42:43], v[48:49], v[69:70], v[42:43]
	v_cvt_f64_f32_e32 v[48:49], v17
	v_cvt_f64_f32_e32 v[17:18], v18
	v_fma_f64 v[36:37], v[48:49], v[67:68], v[36:37]
	v_fma_f64 v[36:37], -v[17:18], v[69:70], v[36:37]
	v_fma_f64 v[17:18], v[17:18], v[67:68], v[38:39]
	v_cvt_f64_f32_e32 v[38:39], v19
	v_cvt_f64_f32_e32 v[19:20], v20
	v_fma_f64 v[32:33], v[38:39], v[67:68], v[32:33]
	v_fma_f64 v[17:18], v[48:49], v[69:70], v[17:18]
	v_fma_f64 v[32:33], -v[19:20], v[69:70], v[32:33]
	v_fma_f64 v[19:20], v[19:20], v[67:68], v[34:35]
	v_cvt_f64_f32_e32 v[34:35], v13
	v_cvt_f64_f32_e32 v[13:14], v14
	v_fma_f64 v[19:20], v[38:39], v[69:70], v[19:20]
	v_fma_f64 v[38:39], v[34:35], v[63:64], v[44:45]
	v_fma_f64 v[38:39], -v[13:14], v[65:66], v[38:39]
	v_fma_f64 v[13:14], v[13:14], v[63:64], v[46:47]
	v_fma_f64 v[44:45], v[34:35], v[65:66], v[13:14]
	v_cvt_f64_f32_e32 v[13:14], v15
	v_cvt_f64_f32_e32 v[15:16], v16
	v_fma_f64 v[34:35], v[13:14], v[63:64], v[40:41]
	v_fma_f64 v[40:41], -v[15:16], v[65:66], v[34:35]
	v_fma_f64 v[15:16], v[15:16], v[63:64], v[42:43]
	v_fma_f64 v[42:43], v[13:14], v[65:66], v[15:16]
	v_cvt_f64_f32_e32 v[13:14], v9
	v_cvt_f64_f32_e32 v[9:10], v10
	;; [unrolled: 6-line block ×3, first 2 shown]
	v_fma_f64 v[13:14], v[9:10], v[63:64], v[32:33]
	v_fma_f64 v[48:49], -v[11:12], v[65:66], v[13:14]
	v_fma_f64 v[11:12], v[11:12], v[63:64], v[19:20]
	v_fma_f64 v[51:52], v[9:10], v[65:66], v[11:12]
	global_load_dwordx4 v[9:12], v[30:31], off offset:2160
	global_load_dwordx4 v[13:16], v[30:31], off offset:2144
	;; [unrolled: 1-line block ×4, first 2 shown]
	s_waitcnt vmcnt(0)
	v_cvt_f64_f32_e32 v[30:31], v32
	v_cvt_f64_f32_e32 v[32:33], v33
	v_fma_f64 v[38:39], v[30:31], v[59:60], v[38:39]
	v_fma_f64 v[38:39], -v[32:33], v[61:62], v[38:39]
	v_fma_f64 v[32:33], v[32:33], v[59:60], v[44:45]
	v_fma_f64 v[30:31], v[30:31], v[61:62], v[32:33]
	v_cvt_f64_f32_e32 v[32:33], v34
	v_cvt_f64_f32_e32 v[34:35], v35
	v_fma_f64 v[40:41], v[32:33], v[59:60], v[40:41]
	v_fma_f64 v[40:41], -v[34:35], v[61:62], v[40:41]
	v_fma_f64 v[34:35], v[34:35], v[59:60], v[42:43]
	v_fma_f64 v[32:33], v[32:33], v[61:62], v[34:35]
	;; [unrolled: 6-line block ×5, first 2 shown]
	v_cvt_f64_f32_e32 v[13:14], v15
	v_cvt_f64_f32_e32 v[15:16], v16
	v_fma_f64 v[30:31], v[13:14], v[55:56], v[40:41]
	v_fma_f64 v[38:39], -v[15:16], v[57:58], v[30:31]
	v_fma_f64 v[15:16], v[15:16], v[55:56], v[32:33]
	v_cvt_f64_f32_e32 v[30:31], v11
	v_cvt_f64_f32_e32 v[11:12], v12
	v_fma_f64 v[36:37], v[13:14], v[57:58], v[15:16]
	v_cvt_f64_f32_e32 v[13:14], v9
	v_cvt_f64_f32_e32 v[9:10], v10
	v_fma_f64 v[15:16], v[13:14], v[55:56], v[42:43]
	v_fma_f64 v[15:16], -v[9:10], v[57:58], v[15:16]
	v_fma_f64 v[9:10], v[9:10], v[55:56], v[34:35]
	v_fma_f64 v[9:10], v[13:14], v[57:58], v[9:10]
	;; [unrolled: 1-line block ×3, first 2 shown]
	v_fma_f64 v[13:14], -v[11:12], v[57:58], v[13:14]
	v_fma_f64 v[11:12], v[11:12], v[55:56], v[46:47]
	v_fma_f64 v[11:12], v[30:31], v[57:58], v[11:12]
	s_andn2_b64 exec, exec, s[10:11]
	s_cbranch_execnz .LBB172_31
; %bb.32:
	s_or_b64 exec, exec, s[10:11]
.LBB172_33:
	s_or_b64 exec, exec, s[8:9]
.LBB172_34:
	s_or_b64 exec, exec, s[2:3]
.LBB172_35:
	v_mov_b32_dpp v22, v17 row_shr:1 row_mask:0xf bank_mask:0xf
	v_mov_b32_dpp v23, v18 row_shr:1 row_mask:0xf bank_mask:0xf
	v_add_f64 v[17:18], v[17:18], v[22:23]
	v_mov_b32_dpp v22, v19 row_shr:1 row_mask:0xf bank_mask:0xf
	v_mov_b32_dpp v23, v20 row_shr:1 row_mask:0xf bank_mask:0xf
	v_add_f64 v[19:20], v[19:20], v[22:23]
	;; [unrolled: 3-line block ×3, first 2 shown]
	v_mov_b32_dpp v35, v9 row_shr:1 row_mask:0xf bank_mask:0xf
	v_mov_b32_dpp v24, v17 row_shr:2 row_mask:0xf bank_mask:0xf
	;; [unrolled: 1-line block ×3, first 2 shown]
	v_add_f64 v[17:18], v[17:18], v[24:25]
	v_mov_b32_dpp v24, v19 row_shr:2 row_mask:0xf bank_mask:0xf
	v_mov_b32_dpp v25, v20 row_shr:2 row_mask:0xf bank_mask:0xf
	v_add_f64 v[19:20], v[19:20], v[24:25]
	v_mov_b32_dpp v24, v36 row_shr:1 row_mask:0xf bank_mask:0xf
	v_mov_b32_dpp v25, v37 row_shr:1 row_mask:0xf bank_mask:0xf
	;; [unrolled: 3-line block ×3, first 2 shown]
	v_add_f64 v[22:23], v[22:23], v[28:29]
	v_mov_b32_dpp v36, v10 row_shr:1 row_mask:0xf bank_mask:0xf
	v_add_f64 v[9:10], v[9:10], v[35:36]
	v_mov_b32_dpp v35, v13 row_shr:1 row_mask:0xf bank_mask:0xf
	v_mov_b32_dpp v36, v14 row_shr:1 row_mask:0xf bank_mask:0xf
	;; [unrolled: 1-line block ×4, first 2 shown]
	v_add_f64 v[24:25], v[24:25], v[28:29]
	v_mov_b32_dpp v28, v15 row_shr:1 row_mask:0xf bank_mask:0xf
	v_mov_b32_dpp v29, v16 row_shr:1 row_mask:0xf bank_mask:0xf
	v_add_f64 v[28:29], v[15:16], v[28:29]
	v_add_f64 v[13:14], v[13:14], v[35:36]
	v_mov_b32_dpp v35, v11 row_shr:1 row_mask:0xf bank_mask:0xf
	v_mov_b32_dpp v36, v12 row_shr:1 row_mask:0xf bank_mask:0xf
	v_add_f64 v[11:12], v[11:12], v[35:36]
	v_mov_b32_dpp v26, v17 row_shr:4 row_mask:0xf bank_mask:0xe
	v_mov_b32_dpp v27, v18 row_shr:4 row_mask:0xf bank_mask:0xe
	;; [unrolled: 3-line block ×6, first 2 shown]
	v_mov_b32_dpp v36, v9 row_shr:2 row_mask:0xf bank_mask:0xf
	v_mov_b32_dpp v37, v10 row_shr:2 row_mask:0xf bank_mask:0xf
	v_add_f64 v[32:33], v[28:29], v[24:25]
	v_add_f64 v[36:37], v[9:10], v[36:37]
	v_mov_b32_dpp v9, v13 row_shr:2 row_mask:0xf bank_mask:0xf
	v_mov_b32_dpp v10, v14 row_shr:2 row_mask:0xf bank_mask:0xf
	v_add_f64 v[13:14], v[13:14], v[9:10]
	v_mov_b32_dpp v9, v11 row_shr:2 row_mask:0xf bank_mask:0xf
	v_mov_b32_dpp v10, v12 row_shr:2 row_mask:0xf bank_mask:0xf
	;; [unrolled: 3-line block ×4, first 2 shown]
	v_mov_b32_dpp v33, v14 row_shr:4 row_mask:0xf bank_mask:0xe
	v_mov_b32_dpp v12, v37 row_shr:4 row_mask:0xf bank_mask:0xe
	v_add_f64 v[13:14], v[13:14], v[32:33]
	v_mov_b32_dpp v32, v38 row_shr:4 row_mask:0xf bank_mask:0xe
	v_mov_b32_dpp v33, v39 row_shr:4 row_mask:0xf bank_mask:0xe
	v_add_f64 v[11:12], v[36:37], v[11:12]
	v_add_f64 v[32:33], v[38:39], v[32:33]
	v_mov_b32_dpp v30, v17 row_shr:8 row_mask:0xf bank_mask:0xc
	v_mov_b32_dpp v31, v18 row_shr:8 row_mask:0xf bank_mask:0xc
	v_mov_b32_dpp v28, v15 row_shr:8 row_mask:0xf bank_mask:0xc
	v_mov_b32_dpp v29, v16 row_shr:8 row_mask:0xf bank_mask:0xc
	v_mov_b32_dpp v26, v19 row_shr:8 row_mask:0xf bank_mask:0xc
	v_mov_b32_dpp v27, v20 row_shr:8 row_mask:0xf bank_mask:0xc
	v_mov_b32_dpp v24, v22 row_shr:8 row_mask:0xf bank_mask:0xc
	v_mov_b32_dpp v25, v23 row_shr:8 row_mask:0xf bank_mask:0xc
	v_mov_b32_dpp v40, v9 row_shr:8 row_mask:0xf bank_mask:0xc
	v_mov_b32_dpp v41, v10 row_shr:8 row_mask:0xf bank_mask:0xc
	v_mov_b32_dpp v38, v11 row_shr:8 row_mask:0xf bank_mask:0xc
	v_mov_b32_dpp v39, v12 row_shr:8 row_mask:0xf bank_mask:0xc
	v_mov_b32_dpp v36, v13 row_shr:8 row_mask:0xf bank_mask:0xc
	v_mov_b32_dpp v37, v14 row_shr:8 row_mask:0xf bank_mask:0xc
	v_mov_b32_dpp v34, v32 row_shr:8 row_mask:0xf bank_mask:0xc
	v_mov_b32_dpp v35, v33 row_shr:8 row_mask:0xf bank_mask:0xc
	v_cmp_eq_u32_e32 vcc, 15, v0
	s_and_b64 exec, exec, vcc
	s_cbranch_execz .LBB172_8
; %bb.36:
	v_add_f64 v[30:31], v[17:18], v[30:31]
	v_add_f64 v[15:16], v[15:16], v[28:29]
	;; [unrolled: 1-line block ×8, first 2 shown]
	v_cmp_eq_f64_e32 vcc, 0, v[1:2]
	v_mul_f64 v[13:14], v[15:16], -v[7:8]
	v_mul_f64 v[15:16], v[5:6], v[15:16]
	v_mul_f64 v[28:29], v[17:18], -v[7:8]
	v_mul_f64 v[32:33], v[5:6], v[17:18]
	;; [unrolled: 2-line block ×4, first 2 shown]
	v_cmp_eq_f64_e64 s[0:1], 0, v[3:4]
	v_fma_f64 v[17:18], v[5:6], v[30:31], v[13:14]
	v_fma_f64 v[19:20], v[7:8], v[30:31], v[15:16]
	;; [unrolled: 1-line block ×8, first 2 shown]
	s_load_dwordx2 s[2:3], s[4:5], 0x60
	s_and_b64 s[0:1], vcc, s[0:1]
	v_lshlrev_b32_e32 v21, 2, v21
	s_and_saveexec_b64 s[4:5], s[0:1]
	s_xor_b64 s[0:1], exec, s[4:5]
	s_cbranch_execz .LBB172_38
; %bb.37:
	v_ashrrev_i32_e32 v22, 31, v21
	v_lshlrev_b64 v[0:1], 4, v[21:22]
	s_waitcnt lgkmcnt(0)
	v_mov_b32_e32 v2, s3
	v_add_co_u32_e32 v0, vcc, s2, v0
	v_addc_co_u32_e32 v1, vcc, v2, v1, vcc
	global_store_dwordx4 v[0:1], v[17:20], off
	global_store_dwordx4 v[0:1], v[13:16], off offset:16
	global_store_dwordx4 v[0:1], v[9:12], off offset:32
	;; [unrolled: 1-line block ×3, first 2 shown]
                                        ; implicit-def: $vgpr3_vgpr4
                                        ; implicit-def: $vgpr17_vgpr18
                                        ; implicit-def: $vgpr21
                                        ; implicit-def: $vgpr13_vgpr14
                                        ; implicit-def: $vgpr9_vgpr10
                                        ; implicit-def: $vgpr5_vgpr6
.LBB172_38:
	s_andn2_saveexec_b64 s[0:1], s[0:1]
	s_cbranch_execz .LBB172_8
; %bb.39:
	v_ashrrev_i32_e32 v22, 31, v21
	v_lshlrev_b64 v[21:22], 4, v[21:22]
	s_waitcnt lgkmcnt(0)
	v_mov_b32_e32 v0, s3
	v_add_co_u32_e32 v37, vcc, s2, v21
	v_addc_co_u32_e32 v38, vcc, v0, v22, vcc
	global_load_dwordx4 v[21:24], v[37:38], off
	global_load_dwordx4 v[25:28], v[37:38], off offset:16
	global_load_dwordx4 v[29:32], v[37:38], off offset:32
	;; [unrolled: 1-line block ×3, first 2 shown]
	s_waitcnt vmcnt(3)
	v_fma_f64 v[17:18], v[1:2], v[21:22], v[17:18]
	v_fma_f64 v[19:20], v[3:4], v[21:22], v[19:20]
	s_waitcnt vmcnt(2)
	v_fma_f64 v[13:14], v[1:2], v[25:26], v[13:14]
	v_fma_f64 v[15:16], v[3:4], v[25:26], v[15:16]
	;; [unrolled: 3-line block ×4, first 2 shown]
	v_fma_f64 v[5:6], -v[3:4], v[23:24], v[17:18]
	v_fma_f64 v[7:8], v[1:2], v[23:24], v[19:20]
	v_fma_f64 v[9:10], -v[3:4], v[27:28], v[13:14]
	v_fma_f64 v[11:12], v[1:2], v[27:28], v[15:16]
	;; [unrolled: 2-line block ×4, first 2 shown]
	global_store_dwordx4 v[37:38], v[5:8], off
	global_store_dwordx4 v[37:38], v[9:12], off offset:16
	global_store_dwordx4 v[37:38], v[13:16], off offset:32
	;; [unrolled: 1-line block ×3, first 2 shown]
	s_endpgm
	.section	.rodata,"a",@progbits
	.p2align	6, 0x0
	.amdhsa_kernel _ZN9rocsparseL18bsrxmvn_4x4_kernelILj128ELj16E21rocsparse_complex_numIdEliS1_IfES2_S2_EEvT3_20rocsparse_direction_NS_24const_host_device_scalarIT1_EES4_PKS4_PKT2_SD_SA_PKT4_PKT5_S8_PT6_21rocsparse_index_base_b
		.amdhsa_group_segment_fixed_size 0
		.amdhsa_private_segment_fixed_size 0
		.amdhsa_kernarg_size 112
		.amdhsa_user_sgpr_count 6
		.amdhsa_user_sgpr_private_segment_buffer 1
		.amdhsa_user_sgpr_dispatch_ptr 0
		.amdhsa_user_sgpr_queue_ptr 0
		.amdhsa_user_sgpr_kernarg_segment_ptr 1
		.amdhsa_user_sgpr_dispatch_id 0
		.amdhsa_user_sgpr_flat_scratch_init 0
		.amdhsa_user_sgpr_private_segment_size 0
		.amdhsa_uses_dynamic_stack 0
		.amdhsa_system_sgpr_private_segment_wavefront_offset 0
		.amdhsa_system_sgpr_workgroup_id_x 1
		.amdhsa_system_sgpr_workgroup_id_y 0
		.amdhsa_system_sgpr_workgroup_id_z 0
		.amdhsa_system_sgpr_workgroup_info 0
		.amdhsa_system_vgpr_workitem_id 0
		.amdhsa_next_free_vgpr 85
		.amdhsa_next_free_sgpr 18
		.amdhsa_reserve_vcc 1
		.amdhsa_reserve_flat_scratch 0
		.amdhsa_float_round_mode_32 0
		.amdhsa_float_round_mode_16_64 0
		.amdhsa_float_denorm_mode_32 3
		.amdhsa_float_denorm_mode_16_64 3
		.amdhsa_dx10_clamp 1
		.amdhsa_ieee_mode 1
		.amdhsa_fp16_overflow 0
		.amdhsa_exception_fp_ieee_invalid_op 0
		.amdhsa_exception_fp_denorm_src 0
		.amdhsa_exception_fp_ieee_div_zero 0
		.amdhsa_exception_fp_ieee_overflow 0
		.amdhsa_exception_fp_ieee_underflow 0
		.amdhsa_exception_fp_ieee_inexact 0
		.amdhsa_exception_int_div_zero 0
	.end_amdhsa_kernel
	.section	.text._ZN9rocsparseL18bsrxmvn_4x4_kernelILj128ELj16E21rocsparse_complex_numIdEliS1_IfES2_S2_EEvT3_20rocsparse_direction_NS_24const_host_device_scalarIT1_EES4_PKS4_PKT2_SD_SA_PKT4_PKT5_S8_PT6_21rocsparse_index_base_b,"axG",@progbits,_ZN9rocsparseL18bsrxmvn_4x4_kernelILj128ELj16E21rocsparse_complex_numIdEliS1_IfES2_S2_EEvT3_20rocsparse_direction_NS_24const_host_device_scalarIT1_EES4_PKS4_PKT2_SD_SA_PKT4_PKT5_S8_PT6_21rocsparse_index_base_b,comdat
.Lfunc_end172:
	.size	_ZN9rocsparseL18bsrxmvn_4x4_kernelILj128ELj16E21rocsparse_complex_numIdEliS1_IfES2_S2_EEvT3_20rocsparse_direction_NS_24const_host_device_scalarIT1_EES4_PKS4_PKT2_SD_SA_PKT4_PKT5_S8_PT6_21rocsparse_index_base_b, .Lfunc_end172-_ZN9rocsparseL18bsrxmvn_4x4_kernelILj128ELj16E21rocsparse_complex_numIdEliS1_IfES2_S2_EEvT3_20rocsparse_direction_NS_24const_host_device_scalarIT1_EES4_PKS4_PKT2_SD_SA_PKT4_PKT5_S8_PT6_21rocsparse_index_base_b
                                        ; -- End function
	.set _ZN9rocsparseL18bsrxmvn_4x4_kernelILj128ELj16E21rocsparse_complex_numIdEliS1_IfES2_S2_EEvT3_20rocsparse_direction_NS_24const_host_device_scalarIT1_EES4_PKS4_PKT2_SD_SA_PKT4_PKT5_S8_PT6_21rocsparse_index_base_b.num_vgpr, 85
	.set _ZN9rocsparseL18bsrxmvn_4x4_kernelILj128ELj16E21rocsparse_complex_numIdEliS1_IfES2_S2_EEvT3_20rocsparse_direction_NS_24const_host_device_scalarIT1_EES4_PKS4_PKT2_SD_SA_PKT4_PKT5_S8_PT6_21rocsparse_index_base_b.num_agpr, 0
	.set _ZN9rocsparseL18bsrxmvn_4x4_kernelILj128ELj16E21rocsparse_complex_numIdEliS1_IfES2_S2_EEvT3_20rocsparse_direction_NS_24const_host_device_scalarIT1_EES4_PKS4_PKT2_SD_SA_PKT4_PKT5_S8_PT6_21rocsparse_index_base_b.numbered_sgpr, 18
	.set _ZN9rocsparseL18bsrxmvn_4x4_kernelILj128ELj16E21rocsparse_complex_numIdEliS1_IfES2_S2_EEvT3_20rocsparse_direction_NS_24const_host_device_scalarIT1_EES4_PKS4_PKT2_SD_SA_PKT4_PKT5_S8_PT6_21rocsparse_index_base_b.num_named_barrier, 0
	.set _ZN9rocsparseL18bsrxmvn_4x4_kernelILj128ELj16E21rocsparse_complex_numIdEliS1_IfES2_S2_EEvT3_20rocsparse_direction_NS_24const_host_device_scalarIT1_EES4_PKS4_PKT2_SD_SA_PKT4_PKT5_S8_PT6_21rocsparse_index_base_b.private_seg_size, 0
	.set _ZN9rocsparseL18bsrxmvn_4x4_kernelILj128ELj16E21rocsparse_complex_numIdEliS1_IfES2_S2_EEvT3_20rocsparse_direction_NS_24const_host_device_scalarIT1_EES4_PKS4_PKT2_SD_SA_PKT4_PKT5_S8_PT6_21rocsparse_index_base_b.uses_vcc, 1
	.set _ZN9rocsparseL18bsrxmvn_4x4_kernelILj128ELj16E21rocsparse_complex_numIdEliS1_IfES2_S2_EEvT3_20rocsparse_direction_NS_24const_host_device_scalarIT1_EES4_PKS4_PKT2_SD_SA_PKT4_PKT5_S8_PT6_21rocsparse_index_base_b.uses_flat_scratch, 0
	.set _ZN9rocsparseL18bsrxmvn_4x4_kernelILj128ELj16E21rocsparse_complex_numIdEliS1_IfES2_S2_EEvT3_20rocsparse_direction_NS_24const_host_device_scalarIT1_EES4_PKS4_PKT2_SD_SA_PKT4_PKT5_S8_PT6_21rocsparse_index_base_b.has_dyn_sized_stack, 0
	.set _ZN9rocsparseL18bsrxmvn_4x4_kernelILj128ELj16E21rocsparse_complex_numIdEliS1_IfES2_S2_EEvT3_20rocsparse_direction_NS_24const_host_device_scalarIT1_EES4_PKS4_PKT2_SD_SA_PKT4_PKT5_S8_PT6_21rocsparse_index_base_b.has_recursion, 0
	.set _ZN9rocsparseL18bsrxmvn_4x4_kernelILj128ELj16E21rocsparse_complex_numIdEliS1_IfES2_S2_EEvT3_20rocsparse_direction_NS_24const_host_device_scalarIT1_EES4_PKS4_PKT2_SD_SA_PKT4_PKT5_S8_PT6_21rocsparse_index_base_b.has_indirect_call, 0
	.section	.AMDGPU.csdata,"",@progbits
; Kernel info:
; codeLenInByte = 10808
; TotalNumSgprs: 22
; NumVgprs: 85
; ScratchSize: 0
; MemoryBound: 0
; FloatMode: 240
; IeeeMode: 1
; LDSByteSize: 0 bytes/workgroup (compile time only)
; SGPRBlocks: 2
; VGPRBlocks: 21
; NumSGPRsForWavesPerEU: 22
; NumVGPRsForWavesPerEU: 85
; Occupancy: 2
; WaveLimiterHint : 1
; COMPUTE_PGM_RSRC2:SCRATCH_EN: 0
; COMPUTE_PGM_RSRC2:USER_SGPR: 6
; COMPUTE_PGM_RSRC2:TRAP_HANDLER: 0
; COMPUTE_PGM_RSRC2:TGID_X_EN: 1
; COMPUTE_PGM_RSRC2:TGID_Y_EN: 0
; COMPUTE_PGM_RSRC2:TGID_Z_EN: 0
; COMPUTE_PGM_RSRC2:TIDIG_COMP_CNT: 0
	.section	.text._ZN9rocsparseL18bsrxmvn_4x4_kernelILj128ELj32E21rocsparse_complex_numIdEliS1_IfES2_S2_EEvT3_20rocsparse_direction_NS_24const_host_device_scalarIT1_EES4_PKS4_PKT2_SD_SA_PKT4_PKT5_S8_PT6_21rocsparse_index_base_b,"axG",@progbits,_ZN9rocsparseL18bsrxmvn_4x4_kernelILj128ELj32E21rocsparse_complex_numIdEliS1_IfES2_S2_EEvT3_20rocsparse_direction_NS_24const_host_device_scalarIT1_EES4_PKS4_PKT2_SD_SA_PKT4_PKT5_S8_PT6_21rocsparse_index_base_b,comdat
	.globl	_ZN9rocsparseL18bsrxmvn_4x4_kernelILj128ELj32E21rocsparse_complex_numIdEliS1_IfES2_S2_EEvT3_20rocsparse_direction_NS_24const_host_device_scalarIT1_EES4_PKS4_PKT2_SD_SA_PKT4_PKT5_S8_PT6_21rocsparse_index_base_b ; -- Begin function _ZN9rocsparseL18bsrxmvn_4x4_kernelILj128ELj32E21rocsparse_complex_numIdEliS1_IfES2_S2_EEvT3_20rocsparse_direction_NS_24const_host_device_scalarIT1_EES4_PKS4_PKT2_SD_SA_PKT4_PKT5_S8_PT6_21rocsparse_index_base_b
	.p2align	8
	.type	_ZN9rocsparseL18bsrxmvn_4x4_kernelILj128ELj32E21rocsparse_complex_numIdEliS1_IfES2_S2_EEvT3_20rocsparse_direction_NS_24const_host_device_scalarIT1_EES4_PKS4_PKT2_SD_SA_PKT4_PKT5_S8_PT6_21rocsparse_index_base_b,@function
_ZN9rocsparseL18bsrxmvn_4x4_kernelILj128ELj32E21rocsparse_complex_numIdEliS1_IfES2_S2_EEvT3_20rocsparse_direction_NS_24const_host_device_scalarIT1_EES4_PKS4_PKT2_SD_SA_PKT4_PKT5_S8_PT6_21rocsparse_index_base_b: ; @_ZN9rocsparseL18bsrxmvn_4x4_kernelILj128ELj32E21rocsparse_complex_numIdEliS1_IfES2_S2_EEvT3_20rocsparse_direction_NS_24const_host_device_scalarIT1_EES4_PKS4_PKT2_SD_SA_PKT4_PKT5_S8_PT6_21rocsparse_index_base_b
; %bb.0:
	s_load_dwordx2 s[0:1], s[4:5], 0x8
	s_load_dwordx2 s[16:17], s[4:5], 0x68
	s_add_u32 s7, s4, 8
	s_addc_u32 s8, s5, 0
	s_add_u32 s9, s4, 0x50
	s_addc_u32 s10, s5, 0
	s_waitcnt lgkmcnt(0)
	s_bitcmp1_b32 s17, 0
	s_cselect_b32 s1, s8, s1
	s_cselect_b32 s0, s7, s0
	v_mov_b32_e32 v1, s0
	v_mov_b32_e32 v2, s1
	flat_load_dwordx4 v[5:8], v[1:2]
	s_load_dwordx2 s[2:3], s[4:5], 0x50
	s_waitcnt lgkmcnt(0)
	s_cselect_b32 s0, s10, s3
	s_cselect_b32 s1, s9, s2
	v_mov_b32_e32 v1, s1
	v_mov_b32_e32 v2, s0
	flat_load_dwordx4 v[1:4], v[1:2]
	s_waitcnt vmcnt(0)
	v_cmp_eq_f64_e32 vcc, 0, v[5:6]
	v_cmp_eq_f64_e64 s[0:1], 0, v[7:8]
	s_and_b64 s[8:9], vcc, s[0:1]
	s_mov_b64 s[0:1], -1
	s_and_saveexec_b64 s[2:3], s[8:9]
	s_cbranch_execz .LBB173_2
; %bb.1:
	s_waitcnt lgkmcnt(0)
	v_cmp_neq_f64_e32 vcc, 1.0, v[1:2]
	v_cmp_neq_f64_e64 s[0:1], 0, v[3:4]
	s_or_b64 s[0:1], vcc, s[0:1]
	s_orn2_b64 s[0:1], s[0:1], exec
.LBB173_2:
	s_or_b64 exec, exec, s[2:3]
	s_and_saveexec_b64 s[2:3], s[0:1]
	s_cbranch_execz .LBB173_8
; %bb.3:
	s_load_dwordx2 s[8:9], s[4:5], 0x20
	s_load_dwordx2 s[0:1], s[4:5], 0x0
	v_lshrrev_b32_e32 v9, 5, v0
	v_lshl_or_b32 v21, s6, 2, v9
	s_mov_b64 s[2:3], 0
	s_waitcnt lgkmcnt(0)
	s_cmp_lg_u64 s[8:9], 0
	s_cbranch_scc0 .LBB173_9
; %bb.4:
	s_load_dword s6, s[4:5], 0x18
                                        ; implicit-def: $vgpr9
	s_waitcnt lgkmcnt(0)
	v_cmp_gt_i32_e32 vcc, s6, v21
	s_and_saveexec_b64 s[6:7], vcc
	s_xor_b64 s[6:7], exec, s[6:7]
	s_cbranch_execz .LBB173_6
; %bb.5:
	v_ashrrev_i32_e32 v22, 31, v21
	v_lshlrev_b64 v[9:10], 2, v[21:22]
	v_mov_b32_e32 v11, s9
	v_add_co_u32_e32 v9, vcc, s8, v9
	v_addc_co_u32_e32 v10, vcc, v11, v10, vcc
	global_load_dword v9, v[9:10], off
	s_mov_b64 s[2:3], exec
	s_waitcnt vmcnt(0)
	v_subrev_u32_e32 v9, s16, v9
.LBB173_6:
	s_or_b64 exec, exec, s[6:7]
	s_branch .LBB173_10
.LBB173_7:
	v_cmp_gt_i32_e32 vcc, s0, v21
	s_andn2_b64 s[2:3], s[2:3], exec
	s_and_b64 s[6:7], vcc, exec
	s_or_b64 s[2:3], s[2:3], s[6:7]
	s_and_b64 exec, exec, s[2:3]
	s_cbranch_execnz .LBB173_11
.LBB173_8:
	s_endpgm
.LBB173_9:
                                        ; implicit-def: $vgpr9
	s_cbranch_execnz .LBB173_7
.LBB173_10:
	v_mov_b32_e32 v21, v9
	s_and_b64 exec, exec, s[2:3]
	s_cbranch_execz .LBB173_8
.LBB173_11:
	s_load_dwordx8 s[8:15], s[4:5], 0x28
	v_ashrrev_i32_e32 v22, 31, v21
	v_lshlrev_b64 v[9:10], 3, v[21:22]
	v_and_b32_e32 v0, 31, v0
	s_load_dwordx2 s[6:7], s[4:5], 0x48
	s_waitcnt lgkmcnt(0)
	v_mov_b32_e32 v12, s9
	v_add_co_u32_e32 v11, vcc, s8, v9
	v_addc_co_u32_e32 v12, vcc, v12, v10, vcc
	global_load_dwordx2 v[15:16], v[11:12], off
	v_add_co_u32_e32 v11, vcc, 8, v11
	v_addc_co_u32_e32 v12, vcc, 0, v12, vcc
	v_mov_b32_e32 v13, s11
	v_add_co_u32_e32 v9, vcc, s10, v9
	s_cmp_eq_u64 s[10:11], 0
	v_addc_co_u32_e32 v10, vcc, v13, v10, vcc
	s_cselect_b64 vcc, -1, 0
	v_cndmask_b32_e32 v10, v10, v12, vcc
	v_cndmask_b32_e32 v9, v9, v11, vcc
	global_load_dwordx2 v[11:12], v[9:10], off
	v_mov_b32_e32 v17, s15
	s_cmp_eq_u32 s1, 1
	s_waitcnt vmcnt(1)
	v_subrev_co_u32_e32 v9, vcc, s16, v15
	v_subbrev_co_u32_e32 v10, vcc, 0, v16, vcc
	v_add_co_u32_e32 v9, vcc, v9, v0
	v_addc_co_u32_e32 v10, vcc, 0, v10, vcc
	v_lshlrev_b64 v[13:14], 7, v[9:10]
	s_waitcnt vmcnt(0)
	v_subrev_co_u32_e32 v11, vcc, s16, v11
	v_subbrev_co_u32_e32 v12, vcc, 0, v12, vcc
	v_cmp_lt_i64_e64 s[0:1], v[9:10], v[11:12]
	v_add_co_u32_e32 v13, vcc, s14, v13
	v_addc_co_u32_e32 v14, vcc, v17, v14, vcc
	s_cbranch_scc1 .LBB173_23
; %bb.12:
	v_mov_b32_e32 v34, 0
	v_mov_b32_e32 v28, 0
	;; [unrolled: 1-line block ×16, first 2 shown]
	s_and_saveexec_b64 s[8:9], s[0:1]
	s_cbranch_execz .LBB173_22
; %bb.13:
	v_or_b32_e32 v17, 32, v0
	v_subrev_co_u32_e32 v17, vcc, s16, v17
	v_subb_co_u32_e64 v18, s[2:3], 0, 0, vcc
	v_add_co_u32_e32 v17, vcc, v17, v15
	v_addc_co_u32_e32 v18, vcc, v18, v16, vcc
	v_cmp_gt_i64_e32 vcc, v[17:18], v[11:12]
	v_not_b32_e32 v20, v15
	v_cndmask_b32_e32 v18, v12, v18, vcc
	v_cndmask_b32_e32 v17, v11, v17, vcc
	v_sub_co_u32_e32 v22, vcc, s16, v0
	v_not_b32_e32 v19, v16
	v_subb_co_u32_e64 v23, s[2:3], 0, 0, vcc
	v_add_co_u32_e32 v20, vcc, v22, v20
	v_addc_co_u32_e32 v19, vcc, v23, v19, vcc
	v_add_co_u32_e32 v22, vcc, v20, v17
	v_addc_co_u32_e32 v23, vcc, v19, v18, vcc
	v_and_b32_e32 v17, 0x60, v22
	v_mov_b32_e32 v18, 0
	s_mov_b64 s[2:3], 0x60
	v_cmp_ne_u64_e32 vcc, s[2:3], v[17:18]
	v_mov_b32_e32 v32, 0
	v_mov_b32_e32 v30, 0
	;; [unrolled: 1-line block ×20, first 2 shown]
	s_and_saveexec_b64 s[10:11], vcc
	s_cbranch_execz .LBB173_17
; %bb.14:
	v_lshrrev_b32_e32 v17, 5, v22
	v_add_u32_e32 v17, 1, v17
	v_and_b32_e32 v19, 3, v17
	v_lshlrev_b64 v[17:18], 2, v[9:10]
	v_mov_b32_e32 v20, s13
	v_add_co_u32_e32 v40, vcc, s12, v17
	v_addc_co_u32_e32 v41, vcc, v20, v18, vcc
	v_sub_co_u32_e32 v42, vcc, 0, v19
	v_mov_b32_e32 v34, 0
	v_mov_b32_e32 v18, v10
	;; [unrolled: 1-line block ×10, first 2 shown]
	s_mov_b64 s[14:15], 0
	v_subb_co_u32_e64 v43, s[2:3], 0, 0, vcc
	v_mov_b32_e32 v35, 0
	s_movk_i32 s17, 0x1000
	v_mov_b32_e32 v44, s7
	v_mov_b32_e32 v17, v9
	;; [unrolled: 1-line block ×10, first 2 shown]
.LBB173_15:                             ; =>This Inner Loop Header: Depth=1
	global_load_dword v53, v[40:41], off
	global_load_dwordx4 v[45:48], v[19:20], off
	global_load_dwordx4 v[49:52], v[19:20], off offset:32
	v_add_co_u32_e64 v17, s[2:3], 32, v17
	v_addc_co_u32_e64 v18, s[2:3], 0, v18, s[2:3]
	v_add_co_u32_e64 v42, s[2:3], 1, v42
	v_addc_co_u32_e64 v43, s[2:3], 0, v43, s[2:3]
	v_cmp_eq_u64_e64 s[2:3], 0, v[42:43]
	s_or_b64 s[14:15], s[2:3], s[14:15]
	s_waitcnt vmcnt(2)
	v_subrev_u32_e32 v53, s16, v53
	v_lshlrev_b32_e32 v53, 2, v53
	v_ashrrev_i32_e32 v54, 31, v53
	v_lshlrev_b64 v[53:54], 4, v[53:54]
	s_waitcnt vmcnt(1)
	v_cvt_f64_f32_e32 v[57:58], v45
	v_add_co_u32_e32 v59, vcc, s6, v53
	v_addc_co_u32_e32 v60, vcc, v44, v54, vcc
	global_load_dwordx4 v[53:56], v[59:60], off
	v_cvt_f64_f32_e32 v[45:46], v46
	s_waitcnt vmcnt(0)
	v_fma_f64 v[28:29], v[57:58], v[53:54], v[28:29]
	v_fma_f64 v[34:35], v[45:46], v[53:54], v[34:35]
	v_fma_f64 v[28:29], -v[45:46], v[55:56], v[28:29]
	v_cvt_f64_f32_e32 v[45:46], v49
	v_fma_f64 v[57:58], v[57:58], v[55:56], v[34:35]
	v_cvt_f64_f32_e32 v[34:35], v50
	v_fma_f64 v[38:39], v[45:46], v[53:54], v[38:39]
	v_fma_f64 v[36:37], v[34:35], v[53:54], v[36:37]
	v_fma_f64 v[38:39], -v[34:35], v[55:56], v[38:39]
	v_fma_f64 v[45:46], v[45:46], v[55:56], v[36:37]
	global_load_dwordx4 v[34:37], v[19:20], off offset:64
	s_waitcnt vmcnt(0)
	v_cvt_f64_f32_e32 v[49:50], v34
	v_cvt_f64_f32_e32 v[34:35], v35
	v_fma_f64 v[26:27], v[49:50], v[53:54], v[26:27]
	v_fma_f64 v[24:25], v[34:35], v[53:54], v[24:25]
	v_fma_f64 v[34:35], -v[34:35], v[55:56], v[26:27]
	v_fma_f64 v[49:50], v[49:50], v[55:56], v[24:25]
	global_load_dwordx4 v[24:27], v[19:20], off offset:96
	s_waitcnt vmcnt(0)
	v_cvt_f64_f32_e32 v[61:62], v24
	v_cvt_f64_f32_e32 v[24:25], v25
	;; [unrolled: 1-line block ×4, first 2 shown]
	v_fma_f64 v[32:33], v[61:62], v[53:54], v[32:33]
	v_fma_f64 v[30:31], v[24:25], v[53:54], v[30:31]
	v_fma_f64 v[53:54], -v[24:25], v[55:56], v[32:33]
	global_load_dwordx4 v[24:27], v[59:60], off offset:16
	v_fma_f64 v[55:56], v[61:62], v[55:56], v[30:31]
	v_cvt_f64_f32_e32 v[30:31], v47
	v_cvt_f64_f32_e32 v[32:33], v48
	;; [unrolled: 1-line block ×6, first 2 shown]
	s_waitcnt vmcnt(0)
	v_fma_f64 v[28:29], v[30:31], v[24:25], v[28:29]
	v_fma_f64 v[57:58], v[32:33], v[24:25], v[57:58]
	v_fma_f64 v[67:68], -v[32:33], v[26:27], v[28:29]
	v_fma_f64 v[57:58], v[30:31], v[26:27], v[57:58]
	v_fma_f64 v[30:31], v[51:52], v[24:25], v[45:46]
	;; [unrolled: 1-line block ×6, first 2 shown]
	v_fma_f64 v[47:48], -v[36:37], v[26:27], v[32:33]
	v_fma_f64 v[36:37], v[63:64], v[24:25], v[53:54]
	v_fma_f64 v[24:25], v[65:66], v[24:25], v[55:56]
	v_fma_f64 v[38:39], -v[51:52], v[26:27], v[28:29]
	global_load_dwordx4 v[28:31], v[19:20], off offset:16
	v_fma_f64 v[49:50], v[61:62], v[26:27], v[34:35]
	global_load_dwordx4 v[32:35], v[19:20], off offset:48
	v_fma_f64 v[51:52], -v[65:66], v[26:27], v[36:37]
	v_fma_f64 v[53:54], v[63:64], v[26:27], v[24:25]
	global_load_dwordx4 v[24:27], v[59:60], off offset:32
	s_waitcnt vmcnt(2)
	v_cvt_f64_f32_e32 v[36:37], v28
	v_cvt_f64_f32_e32 v[28:29], v29
	s_waitcnt vmcnt(0)
	v_fma_f64 v[55:56], v[36:37], v[24:25], v[67:68]
	v_fma_f64 v[57:58], v[28:29], v[24:25], v[57:58]
	v_fma_f64 v[28:29], -v[28:29], v[26:27], v[55:56]
	v_cvt_f64_f32_e32 v[55:56], v32
	v_cvt_f64_f32_e32 v[32:33], v33
	v_fma_f64 v[57:58], v[36:37], v[26:27], v[57:58]
	v_fma_f64 v[36:37], v[55:56], v[24:25], v[38:39]
	;; [unrolled: 1-line block ×3, first 2 shown]
	v_fma_f64 v[32:33], -v[32:33], v[26:27], v[36:37]
	v_fma_f64 v[55:56], v[55:56], v[26:27], v[38:39]
	global_load_dwordx4 v[36:39], v[19:20], off offset:80
	s_waitcnt vmcnt(0)
	v_cvt_f64_f32_e32 v[45:46], v36
	v_cvt_f64_f32_e32 v[36:37], v37
	;; [unrolled: 1-line block ×4, first 2 shown]
	v_fma_f64 v[47:48], v[45:46], v[24:25], v[47:48]
	v_fma_f64 v[49:50], v[36:37], v[24:25], v[49:50]
	v_fma_f64 v[36:37], -v[36:37], v[26:27], v[47:48]
	v_fma_f64 v[49:50], v[45:46], v[26:27], v[49:50]
	global_load_dwordx4 v[45:48], v[19:20], off offset:112
	v_add_co_u32_e32 v19, vcc, s17, v19
	v_addc_co_u32_e32 v20, vcc, 0, v20, vcc
	v_add_co_u32_e32 v40, vcc, 0x80, v40
	v_addc_co_u32_e32 v41, vcc, 0, v41, vcc
	s_waitcnt vmcnt(0)
	v_cvt_f64_f32_e32 v[61:62], v45
	v_cvt_f64_f32_e32 v[45:46], v46
	;; [unrolled: 1-line block ×4, first 2 shown]
	v_fma_f64 v[51:52], v[61:62], v[24:25], v[51:52]
	v_fma_f64 v[24:25], v[45:46], v[24:25], v[53:54]
	v_cvt_f64_f32_e32 v[53:54], v34
	v_fma_f64 v[51:52], -v[45:46], v[26:27], v[51:52]
	global_load_dwordx4 v[45:48], v[59:60], off offset:48
	v_fma_f64 v[24:25], v[61:62], v[26:27], v[24:25]
	v_cvt_f64_f32_e32 v[26:27], v30
	v_cvt_f64_f32_e32 v[30:31], v31
	;; [unrolled: 1-line block ×3, first 2 shown]
	s_waitcnt vmcnt(0)
	v_fma_f64 v[28:29], v[26:27], v[45:46], v[28:29]
	v_fma_f64 v[34:35], v[30:31], v[45:46], v[57:58]
	;; [unrolled: 1-line block ×4, first 2 shown]
	v_fma_f64 v[28:29], -v[30:31], v[47:48], v[28:29]
	v_fma_f64 v[30:31], v[53:54], v[45:46], v[32:33]
	v_fma_f64 v[32:33], v[61:62], v[45:46], v[55:56]
	;; [unrolled: 1-line block ×6, first 2 shown]
	v_fma_f64 v[38:39], -v[61:62], v[47:48], v[30:31]
	v_fma_f64 v[36:37], v[53:54], v[47:48], v[32:33]
	v_fma_f64 v[26:27], -v[65:66], v[47:48], v[55:56]
	v_fma_f64 v[32:33], -v[69:70], v[47:48], v[51:52]
	v_fma_f64 v[30:31], v[67:68], v[47:48], v[45:46]
	s_andn2_b64 exec, exec, s[14:15]
	s_cbranch_execnz .LBB173_15
; %bb.16:
	s_or_b64 exec, exec, s[14:15]
.LBB173_17:
	s_or_b64 exec, exec, s[10:11]
	s_mov_b64 s[2:3], 0x5f
	v_cmp_lt_u64_e32 vcc, s[2:3], v[22:23]
	s_and_saveexec_b64 s[10:11], vcc
	s_cbranch_execz .LBB173_21
; %bb.18:
	v_lshlrev_b64 v[22:23], 2, v[17:18]
	v_mov_b32_e32 v40, s13
	v_add_co_u32_e32 v22, vcc, s12, v22
	v_addc_co_u32_e32 v23, vcc, v40, v23, vcc
	v_add_co_u32_e32 v22, vcc, 0x100, v22
	v_addc_co_u32_e32 v23, vcc, 0, v23, vcc
	s_mov_b64 s[14:15], 0
	v_mov_b32_e32 v42, s7
	s_movk_i32 s17, 0x1000
	s_movk_i32 s18, 0x2000
	;; [unrolled: 1-line block ×3, first 2 shown]
.LBB173_19:                             ; =>This Inner Loop Header: Depth=1
	global_load_dword v40, v[22:23], off offset:-256
	global_load_dwordx4 v[43:46], v[19:20], off offset:48
	global_load_dwordx4 v[47:50], v[19:20], off offset:32
	global_load_dwordx4 v[51:54], v[19:20], off offset:16
	global_load_dwordx4 v[55:58], v[19:20], off
	s_waitcnt vmcnt(4)
	v_subrev_u32_e32 v40, s16, v40
	v_lshlrev_b32_e32 v40, 2, v40
	v_ashrrev_i32_e32 v41, 31, v40
	v_lshlrev_b64 v[40:41], 4, v[40:41]
	s_waitcnt vmcnt(0)
	v_cvt_f64_f32_e32 v[75:76], v55
	v_add_co_u32_e32 v40, vcc, s6, v40
	v_addc_co_u32_e32 v41, vcc, v42, v41, vcc
	global_load_dwordx4 v[59:62], v[40:41], off offset:48
	global_load_dwordx4 v[63:66], v[40:41], off offset:32
	global_load_dwordx4 v[67:70], v[40:41], off offset:16
	global_load_dwordx4 v[71:74], v[40:41], off
	v_cvt_f64_f32_e32 v[55:56], v56
	v_cvt_f64_f32_e32 v[40:41], v57
	s_waitcnt vmcnt(0)
	v_fma_f64 v[28:29], v[75:76], v[71:72], v[28:29]
	v_fma_f64 v[34:35], v[55:56], v[71:72], v[34:35]
	v_fma_f64 v[28:29], -v[55:56], v[73:74], v[28:29]
	v_fma_f64 v[34:35], v[75:76], v[73:74], v[34:35]
	v_cvt_f64_f32_e32 v[55:56], v58
	v_fma_f64 v[28:29], v[40:41], v[67:68], v[28:29]
	v_fma_f64 v[34:35], v[55:56], v[67:68], v[34:35]
	v_fma_f64 v[28:29], -v[55:56], v[69:70], v[28:29]
	v_fma_f64 v[34:35], v[40:41], v[69:70], v[34:35]
	v_cvt_f64_f32_e32 v[40:41], v51
	v_cvt_f64_f32_e32 v[51:52], v52
	v_fma_f64 v[28:29], v[40:41], v[63:64], v[28:29]
	v_fma_f64 v[34:35], v[51:52], v[63:64], v[34:35]
	v_fma_f64 v[28:29], -v[51:52], v[65:66], v[28:29]
	v_fma_f64 v[34:35], v[40:41], v[65:66], v[34:35]
	v_cvt_f64_f32_e32 v[40:41], v53
	v_cvt_f64_f32_e32 v[51:52], v54
	v_fma_f64 v[28:29], v[40:41], v[59:60], v[28:29]
	v_fma_f64 v[75:76], -v[51:52], v[61:62], v[28:29]
	v_fma_f64 v[28:29], v[51:52], v[59:60], v[34:35]
	v_cvt_f64_f32_e32 v[34:35], v48
	v_fma_f64 v[77:78], v[40:41], v[61:62], v[28:29]
	v_cvt_f64_f32_e32 v[28:29], v47
	v_fma_f64 v[38:39], v[28:29], v[71:72], v[38:39]
	v_fma_f64 v[38:39], -v[34:35], v[73:74], v[38:39]
	v_fma_f64 v[34:35], v[34:35], v[71:72], v[36:37]
	v_cvt_f64_f32_e32 v[36:37], v50
	v_fma_f64 v[28:29], v[28:29], v[73:74], v[34:35]
	v_cvt_f64_f32_e32 v[34:35], v49
	v_fma_f64 v[38:39], v[34:35], v[67:68], v[38:39]
	v_fma_f64 v[28:29], v[36:37], v[67:68], v[28:29]
	v_fma_f64 v[38:39], -v[36:37], v[69:70], v[38:39]
	v_cvt_f64_f32_e32 v[36:37], v44
	v_fma_f64 v[28:29], v[34:35], v[69:70], v[28:29]
	v_cvt_f64_f32_e32 v[34:35], v43
	v_fma_f64 v[38:39], v[34:35], v[63:64], v[38:39]
	v_fma_f64 v[28:29], v[36:37], v[63:64], v[28:29]
	v_fma_f64 v[38:39], -v[36:37], v[65:66], v[38:39]
	;; [unrolled: 6-line block ×3, first 2 shown]
	v_fma_f64 v[81:82], v[34:35], v[61:62], v[28:29]
	global_load_dwordx4 v[34:37], v[19:20], off offset:112
	global_load_dwordx4 v[38:41], v[19:20], off offset:96
	;; [unrolled: 1-line block ×4, first 2 shown]
	s_waitcnt vmcnt(0)
	v_cvt_f64_f32_e32 v[28:29], v47
	v_cvt_f64_f32_e32 v[47:48], v48
	v_fma_f64 v[26:27], v[28:29], v[71:72], v[26:27]
	v_fma_f64 v[24:25], v[47:48], v[71:72], v[24:25]
	v_fma_f64 v[26:27], -v[47:48], v[73:74], v[26:27]
	v_fma_f64 v[24:25], v[28:29], v[73:74], v[24:25]
	v_cvt_f64_f32_e32 v[47:48], v50
	v_cvt_f64_f32_e32 v[28:29], v49
	v_fma_f64 v[26:27], v[28:29], v[67:68], v[26:27]
	v_fma_f64 v[24:25], v[47:48], v[67:68], v[24:25]
	v_fma_f64 v[26:27], -v[47:48], v[69:70], v[26:27]
	v_fma_f64 v[24:25], v[28:29], v[69:70], v[24:25]
	;; [unrolled: 6-line block ×4, first 2 shown]
	v_cvt_f64_f32_e32 v[24:25], v38
	v_cvt_f64_f32_e32 v[26:27], v39
	v_fma_f64 v[28:29], v[24:25], v[71:72], v[32:33]
	v_fma_f64 v[28:29], -v[26:27], v[73:74], v[28:29]
	v_fma_f64 v[26:27], v[26:27], v[71:72], v[30:31]
	v_cvt_f64_f32_e32 v[30:31], v41
	v_fma_f64 v[24:25], v[24:25], v[73:74], v[26:27]
	v_cvt_f64_f32_e32 v[26:27], v40
	v_fma_f64 v[28:29], v[26:27], v[67:68], v[28:29]
	v_fma_f64 v[24:25], v[30:31], v[67:68], v[24:25]
	v_fma_f64 v[28:29], -v[30:31], v[69:70], v[28:29]
	v_cvt_f64_f32_e32 v[30:31], v35
	v_fma_f64 v[24:25], v[26:27], v[69:70], v[24:25]
	v_cvt_f64_f32_e32 v[26:27], v34
	v_fma_f64 v[28:29], v[26:27], v[63:64], v[28:29]
	v_fma_f64 v[24:25], v[30:31], v[63:64], v[24:25]
	v_fma_f64 v[28:29], -v[30:31], v[65:66], v[28:29]
	;; [unrolled: 6-line block ×3, first 2 shown]
	v_fma_f64 v[59:60], v[26:27], v[61:62], v[24:25]
	global_load_dword v24, v[22:23], off offset:-128
	v_add_co_u32_e32 v61, vcc, s17, v19
	v_addc_co_u32_e32 v62, vcc, 0, v20, vcc
	v_add_co_u32_e32 v67, vcc, s18, v19
	v_addc_co_u32_e32 v68, vcc, 0, v20, vcc
	s_waitcnt vmcnt(0)
	v_subrev_u32_e32 v24, s16, v24
	v_lshlrev_b32_e32 v43, 2, v24
	v_ashrrev_i32_e32 v44, 31, v43
	v_lshlrev_b64 v[43:44], 4, v[43:44]
	global_load_dwordx4 v[24:27], v[67:68], off offset:-4096
	global_load_dwordx4 v[28:31], v[61:62], off offset:48
	global_load_dwordx4 v[32:35], v[61:62], off offset:32
	;; [unrolled: 1-line block ×3, first 2 shown]
	v_add_co_u32_e32 v65, vcc, s6, v43
	v_addc_co_u32_e32 v66, vcc, v42, v44, vcc
	global_load_dwordx4 v[43:46], v[65:66], off offset:48
	global_load_dwordx4 v[47:50], v[65:66], off offset:32
	;; [unrolled: 1-line block ×3, first 2 shown]
	global_load_dwordx4 v[55:58], v[65:66], off
	s_waitcnt vmcnt(7)
	v_cvt_f64_f32_e32 v[63:64], v24
	v_cvt_f64_f32_e32 v[24:25], v25
	s_waitcnt vmcnt(0)
	v_fma_f64 v[65:66], v[63:64], v[55:56], v[75:76]
	v_fma_f64 v[65:66], -v[24:25], v[57:58], v[65:66]
	v_fma_f64 v[24:25], v[24:25], v[55:56], v[77:78]
	v_fma_f64 v[24:25], v[63:64], v[57:58], v[24:25]
	v_cvt_f64_f32_e32 v[63:64], v26
	v_cvt_f64_f32_e32 v[26:27], v27
	v_fma_f64 v[65:66], v[63:64], v[51:52], v[65:66]
	v_fma_f64 v[24:25], v[26:27], v[51:52], v[24:25]
	v_fma_f64 v[65:66], -v[26:27], v[53:54], v[65:66]
	v_cvt_f64_f32_e32 v[26:27], v36
	v_cvt_f64_f32_e32 v[36:37], v37
	v_fma_f64 v[24:25], v[63:64], v[53:54], v[24:25]
	v_fma_f64 v[63:64], v[26:27], v[47:48], v[65:66]
	;; [unrolled: 1-line block ×3, first 2 shown]
	v_fma_f64 v[63:64], -v[36:37], v[49:50], v[63:64]
	v_cvt_f64_f32_e32 v[36:37], v39
	v_fma_f64 v[24:25], v[26:27], v[49:50], v[24:25]
	v_cvt_f64_f32_e32 v[26:27], v38
	v_fma_f64 v[38:39], v[26:27], v[43:44], v[63:64]
	v_fma_f64 v[24:25], v[36:37], v[43:44], v[24:25]
	v_fma_f64 v[63:64], -v[36:37], v[45:46], v[38:39]
	v_fma_f64 v[65:66], v[26:27], v[45:46], v[24:25]
	v_cvt_f64_f32_e32 v[24:25], v32
	v_cvt_f64_f32_e32 v[26:27], v33
	v_fma_f64 v[32:33], v[24:25], v[55:56], v[79:80]
	v_fma_f64 v[32:33], -v[26:27], v[57:58], v[32:33]
	v_fma_f64 v[26:27], v[26:27], v[55:56], v[81:82]
	v_fma_f64 v[24:25], v[24:25], v[57:58], v[26:27]
	v_cvt_f64_f32_e32 v[26:27], v34
	v_cvt_f64_f32_e32 v[34:35], v35
	v_fma_f64 v[32:33], v[26:27], v[51:52], v[32:33]
	v_fma_f64 v[24:25], v[34:35], v[51:52], v[24:25]
	v_fma_f64 v[32:33], -v[34:35], v[53:54], v[32:33]
	v_fma_f64 v[24:25], v[26:27], v[53:54], v[24:25]
	v_cvt_f64_f32_e32 v[26:27], v28
	v_cvt_f64_f32_e32 v[28:29], v29
	v_fma_f64 v[32:33], v[26:27], v[47:48], v[32:33]
	v_fma_f64 v[24:25], v[28:29], v[47:48], v[24:25]
	v_fma_f64 v[32:33], -v[28:29], v[49:50], v[32:33]
	v_cvt_f64_f32_e32 v[28:29], v31
	v_fma_f64 v[24:25], v[26:27], v[49:50], v[24:25]
	v_cvt_f64_f32_e32 v[26:27], v30
	v_fma_f64 v[30:31], v[26:27], v[43:44], v[32:33]
	v_fma_f64 v[24:25], v[28:29], v[43:44], v[24:25]
	v_fma_f64 v[69:70], -v[28:29], v[45:46], v[30:31]
	v_fma_f64 v[71:72], v[26:27], v[45:46], v[24:25]
	global_load_dwordx4 v[24:27], v[61:62], off offset:112
	global_load_dwordx4 v[28:31], v[61:62], off offset:96
	;; [unrolled: 1-line block ×4, first 2 shown]
	s_waitcnt vmcnt(0)
	v_cvt_f64_f32_e32 v[61:62], v36
	v_cvt_f64_f32_e32 v[36:37], v37
	v_fma_f64 v[73:74], v[61:62], v[55:56], v[83:84]
	v_fma_f64 v[73:74], -v[36:37], v[57:58], v[73:74]
	v_fma_f64 v[36:37], v[36:37], v[55:56], v[85:86]
	v_fma_f64 v[36:37], v[61:62], v[57:58], v[36:37]
	v_cvt_f64_f32_e32 v[61:62], v38
	v_cvt_f64_f32_e32 v[38:39], v39
	v_fma_f64 v[73:74], v[61:62], v[51:52], v[73:74]
	v_fma_f64 v[36:37], v[38:39], v[51:52], v[36:37]
	v_fma_f64 v[73:74], -v[38:39], v[53:54], v[73:74]
	v_cvt_f64_f32_e32 v[38:39], v32
	v_cvt_f64_f32_e32 v[32:33], v33
	v_fma_f64 v[36:37], v[61:62], v[53:54], v[36:37]
	v_fma_f64 v[61:62], v[38:39], v[47:48], v[73:74]
	v_fma_f64 v[61:62], -v[32:33], v[49:50], v[61:62]
	v_fma_f64 v[32:33], v[32:33], v[47:48], v[36:37]
	v_cvt_f64_f32_e32 v[36:37], v34
	v_cvt_f64_f32_e32 v[34:35], v35
	v_fma_f64 v[32:33], v[38:39], v[49:50], v[32:33]
	v_fma_f64 v[38:39], v[36:37], v[43:44], v[61:62]
	;; [unrolled: 1-line block ×3, first 2 shown]
	v_fma_f64 v[73:74], -v[34:35], v[45:46], v[38:39]
	v_fma_f64 v[75:76], v[36:37], v[45:46], v[32:33]
	v_cvt_f64_f32_e32 v[32:33], v28
	v_cvt_f64_f32_e32 v[28:29], v29
	v_fma_f64 v[34:35], v[32:33], v[55:56], v[40:41]
	v_fma_f64 v[34:35], -v[28:29], v[57:58], v[34:35]
	v_fma_f64 v[28:29], v[28:29], v[55:56], v[59:60]
	v_fma_f64 v[28:29], v[32:33], v[57:58], v[28:29]
	v_cvt_f64_f32_e32 v[32:33], v30
	v_cvt_f64_f32_e32 v[30:31], v31
	v_fma_f64 v[34:35], v[32:33], v[51:52], v[34:35]
	v_fma_f64 v[28:29], v[30:31], v[51:52], v[28:29]
	v_fma_f64 v[34:35], -v[30:31], v[53:54], v[34:35]
	v_cvt_f64_f32_e32 v[30:31], v24
	v_cvt_f64_f32_e32 v[24:25], v25
	v_fma_f64 v[28:29], v[32:33], v[53:54], v[28:29]
	v_fma_f64 v[32:33], v[30:31], v[47:48], v[34:35]
	v_fma_f64 v[32:33], -v[24:25], v[49:50], v[32:33]
	v_fma_f64 v[24:25], v[24:25], v[47:48], v[28:29]
	v_cvt_f64_f32_e32 v[28:29], v26
	v_cvt_f64_f32_e32 v[26:27], v27
	v_fma_f64 v[24:25], v[30:31], v[49:50], v[24:25]
	v_fma_f64 v[30:31], v[28:29], v[43:44], v[32:33]
	;; [unrolled: 1-line block ×3, first 2 shown]
	v_fma_f64 v[40:41], -v[26:27], v[45:46], v[30:31]
	v_fma_f64 v[77:78], v[28:29], v[45:46], v[24:25]
	global_load_dword v24, v[22:23], off
	s_waitcnt vmcnt(0)
	v_subrev_u32_e32 v24, s16, v24
	v_lshlrev_b32_e32 v28, 2, v24
	v_ashrrev_i32_e32 v29, 31, v28
	v_lshlrev_b64 v[28:29], 4, v[28:29]
	global_load_dwordx4 v[24:27], v[67:68], off
	global_load_dwordx4 v[30:33], v[67:68], off offset:48
	global_load_dwordx4 v[36:39], v[67:68], off offset:32
	;; [unrolled: 1-line block ×3, first 2 shown]
	v_add_co_u32_e32 v28, vcc, s6, v28
	v_addc_co_u32_e32 v29, vcc, v42, v29, vcc
	global_load_dwordx4 v[47:50], v[28:29], off offset:48
	global_load_dwordx4 v[51:54], v[28:29], off offset:32
	;; [unrolled: 1-line block ×3, first 2 shown]
	global_load_dwordx4 v[59:62], v[28:29], off
	s_waitcnt vmcnt(7)
	v_cvt_f64_f32_e32 v[34:35], v24
	v_cvt_f64_f32_e32 v[24:25], v25
	s_waitcnt vmcnt(0)
	v_fma_f64 v[28:29], v[34:35], v[59:60], v[63:64]
	v_fma_f64 v[28:29], -v[24:25], v[61:62], v[28:29]
	v_fma_f64 v[24:25], v[24:25], v[59:60], v[65:66]
	v_fma_f64 v[24:25], v[34:35], v[61:62], v[24:25]
	v_cvt_f64_f32_e32 v[34:35], v26
	v_cvt_f64_f32_e32 v[26:27], v27
	v_fma_f64 v[28:29], v[34:35], v[55:56], v[28:29]
	v_fma_f64 v[24:25], v[26:27], v[55:56], v[24:25]
	v_fma_f64 v[28:29], -v[26:27], v[57:58], v[28:29]
	v_cvt_f64_f32_e32 v[26:27], v43
	v_fma_f64 v[24:25], v[34:35], v[57:58], v[24:25]
	v_cvt_f64_f32_e32 v[34:35], v44
	v_fma_f64 v[28:29], v[26:27], v[51:52], v[28:29]
	v_fma_f64 v[24:25], v[34:35], v[51:52], v[24:25]
	v_fma_f64 v[28:29], -v[34:35], v[53:54], v[28:29]
	v_cvt_f64_f32_e32 v[34:35], v46
	v_fma_f64 v[24:25], v[26:27], v[53:54], v[24:25]
	v_cvt_f64_f32_e32 v[26:27], v45
	v_fma_f64 v[28:29], v[26:27], v[47:48], v[28:29]
	v_fma_f64 v[24:25], v[34:35], v[47:48], v[24:25]
	v_fma_f64 v[28:29], -v[34:35], v[49:50], v[28:29]
	v_fma_f64 v[34:35], v[26:27], v[49:50], v[24:25]
	v_cvt_f64_f32_e32 v[24:25], v36
	v_cvt_f64_f32_e32 v[26:27], v37
	v_fma_f64 v[36:37], v[24:25], v[59:60], v[69:70]
	v_fma_f64 v[36:37], -v[26:27], v[61:62], v[36:37]
	v_fma_f64 v[26:27], v[26:27], v[59:60], v[71:72]
	v_fma_f64 v[24:25], v[24:25], v[61:62], v[26:27]
	v_cvt_f64_f32_e32 v[26:27], v38
	v_cvt_f64_f32_e32 v[38:39], v39
	v_fma_f64 v[36:37], v[26:27], v[55:56], v[36:37]
	v_fma_f64 v[24:25], v[38:39], v[55:56], v[24:25]
	v_fma_f64 v[36:37], -v[38:39], v[57:58], v[36:37]
	v_fma_f64 v[24:25], v[26:27], v[57:58], v[24:25]
	v_cvt_f64_f32_e32 v[26:27], v30
	v_cvt_f64_f32_e32 v[30:31], v31
	v_fma_f64 v[36:37], v[26:27], v[51:52], v[36:37]
	v_fma_f64 v[24:25], v[30:31], v[51:52], v[24:25]
	v_fma_f64 v[36:37], -v[30:31], v[53:54], v[36:37]
	v_cvt_f64_f32_e32 v[30:31], v33
	v_fma_f64 v[24:25], v[26:27], v[53:54], v[24:25]
	v_cvt_f64_f32_e32 v[26:27], v32
	v_fma_f64 v[32:33], v[26:27], v[47:48], v[36:37]
	v_fma_f64 v[24:25], v[30:31], v[47:48], v[24:25]
	v_fma_f64 v[36:37], -v[30:31], v[49:50], v[32:33]
	v_fma_f64 v[38:39], v[26:27], v[49:50], v[24:25]
	global_load_dwordx4 v[30:33], v[67:68], off offset:112
	global_load_dwordx4 v[43:46], v[67:68], off offset:96
	;; [unrolled: 1-line block ×4, first 2 shown]
	s_waitcnt vmcnt(0)
	v_cvt_f64_f32_e32 v[67:68], v63
	v_cvt_f64_f32_e32 v[63:64], v64
	v_fma_f64 v[69:70], v[67:68], v[59:60], v[73:74]
	v_fma_f64 v[69:70], -v[63:64], v[61:62], v[69:70]
	v_fma_f64 v[63:64], v[63:64], v[59:60], v[75:76]
	v_add_co_u32_e32 v75, vcc, s19, v19
	v_addc_co_u32_e32 v76, vcc, 0, v20, vcc
	v_fma_f64 v[63:64], v[67:68], v[61:62], v[63:64]
	v_cvt_f64_f32_e32 v[67:68], v65
	v_cvt_f64_f32_e32 v[65:66], v66
	v_fma_f64 v[69:70], v[67:68], v[55:56], v[69:70]
	v_fma_f64 v[63:64], v[65:66], v[55:56], v[63:64]
	v_fma_f64 v[69:70], -v[65:66], v[57:58], v[69:70]
	v_cvt_f64_f32_e32 v[65:66], v24
	v_cvt_f64_f32_e32 v[24:25], v25
	v_fma_f64 v[63:64], v[67:68], v[57:58], v[63:64]
	v_fma_f64 v[67:68], v[65:66], v[51:52], v[69:70]
	v_fma_f64 v[67:68], -v[24:25], v[53:54], v[67:68]
	v_fma_f64 v[24:25], v[24:25], v[51:52], v[63:64]
	v_fma_f64 v[63:64], v[65:66], v[53:54], v[24:25]
	v_cvt_f64_f32_e32 v[65:66], v26
	v_cvt_f64_f32_e32 v[26:27], v27
	v_fma_f64 v[24:25], v[65:66], v[47:48], v[67:68]
	v_fma_f64 v[24:25], -v[26:27], v[49:50], v[24:25]
	v_fma_f64 v[26:27], v[26:27], v[47:48], v[63:64]
	v_cvt_f64_f32_e32 v[63:64], v43
	v_cvt_f64_f32_e32 v[43:44], v44
	v_fma_f64 v[40:41], v[63:64], v[59:60], v[40:41]
	v_fma_f64 v[26:27], v[65:66], v[49:50], v[26:27]
	v_fma_f64 v[40:41], -v[43:44], v[61:62], v[40:41]
	v_fma_f64 v[43:44], v[43:44], v[59:60], v[77:78]
	v_cvt_f64_f32_e32 v[59:60], v45
	v_cvt_f64_f32_e32 v[45:46], v46
	v_fma_f64 v[40:41], v[59:60], v[55:56], v[40:41]
	;; [unrolled: 6-line block ×3, first 2 shown]
	v_fma_f64 v[43:44], v[59:60], v[57:58], v[43:44]
	v_fma_f64 v[40:41], -v[30:31], v[53:54], v[40:41]
	v_fma_f64 v[30:31], v[30:31], v[51:52], v[43:44]
	v_fma_f64 v[43:44], v[45:46], v[53:54], v[30:31]
	v_cvt_f64_f32_e32 v[45:46], v32
	v_cvt_f64_f32_e32 v[32:33], v33
	v_fma_f64 v[30:31], v[45:46], v[47:48], v[40:41]
	global_load_dword v40, v[22:23], off offset:128
	v_fma_f64 v[30:31], -v[32:33], v[49:50], v[30:31]
	v_fma_f64 v[32:33], v[32:33], v[47:48], v[43:44]
	v_fma_f64 v[32:33], v[45:46], v[49:50], v[32:33]
	global_load_dwordx4 v[43:46], v[75:76], off
	global_load_dwordx4 v[47:50], v[75:76], off offset:48
	global_load_dwordx4 v[51:54], v[75:76], off offset:32
	;; [unrolled: 1-line block ×3, first 2 shown]
	s_waitcnt vmcnt(4)
	v_subrev_u32_e32 v40, s16, v40
	v_lshlrev_b32_e32 v40, 2, v40
	v_ashrrev_i32_e32 v41, 31, v40
	v_lshlrev_b64 v[40:41], 4, v[40:41]
	v_add_co_u32_e32 v40, vcc, s6, v40
	v_addc_co_u32_e32 v41, vcc, v42, v41, vcc
	global_load_dwordx4 v[59:62], v[40:41], off offset:48
	global_load_dwordx4 v[63:66], v[40:41], off offset:32
	;; [unrolled: 1-line block ×3, first 2 shown]
	global_load_dwordx4 v[71:74], v[40:41], off
	v_add_co_u32_e32 v17, vcc, 0x80, v17
	v_addc_co_u32_e32 v18, vcc, 0, v18, vcc
	s_waitcnt vmcnt(7)
	v_cvt_f64_f32_e32 v[77:78], v43
	v_cvt_f64_f32_e32 v[43:44], v44
	;; [unrolled: 1-line block ×3, first 2 shown]
	v_add_co_u32_e32 v22, vcc, 0x200, v22
	v_addc_co_u32_e32 v23, vcc, 0, v23, vcc
	v_cmp_ge_i64_e64 s[2:3], v[17:18], v[11:12]
	v_add_co_u32_e32 v19, vcc, 0x4000, v19
	v_addc_co_u32_e32 v20, vcc, 0, v20, vcc
	s_or_b64 s[14:15], s[2:3], s[14:15]
	s_waitcnt vmcnt(0)
	v_fma_f64 v[34:35], v[43:44], v[71:72], v[34:35]
	v_fma_f64 v[28:29], v[77:78], v[71:72], v[28:29]
	v_fma_f64 v[34:35], v[77:78], v[73:74], v[34:35]
	v_fma_f64 v[28:29], -v[43:44], v[73:74], v[28:29]
	v_cvt_f64_f32_e32 v[43:44], v46
	v_cvt_f64_f32_e32 v[45:46], v50
	v_fma_f64 v[34:35], v[43:44], v[67:68], v[34:35]
	v_fma_f64 v[28:29], v[40:41], v[67:68], v[28:29]
	v_fma_f64 v[34:35], v[40:41], v[69:70], v[34:35]
	v_fma_f64 v[28:29], -v[43:44], v[69:70], v[28:29]
	v_cvt_f64_f32_e32 v[43:44], v56
	v_cvt_f64_f32_e32 v[40:41], v55
	;; [unrolled: 6-line block ×3, first 2 shown]
	v_fma_f64 v[34:35], v[43:44], v[59:60], v[34:35]
	v_fma_f64 v[28:29], v[40:41], v[59:60], v[28:29]
	;; [unrolled: 1-line block ×3, first 2 shown]
	v_cvt_f64_f32_e32 v[40:41], v51
	v_fma_f64 v[28:29], -v[43:44], v[61:62], v[28:29]
	v_cvt_f64_f32_e32 v[43:44], v52
	v_fma_f64 v[36:37], v[40:41], v[71:72], v[36:37]
	v_fma_f64 v[38:39], v[43:44], v[71:72], v[38:39]
	v_fma_f64 v[36:37], -v[43:44], v[73:74], v[36:37]
	v_cvt_f64_f32_e32 v[43:44], v54
	v_fma_f64 v[38:39], v[40:41], v[73:74], v[38:39]
	v_cvt_f64_f32_e32 v[40:41], v53
	v_fma_f64 v[36:37], v[40:41], v[67:68], v[36:37]
	v_fma_f64 v[38:39], v[43:44], v[67:68], v[38:39]
	v_fma_f64 v[36:37], -v[43:44], v[69:70], v[36:37]
	v_cvt_f64_f32_e32 v[43:44], v48
	v_fma_f64 v[38:39], v[40:41], v[69:70], v[38:39]
	;; [unrolled: 6-line block ×3, first 2 shown]
	v_fma_f64 v[36:37], v[43:44], v[59:60], v[36:37]
	v_fma_f64 v[38:39], -v[45:46], v[61:62], v[36:37]
	v_fma_f64 v[36:37], v[45:46], v[59:60], v[40:41]
	v_fma_f64 v[36:37], v[43:44], v[61:62], v[36:37]
	global_load_dwordx4 v[43:46], v[75:76], off offset:112
	global_load_dwordx4 v[47:50], v[75:76], off offset:96
	;; [unrolled: 1-line block ×4, first 2 shown]
	s_waitcnt vmcnt(0)
	v_cvt_f64_f32_e32 v[40:41], v55
	v_cvt_f64_f32_e32 v[55:56], v56
	v_fma_f64 v[24:25], v[40:41], v[71:72], v[24:25]
	v_fma_f64 v[26:27], v[55:56], v[71:72], v[26:27]
	v_fma_f64 v[24:25], -v[55:56], v[73:74], v[24:25]
	v_fma_f64 v[26:27], v[40:41], v[73:74], v[26:27]
	v_cvt_f64_f32_e32 v[40:41], v57
	v_cvt_f64_f32_e32 v[55:56], v58
	v_fma_f64 v[24:25], v[40:41], v[67:68], v[24:25]
	v_fma_f64 v[26:27], v[55:56], v[67:68], v[26:27]
	v_fma_f64 v[24:25], -v[55:56], v[69:70], v[24:25]
	v_fma_f64 v[26:27], v[40:41], v[69:70], v[26:27]
	v_cvt_f64_f32_e32 v[40:41], v51
	v_cvt_f64_f32_e32 v[51:52], v52
	v_fma_f64 v[24:25], v[40:41], v[63:64], v[24:25]
	v_fma_f64 v[26:27], v[51:52], v[63:64], v[26:27]
	v_fma_f64 v[24:25], -v[51:52], v[65:66], v[24:25]
	v_cvt_f64_f32_e32 v[51:52], v53
	v_fma_f64 v[40:41], v[40:41], v[65:66], v[26:27]
	v_cvt_f64_f32_e32 v[53:54], v54
	v_fma_f64 v[24:25], v[51:52], v[59:60], v[24:25]
	v_fma_f64 v[26:27], -v[53:54], v[61:62], v[24:25]
	v_fma_f64 v[24:25], v[53:54], v[59:60], v[40:41]
	v_cvt_f64_f32_e32 v[40:41], v47
	v_cvt_f64_f32_e32 v[47:48], v48
	v_fma_f64 v[30:31], v[40:41], v[71:72], v[30:31]
	v_fma_f64 v[32:33], v[47:48], v[71:72], v[32:33]
	;; [unrolled: 1-line block ×3, first 2 shown]
	v_fma_f64 v[30:31], -v[47:48], v[73:74], v[30:31]
	v_fma_f64 v[32:33], v[40:41], v[73:74], v[32:33]
	v_cvt_f64_f32_e32 v[40:41], v49
	v_cvt_f64_f32_e32 v[47:48], v50
	v_fma_f64 v[30:31], v[40:41], v[67:68], v[30:31]
	v_fma_f64 v[32:33], v[47:48], v[67:68], v[32:33]
	v_fma_f64 v[30:31], -v[47:48], v[69:70], v[30:31]
	v_fma_f64 v[32:33], v[40:41], v[69:70], v[32:33]
	v_cvt_f64_f32_e32 v[40:41], v43
	v_cvt_f64_f32_e32 v[43:44], v44
	v_fma_f64 v[30:31], v[40:41], v[63:64], v[30:31]
	v_fma_f64 v[32:33], v[43:44], v[63:64], v[32:33]
	v_fma_f64 v[30:31], -v[43:44], v[65:66], v[30:31]
	v_cvt_f64_f32_e32 v[43:44], v45
	v_fma_f64 v[40:41], v[40:41], v[65:66], v[32:33]
	v_cvt_f64_f32_e32 v[45:46], v46
	v_fma_f64 v[30:31], v[43:44], v[59:60], v[30:31]
	v_fma_f64 v[32:33], -v[45:46], v[61:62], v[30:31]
	v_fma_f64 v[30:31], v[45:46], v[59:60], v[40:41]
	v_fma_f64 v[30:31], v[43:44], v[61:62], v[30:31]
	s_andn2_b64 exec, exec, s[14:15]
	s_cbranch_execnz .LBB173_19
; %bb.20:
	s_or_b64 exec, exec, s[14:15]
.LBB173_21:
	s_or_b64 exec, exec, s[10:11]
.LBB173_22:
	s_or_b64 exec, exec, s[8:9]
	s_cbranch_execz .LBB173_24
	s_branch .LBB173_35
.LBB173_23:
                                        ; implicit-def: $vgpr34_vgpr35
                                        ; implicit-def: $vgpr28_vgpr29
                                        ; implicit-def: $vgpr36_vgpr37
                                        ; implicit-def: $vgpr38_vgpr39
                                        ; implicit-def: $vgpr24_vgpr25
                                        ; implicit-def: $vgpr26_vgpr27
                                        ; implicit-def: $vgpr30_vgpr31
                                        ; implicit-def: $vgpr32_vgpr33
.LBB173_24:
	v_mov_b32_e32 v34, 0
	v_mov_b32_e32 v28, 0
	;; [unrolled: 1-line block ×16, first 2 shown]
	s_and_saveexec_b64 s[2:3], s[0:1]
	s_cbranch_execz .LBB173_34
; %bb.25:
	v_or_b32_e32 v17, 32, v0
	v_subrev_co_u32_e32 v17, vcc, s16, v17
	v_subb_co_u32_e64 v18, s[0:1], 0, 0, vcc
	v_add_co_u32_e32 v17, vcc, v17, v15
	v_addc_co_u32_e32 v18, vcc, v18, v16, vcc
	v_cmp_gt_i64_e32 vcc, v[17:18], v[11:12]
	v_not_b32_e32 v15, v15
	v_cndmask_b32_e32 v18, v12, v18, vcc
	v_cndmask_b32_e32 v17, v11, v17, vcc
	v_sub_co_u32_e32 v19, vcc, s16, v0
	v_not_b32_e32 v16, v16
	v_subb_co_u32_e64 v20, s[0:1], 0, 0, vcc
	v_add_co_u32_e32 v15, vcc, v19, v15
	v_addc_co_u32_e32 v16, vcc, v20, v16, vcc
	v_add_co_u32_e32 v15, vcc, v15, v17
	v_addc_co_u32_e32 v16, vcc, v16, v18, vcc
	v_and_b32_e32 v17, 0x60, v15
	v_mov_b32_e32 v18, 0
	s_mov_b64 s[0:1], 0x60
	v_cmp_ne_u64_e32 vcc, s[0:1], v[17:18]
	v_mov_b32_e32 v32, 0
	v_mov_b32_e32 v30, 0
	;; [unrolled: 1-line block ×16, first 2 shown]
	s_and_saveexec_b64 s[0:1], vcc
	s_cbranch_execz .LBB173_29
; %bb.26:
	v_lshrrev_b32_e32 v17, 5, v15
	v_add_u32_e32 v17, 1, v17
	v_and_b32_e32 v19, 3, v17
	v_lshlrev_b64 v[17:18], 2, v[9:10]
	v_mov_b32_e32 v20, s13
	v_add_co_u32_e32 v17, vcc, s12, v17
	v_addc_co_u32_e32 v18, vcc, v20, v18, vcc
	v_sub_co_u32_e32 v19, vcc, 0, v19
	v_subb_co_u32_e64 v20, s[10:11], 0, 0, vcc
	v_mov_b32_e32 v34, 0
	v_mov_b32_e32 v28, 0
	;; [unrolled: 1-line block ×8, first 2 shown]
	s_mov_b64 s[8:9], 0
	v_mov_b32_e32 v35, 0
	s_movk_i32 s10, 0x1000
	v_mov_b32_e32 v29, 0
	v_mov_b32_e32 v37, 0
	;; [unrolled: 1-line block ×8, first 2 shown]
.LBB173_27:                             ; =>This Inner Loop Header: Depth=1
	global_load_dword v23, v[17:18], off
	global_load_dwordx4 v[40:43], v[13:14], off offset:48
	global_load_dwordx4 v[44:47], v[13:14], off offset:32
	;; [unrolled: 1-line block ×3, first 2 shown]
	global_load_dwordx4 v[52:55], v[13:14], off
	s_waitcnt vmcnt(4)
	v_subrev_u32_e32 v23, s16, v23
	v_lshlrev_b32_e32 v56, 2, v23
	v_ashrrev_i32_e32 v57, 31, v56
	v_lshlrev_b64 v[56:57], 4, v[56:57]
	s_waitcnt vmcnt(0)
	v_cvt_f64_f32_e32 v[72:73], v52
	v_add_co_u32_e32 v74, vcc, s6, v56
	v_addc_co_u32_e32 v75, vcc, v22, v57, vcc
	global_load_dwordx4 v[56:59], v[74:75], off offset:48
	global_load_dwordx4 v[60:63], v[74:75], off offset:32
	;; [unrolled: 1-line block ×3, first 2 shown]
	global_load_dwordx4 v[68:71], v[74:75], off
	v_cvt_f64_f32_e32 v[52:53], v53
	s_waitcnt vmcnt(0)
	v_fma_f64 v[28:29], v[72:73], v[68:69], v[28:29]
	v_fma_f64 v[34:35], v[52:53], v[68:69], v[34:35]
	v_fma_f64 v[28:29], -v[52:53], v[70:71], v[28:29]
	v_cvt_f64_f32_e32 v[52:53], v54
	v_cvt_f64_f32_e32 v[54:55], v55
	v_fma_f64 v[34:35], v[72:73], v[70:71], v[34:35]
	v_fma_f64 v[38:39], v[52:53], v[68:69], v[38:39]
	;; [unrolled: 1-line block ×3, first 2 shown]
	v_fma_f64 v[38:39], -v[54:55], v[70:71], v[38:39]
	v_fma_f64 v[36:37], v[52:53], v[70:71], v[36:37]
	v_cvt_f64_f32_e32 v[52:53], v48
	v_cvt_f64_f32_e32 v[48:49], v49
	v_fma_f64 v[26:27], v[52:53], v[68:69], v[26:27]
	v_fma_f64 v[23:24], v[48:49], v[68:69], v[24:25]
	v_fma_f64 v[26:27], -v[48:49], v[70:71], v[26:27]
	v_cvt_f64_f32_e32 v[48:49], v50
	v_cvt_f64_f32_e32 v[50:51], v51
	v_fma_f64 v[23:24], v[52:53], v[70:71], v[23:24]
	v_fma_f64 v[32:33], v[48:49], v[68:69], v[32:33]
	;; [unrolled: 1-line block ×3, first 2 shown]
	v_fma_f64 v[32:33], -v[50:51], v[70:71], v[32:33]
	v_fma_f64 v[30:31], v[48:49], v[70:71], v[30:31]
	v_cvt_f64_f32_e32 v[48:49], v44
	v_cvt_f64_f32_e32 v[44:45], v45
	v_fma_f64 v[28:29], v[48:49], v[64:65], v[28:29]
	v_fma_f64 v[34:35], v[44:45], v[64:65], v[34:35]
	v_fma_f64 v[28:29], -v[44:45], v[66:67], v[28:29]
	v_fma_f64 v[44:45], v[48:49], v[66:67], v[34:35]
	v_cvt_f64_f32_e32 v[34:35], v46
	v_cvt_f64_f32_e32 v[46:47], v47
	v_fma_f64 v[38:39], v[34:35], v[64:65], v[38:39]
	v_fma_f64 v[36:37], v[46:47], v[64:65], v[36:37]
	;; [unrolled: 6-line block ×3, first 2 shown]
	v_fma_f64 v[52:53], v[34:35], v[66:67], v[23:24]
	v_cvt_f64_f32_e32 v[23:24], v42
	v_fma_f64 v[50:51], -v[36:37], v[66:67], v[25:26]
	v_cvt_f64_f32_e32 v[25:26], v43
	v_fma_f64 v[32:33], v[23:24], v[64:65], v[32:33]
	v_fma_f64 v[42:43], -v[25:26], v[66:67], v[32:33]
	v_fma_f64 v[25:26], v[25:26], v[64:65], v[30:31]
	v_fma_f64 v[54:55], v[23:24], v[66:67], v[25:26]
	global_load_dwordx4 v[30:33], v[13:14], off offset:112
	global_load_dwordx4 v[23:26], v[13:14], off offset:96
	;; [unrolled: 1-line block ×4, first 2 shown]
	v_add_co_u32_e32 v13, vcc, s10, v13
	v_addc_co_u32_e32 v14, vcc, 0, v14, vcc
	v_add_co_u32_e32 v9, vcc, 32, v9
	v_addc_co_u32_e32 v10, vcc, 0, v10, vcc
	;; [unrolled: 2-line block ×4, first 2 shown]
	v_cmp_eq_u64_e32 vcc, 0, v[19:20]
	s_or_b64 s[8:9], vcc, s[8:9]
	s_waitcnt vmcnt(0)
	v_cvt_f64_f32_e32 v[64:65], v38
	v_cvt_f64_f32_e32 v[38:39], v39
	v_fma_f64 v[27:28], v[64:65], v[60:61], v[28:29]
	v_fma_f64 v[27:28], -v[38:39], v[62:63], v[27:28]
	v_fma_f64 v[38:39], v[38:39], v[60:61], v[44:45]
	v_cvt_f64_f32_e32 v[44:45], v40
	v_cvt_f64_f32_e32 v[40:41], v41
	v_fma_f64 v[48:49], v[44:45], v[60:61], v[48:49]
	v_fma_f64 v[38:39], v[64:65], v[62:63], v[38:39]
	v_fma_f64 v[48:49], -v[40:41], v[62:63], v[48:49]
	v_fma_f64 v[40:41], v[40:41], v[60:61], v[46:47]
	v_fma_f64 v[40:41], v[44:45], v[62:63], v[40:41]
	v_cvt_f64_f32_e32 v[44:45], v34
	v_cvt_f64_f32_e32 v[34:35], v35
	v_fma_f64 v[46:47], v[44:45], v[60:61], v[50:51]
	v_fma_f64 v[46:47], -v[34:35], v[62:63], v[46:47]
	v_fma_f64 v[34:35], v[34:35], v[60:61], v[52:53]
	v_fma_f64 v[44:45], v[44:45], v[62:63], v[34:35]
	v_cvt_f64_f32_e32 v[34:35], v36
	v_cvt_f64_f32_e32 v[36:37], v37
	;; [unrolled: 6-line block ×4, first 2 shown]
	v_fma_f64 v[36:37], v[23:24], v[56:57], v[48:49]
	v_fma_f64 v[38:39], -v[25:26], v[58:59], v[36:37]
	v_fma_f64 v[25:26], v[25:26], v[56:57], v[40:41]
	v_cvt_f64_f32_e32 v[40:41], v33
	v_fma_f64 v[36:37], v[23:24], v[58:59], v[25:26]
	v_cvt_f64_f32_e32 v[23:24], v30
	v_cvt_f64_f32_e32 v[30:31], v31
	v_fma_f64 v[25:26], v[23:24], v[56:57], v[46:47]
	v_fma_f64 v[26:27], -v[30:31], v[58:59], v[25:26]
	v_fma_f64 v[30:31], v[30:31], v[56:57], v[44:45]
	v_fma_f64 v[24:25], v[23:24], v[58:59], v[30:31]
	v_cvt_f64_f32_e32 v[30:31], v32
	v_fma_f64 v[32:33], v[30:31], v[56:57], v[42:43]
	v_fma_f64 v[32:33], -v[40:41], v[58:59], v[32:33]
	v_fma_f64 v[40:41], v[40:41], v[56:57], v[50:51]
	v_fma_f64 v[30:31], v[30:31], v[58:59], v[40:41]
	s_andn2_b64 exec, exec, s[8:9]
	s_cbranch_execnz .LBB173_27
; %bb.28:
	s_or_b64 exec, exec, s[8:9]
.LBB173_29:
	s_or_b64 exec, exec, s[0:1]
	s_mov_b64 s[0:1], 0x5f
	v_cmp_lt_u64_e32 vcc, s[0:1], v[15:16]
	s_and_saveexec_b64 s[8:9], vcc
	s_cbranch_execz .LBB173_33
; %bb.30:
	v_lshlrev_b64 v[15:16], 2, v[9:10]
	v_mov_b32_e32 v17, s13
	v_add_co_u32_e32 v15, vcc, s12, v15
	v_addc_co_u32_e32 v16, vcc, v17, v16, vcc
	v_add_co_u32_e32 v15, vcc, 0x100, v15
	v_addc_co_u32_e32 v16, vcc, 0, v16, vcc
	s_mov_b64 s[10:11], 0
	v_mov_b32_e32 v40, s7
	s_movk_i32 s7, 0x1000
	s_movk_i32 s12, 0x2000
	;; [unrolled: 1-line block ×3, first 2 shown]
.LBB173_31:                             ; =>This Inner Loop Header: Depth=1
	global_load_dword v17, v[15:16], off offset:-256
	s_waitcnt vmcnt(0)
	v_subrev_u32_e32 v17, s16, v17
	v_lshlrev_b32_e32 v22, 2, v17
	v_ashrrev_i32_e32 v23, 31, v22
	global_load_dwordx4 v[17:20], v[13:14], off offset:48
	global_load_dwordx4 v[41:44], v[13:14], off offset:32
	;; [unrolled: 1-line block ×3, first 2 shown]
	global_load_dwordx4 v[49:52], v[13:14], off
	v_lshlrev_b64 v[22:23], 4, v[22:23]
	v_add_co_u32_e32 v22, vcc, s6, v22
	v_addc_co_u32_e32 v23, vcc, v40, v23, vcc
	global_load_dwordx4 v[53:56], v[22:23], off offset:48
	global_load_dwordx4 v[57:60], v[22:23], off offset:32
	global_load_dwordx4 v[61:64], v[22:23], off offset:16
	global_load_dwordx4 v[65:68], v[22:23], off
	s_waitcnt vmcnt(4)
	v_cvt_f64_f32_e32 v[69:70], v49
	v_cvt_f64_f32_e32 v[49:50], v50
	s_waitcnt vmcnt(0)
	v_fma_f64 v[22:23], v[69:70], v[65:66], v[28:29]
	v_fma_f64 v[28:29], v[49:50], v[65:66], v[34:35]
	v_cvt_f64_f32_e32 v[34:35], v51
	v_fma_f64 v[38:39], v[34:35], v[65:66], v[38:39]
	v_fma_f64 v[22:23], -v[49:50], v[67:68], v[22:23]
	v_cvt_f64_f32_e32 v[49:50], v52
	v_fma_f64 v[28:29], v[69:70], v[67:68], v[28:29]
	v_add_co_u32_e32 v69, vcc, s7, v13
	v_fma_f64 v[36:37], v[49:50], v[65:66], v[36:37]
	v_fma_f64 v[38:39], -v[49:50], v[67:68], v[38:39]
	v_addc_co_u32_e32 v70, vcc, 0, v14, vcc
	v_fma_f64 v[34:35], v[34:35], v[67:68], v[36:37]
	v_cvt_f64_f32_e32 v[36:37], v45
	v_cvt_f64_f32_e32 v[45:46], v46
	v_fma_f64 v[26:27], v[36:37], v[65:66], v[26:27]
	v_fma_f64 v[24:25], v[45:46], v[65:66], v[24:25]
	v_fma_f64 v[26:27], -v[45:46], v[67:68], v[26:27]
	v_cvt_f64_f32_e32 v[45:46], v48
	v_fma_f64 v[24:25], v[36:37], v[67:68], v[24:25]
	v_cvt_f64_f32_e32 v[36:37], v47
	v_fma_f64 v[30:31], v[45:46], v[65:66], v[30:31]
	v_fma_f64 v[32:33], v[36:37], v[65:66], v[32:33]
	;; [unrolled: 1-line block ×3, first 2 shown]
	v_cvt_f64_f32_e32 v[36:37], v41
	v_cvt_f64_f32_e32 v[41:42], v42
	v_fma_f64 v[32:33], -v[45:46], v[67:68], v[32:33]
	v_fma_f64 v[22:23], v[36:37], v[61:62], v[22:23]
	v_fma_f64 v[45:46], -v[41:42], v[63:64], v[22:23]
	v_fma_f64 v[22:23], v[41:42], v[61:62], v[28:29]
	v_cvt_f64_f32_e32 v[28:29], v44
	v_fma_f64 v[36:37], v[36:37], v[63:64], v[22:23]
	v_cvt_f64_f32_e32 v[22:23], v43
	v_fma_f64 v[38:39], v[22:23], v[61:62], v[38:39]
	v_fma_f64 v[38:39], -v[28:29], v[63:64], v[38:39]
	v_fma_f64 v[28:29], v[28:29], v[61:62], v[34:35]
	v_fma_f64 v[34:35], v[22:23], v[63:64], v[28:29]
	v_cvt_f64_f32_e32 v[22:23], v17
	v_cvt_f64_f32_e32 v[17:18], v18
	v_fma_f64 v[26:27], v[22:23], v[61:62], v[26:27]
	v_fma_f64 v[41:42], -v[17:18], v[63:64], v[26:27]
	v_fma_f64 v[17:18], v[17:18], v[61:62], v[24:25]
	v_fma_f64 v[43:44], v[22:23], v[63:64], v[17:18]
	v_cvt_f64_f32_e32 v[17:18], v19
	v_cvt_f64_f32_e32 v[19:20], v20
	v_fma_f64 v[22:23], v[17:18], v[61:62], v[32:33]
	v_fma_f64 v[47:48], -v[19:20], v[63:64], v[22:23]
	v_fma_f64 v[19:20], v[19:20], v[61:62], v[30:31]
	v_fma_f64 v[49:50], v[17:18], v[63:64], v[19:20]
	global_load_dwordx4 v[17:20], v[13:14], off offset:112
	global_load_dwordx4 v[22:25], v[13:14], off offset:96
	;; [unrolled: 1-line block ×4, first 2 shown]
	s_waitcnt vmcnt(0)
	v_cvt_f64_f32_e32 v[51:52], v30
	v_cvt_f64_f32_e32 v[30:31], v31
	v_fma_f64 v[45:46], v[51:52], v[57:58], v[45:46]
	v_fma_f64 v[45:46], -v[30:31], v[59:60], v[45:46]
	v_fma_f64 v[30:31], v[30:31], v[57:58], v[36:37]
	v_cvt_f64_f32_e32 v[36:37], v32
	v_cvt_f64_f32_e32 v[32:33], v33
	v_fma_f64 v[38:39], v[36:37], v[57:58], v[38:39]
	v_fma_f64 v[30:31], v[51:52], v[59:60], v[30:31]
	v_fma_f64 v[38:39], -v[32:33], v[59:60], v[38:39]
	v_fma_f64 v[32:33], v[32:33], v[57:58], v[34:35]
	v_cvt_f64_f32_e32 v[34:35], v26
	v_cvt_f64_f32_e32 v[26:27], v27
	v_fma_f64 v[32:33], v[36:37], v[59:60], v[32:33]
	v_fma_f64 v[36:37], v[34:35], v[57:58], v[41:42]
	v_fma_f64 v[36:37], -v[26:27], v[59:60], v[36:37]
	v_fma_f64 v[26:27], v[26:27], v[57:58], v[43:44]
	v_fma_f64 v[26:27], v[34:35], v[59:60], v[26:27]
	v_cvt_f64_f32_e32 v[34:35], v28
	v_cvt_f64_f32_e32 v[28:29], v29
	v_fma_f64 v[41:42], v[34:35], v[57:58], v[47:48]
	v_fma_f64 v[41:42], -v[28:29], v[59:60], v[41:42]
	v_fma_f64 v[28:29], v[28:29], v[57:58], v[49:50]
	v_fma_f64 v[28:29], v[34:35], v[59:60], v[28:29]
	v_cvt_f64_f32_e32 v[34:35], v22
	v_cvt_f64_f32_e32 v[22:23], v23
	;; [unrolled: 6-line block ×5, first 2 shown]
	v_fma_f64 v[22:23], v[17:18], v[53:54], v[41:42]
	v_fma_f64 v[67:68], -v[19:20], v[55:56], v[22:23]
	v_fma_f64 v[19:20], v[19:20], v[53:54], v[28:29]
	v_fma_f64 v[19:20], v[17:18], v[55:56], v[19:20]
	global_load_dword v17, v[15:16], off offset:-128
	s_waitcnt vmcnt(0)
	v_subrev_u32_e32 v17, s16, v17
	v_lshlrev_b32_e32 v41, 2, v17
	v_ashrrev_i32_e32 v42, 31, v41
	v_add_co_u32_e32 v17, vcc, s12, v13
	v_lshlrev_b64 v[41:42], 4, v[41:42]
	v_addc_co_u32_e32 v18, vcc, 0, v14, vcc
	v_add_co_u32_e32 v73, vcc, s6, v41
	global_load_dwordx4 v[22:25], v[17:18], off offset:-4096
	global_load_dwordx4 v[26:29], v[69:70], off offset:48
	global_load_dwordx4 v[30:33], v[69:70], off offset:32
	;; [unrolled: 1-line block ×3, first 2 shown]
	v_addc_co_u32_e32 v74, vcc, v40, v42, vcc
	global_load_dwordx4 v[41:44], v[73:74], off offset:48
	global_load_dwordx4 v[45:48], v[73:74], off offset:32
	;; [unrolled: 1-line block ×3, first 2 shown]
	global_load_dwordx4 v[53:56], v[73:74], off
	s_waitcnt vmcnt(7)
	v_cvt_f64_f32_e32 v[71:72], v22
	v_cvt_f64_f32_e32 v[22:23], v23
	s_waitcnt vmcnt(0)
	v_fma_f64 v[57:58], v[71:72], v[53:54], v[57:58]
	v_fma_f64 v[57:58], -v[22:23], v[55:56], v[57:58]
	v_fma_f64 v[22:23], v[22:23], v[53:54], v[59:60]
	v_cvt_f64_f32_e32 v[59:60], v24
	v_cvt_f64_f32_e32 v[24:25], v25
	v_fma_f64 v[38:39], v[59:60], v[53:54], v[38:39]
	v_fma_f64 v[22:23], v[71:72], v[55:56], v[22:23]
	v_fma_f64 v[38:39], -v[24:25], v[55:56], v[38:39]
	v_fma_f64 v[24:25], v[24:25], v[53:54], v[61:62]
	v_fma_f64 v[24:25], v[59:60], v[55:56], v[24:25]
	v_cvt_f64_f32_e32 v[59:60], v34
	v_cvt_f64_f32_e32 v[34:35], v35
	v_fma_f64 v[61:62], v[59:60], v[53:54], v[63:64]
	v_fma_f64 v[61:62], -v[34:35], v[55:56], v[61:62]
	v_fma_f64 v[34:35], v[34:35], v[53:54], v[65:66]
	v_fma_f64 v[34:35], v[59:60], v[55:56], v[34:35]
	v_cvt_f64_f32_e32 v[59:60], v36
	v_cvt_f64_f32_e32 v[36:37], v37
	v_fma_f64 v[63:64], v[59:60], v[53:54], v[67:68]
	v_fma_f64 v[19:20], v[36:37], v[53:54], v[19:20]
	v_fma_f64 v[63:64], -v[36:37], v[55:56], v[63:64]
	v_cvt_f64_f32_e32 v[36:37], v30
	v_cvt_f64_f32_e32 v[30:31], v31
	v_fma_f64 v[19:20], v[59:60], v[55:56], v[19:20]
	v_fma_f64 v[53:54], v[36:37], v[49:50], v[57:58]
	;; [unrolled: 1-line block ×3, first 2 shown]
	v_fma_f64 v[53:54], -v[30:31], v[51:52], v[53:54]
	v_cvt_f64_f32_e32 v[30:31], v33
	v_fma_f64 v[55:56], v[36:37], v[51:52], v[22:23]
	v_cvt_f64_f32_e32 v[22:23], v32
	v_fma_f64 v[24:25], v[30:31], v[49:50], v[24:25]
	v_fma_f64 v[32:33], v[22:23], v[49:50], v[38:39]
	v_fma_f64 v[57:58], v[22:23], v[51:52], v[24:25]
	v_cvt_f64_f32_e32 v[22:23], v26
	v_cvt_f64_f32_e32 v[24:25], v27
	v_fma_f64 v[38:39], -v[30:31], v[51:52], v[32:33]
	v_fma_f64 v[26:27], v[22:23], v[49:50], v[61:62]
	v_fma_f64 v[59:60], -v[24:25], v[51:52], v[26:27]
	v_fma_f64 v[24:25], v[24:25], v[49:50], v[34:35]
	v_fma_f64 v[61:62], v[22:23], v[51:52], v[24:25]
	v_cvt_f64_f32_e32 v[22:23], v28
	v_cvt_f64_f32_e32 v[24:25], v29
	v_fma_f64 v[26:27], v[22:23], v[49:50], v[63:64]
	v_fma_f64 v[19:20], v[24:25], v[49:50], v[19:20]
	v_fma_f64 v[63:64], -v[24:25], v[51:52], v[26:27]
	v_fma_f64 v[19:20], v[22:23], v[51:52], v[19:20]
	global_load_dwordx4 v[22:25], v[69:70], off offset:112
	global_load_dwordx4 v[26:29], v[69:70], off offset:96
	;; [unrolled: 1-line block ×4, first 2 shown]
	s_waitcnt vmcnt(0)
	v_cvt_f64_f32_e32 v[49:50], v34
	v_cvt_f64_f32_e32 v[34:35], v35
	v_fma_f64 v[51:52], v[49:50], v[45:46], v[53:54]
	v_fma_f64 v[51:52], -v[34:35], v[47:48], v[51:52]
	v_fma_f64 v[34:35], v[34:35], v[45:46], v[55:56]
	v_fma_f64 v[34:35], v[49:50], v[47:48], v[34:35]
	v_cvt_f64_f32_e32 v[49:50], v36
	v_cvt_f64_f32_e32 v[36:37], v37
	v_fma_f64 v[38:39], v[49:50], v[45:46], v[38:39]
	v_fma_f64 v[38:39], -v[36:37], v[47:48], v[38:39]
	v_fma_f64 v[36:37], v[36:37], v[45:46], v[57:58]
	v_fma_f64 v[36:37], v[49:50], v[47:48], v[36:37]
	;; [unrolled: 6-line block ×3, first 2 shown]
	v_cvt_f64_f32_e32 v[49:50], v32
	v_cvt_f64_f32_e32 v[32:33], v33
	v_fma_f64 v[55:56], v[49:50], v[45:46], v[63:64]
	v_fma_f64 v[19:20], v[32:33], v[45:46], v[19:20]
	v_fma_f64 v[55:56], -v[32:33], v[47:48], v[55:56]
	v_cvt_f64_f32_e32 v[32:33], v26
	v_cvt_f64_f32_e32 v[26:27], v27
	v_fma_f64 v[19:20], v[49:50], v[47:48], v[19:20]
	v_fma_f64 v[45:46], v[32:33], v[41:42], v[51:52]
	v_fma_f64 v[57:58], -v[26:27], v[43:44], v[45:46]
	v_fma_f64 v[26:27], v[26:27], v[41:42], v[34:35]
	v_fma_f64 v[59:60], v[32:33], v[43:44], v[26:27]
	v_cvt_f64_f32_e32 v[26:27], v28
	v_cvt_f64_f32_e32 v[28:29], v29
	v_fma_f64 v[32:33], v[26:27], v[41:42], v[38:39]
	v_fma_f64 v[38:39], -v[28:29], v[43:44], v[32:33]
	v_fma_f64 v[28:29], v[28:29], v[41:42], v[36:37]
	v_fma_f64 v[61:62], v[26:27], v[43:44], v[28:29]
	v_cvt_f64_f32_e32 v[26:27], v22
	v_cvt_f64_f32_e32 v[22:23], v23
	;; [unrolled: 6-line block ×3, first 2 shown]
	v_fma_f64 v[26:27], v[22:23], v[41:42], v[55:56]
	v_fma_f64 v[19:20], v[24:25], v[41:42], v[19:20]
	v_fma_f64 v[67:68], -v[24:25], v[43:44], v[26:27]
	v_fma_f64 v[19:20], v[22:23], v[43:44], v[19:20]
	global_load_dword v22, v[15:16], off
	s_waitcnt vmcnt(0)
	v_subrev_u32_e32 v22, s16, v22
	v_lshlrev_b32_e32 v41, 2, v22
	v_ashrrev_i32_e32 v42, 31, v41
	v_lshlrev_b64 v[41:42], 4, v[41:42]
	global_load_dwordx4 v[22:25], v[17:18], off
	global_load_dwordx4 v[26:29], v[17:18], off offset:48
	global_load_dwordx4 v[30:33], v[17:18], off offset:32
	;; [unrolled: 1-line block ×3, first 2 shown]
	v_add_co_u32_e32 v71, vcc, s6, v41
	v_addc_co_u32_e32 v72, vcc, v40, v42, vcc
	global_load_dwordx4 v[41:44], v[71:72], off offset:48
	global_load_dwordx4 v[45:48], v[71:72], off offset:32
	;; [unrolled: 1-line block ×3, first 2 shown]
	global_load_dwordx4 v[53:56], v[71:72], off
	s_waitcnt vmcnt(7)
	v_cvt_f64_f32_e32 v[69:70], v22
	v_cvt_f64_f32_e32 v[22:23], v23
	s_waitcnt vmcnt(0)
	v_fma_f64 v[57:58], v[69:70], v[53:54], v[57:58]
	v_fma_f64 v[57:58], -v[22:23], v[55:56], v[57:58]
	v_fma_f64 v[22:23], v[22:23], v[53:54], v[59:60]
	v_cvt_f64_f32_e32 v[59:60], v24
	v_cvt_f64_f32_e32 v[24:25], v25
	v_fma_f64 v[38:39], v[59:60], v[53:54], v[38:39]
	v_fma_f64 v[22:23], v[69:70], v[55:56], v[22:23]
	v_add_co_u32_e32 v69, vcc, s13, v13
	v_addc_co_u32_e32 v70, vcc, 0, v14, vcc
	v_fma_f64 v[38:39], -v[24:25], v[55:56], v[38:39]
	v_fma_f64 v[24:25], v[24:25], v[53:54], v[61:62]
	v_fma_f64 v[24:25], v[59:60], v[55:56], v[24:25]
	v_cvt_f64_f32_e32 v[59:60], v34
	v_cvt_f64_f32_e32 v[34:35], v35
	v_fma_f64 v[61:62], v[59:60], v[53:54], v[63:64]
	v_fma_f64 v[61:62], -v[34:35], v[55:56], v[61:62]
	v_fma_f64 v[34:35], v[34:35], v[53:54], v[65:66]
	v_fma_f64 v[34:35], v[59:60], v[55:56], v[34:35]
	v_cvt_f64_f32_e32 v[59:60], v36
	v_cvt_f64_f32_e32 v[36:37], v37
	v_fma_f64 v[63:64], v[59:60], v[53:54], v[67:68]
	v_fma_f64 v[19:20], v[36:37], v[53:54], v[19:20]
	v_fma_f64 v[63:64], -v[36:37], v[55:56], v[63:64]
	v_cvt_f64_f32_e32 v[36:37], v30
	v_cvt_f64_f32_e32 v[30:31], v31
	v_fma_f64 v[19:20], v[59:60], v[55:56], v[19:20]
	v_fma_f64 v[53:54], v[36:37], v[49:50], v[57:58]
	;; [unrolled: 1-line block ×3, first 2 shown]
	v_fma_f64 v[53:54], -v[30:31], v[51:52], v[53:54]
	v_cvt_f64_f32_e32 v[30:31], v33
	v_fma_f64 v[55:56], v[36:37], v[51:52], v[22:23]
	v_cvt_f64_f32_e32 v[22:23], v32
	v_fma_f64 v[24:25], v[30:31], v[49:50], v[24:25]
	v_fma_f64 v[32:33], v[22:23], v[49:50], v[38:39]
	;; [unrolled: 1-line block ×3, first 2 shown]
	v_cvt_f64_f32_e32 v[22:23], v26
	v_cvt_f64_f32_e32 v[24:25], v27
	v_fma_f64 v[38:39], -v[30:31], v[51:52], v[32:33]
	v_fma_f64 v[26:27], v[22:23], v[49:50], v[61:62]
	v_fma_f64 v[59:60], -v[24:25], v[51:52], v[26:27]
	v_fma_f64 v[24:25], v[24:25], v[49:50], v[34:35]
	v_fma_f64 v[61:62], v[22:23], v[51:52], v[24:25]
	v_cvt_f64_f32_e32 v[22:23], v28
	v_cvt_f64_f32_e32 v[24:25], v29
	v_fma_f64 v[26:27], v[22:23], v[49:50], v[63:64]
	v_fma_f64 v[19:20], v[24:25], v[49:50], v[19:20]
	v_fma_f64 v[63:64], -v[24:25], v[51:52], v[26:27]
	v_fma_f64 v[19:20], v[22:23], v[51:52], v[19:20]
	global_load_dwordx4 v[34:37], v[17:18], off offset:112
	global_load_dwordx4 v[22:25], v[17:18], off offset:96
	;; [unrolled: 1-line block ×4, first 2 shown]
	s_waitcnt vmcnt(0)
	v_cvt_f64_f32_e32 v[17:18], v30
	v_cvt_f64_f32_e32 v[30:31], v31
	v_fma_f64 v[49:50], v[17:18], v[45:46], v[53:54]
	v_fma_f64 v[49:50], -v[30:31], v[47:48], v[49:50]
	v_fma_f64 v[30:31], v[30:31], v[45:46], v[55:56]
	v_fma_f64 v[17:18], v[17:18], v[47:48], v[30:31]
	v_cvt_f64_f32_e32 v[30:31], v32
	v_cvt_f64_f32_e32 v[32:33], v33
	v_fma_f64 v[38:39], v[30:31], v[45:46], v[38:39]
	v_fma_f64 v[38:39], -v[32:33], v[47:48], v[38:39]
	v_fma_f64 v[32:33], v[32:33], v[45:46], v[57:58]
	v_fma_f64 v[51:52], v[30:31], v[47:48], v[32:33]
	;; [unrolled: 6-line block ×3, first 2 shown]
	v_cvt_f64_f32_e32 v[26:27], v28
	v_cvt_f64_f32_e32 v[28:29], v29
	v_fma_f64 v[30:31], v[26:27], v[45:46], v[63:64]
	v_fma_f64 v[19:20], v[28:29], v[45:46], v[19:20]
	v_fma_f64 v[57:58], -v[28:29], v[47:48], v[30:31]
	v_fma_f64 v[19:20], v[26:27], v[47:48], v[19:20]
	v_cvt_f64_f32_e32 v[26:27], v22
	v_cvt_f64_f32_e32 v[22:23], v23
	v_fma_f64 v[28:29], v[26:27], v[41:42], v[49:50]
	v_fma_f64 v[17:18], v[22:23], v[41:42], v[17:18]
	v_fma_f64 v[30:31], -v[22:23], v[43:44], v[28:29]
	v_fma_f64 v[32:33], v[26:27], v[43:44], v[17:18]
	v_cvt_f64_f32_e32 v[17:18], v24
	v_cvt_f64_f32_e32 v[22:23], v25
	v_fma_f64 v[24:25], v[17:18], v[41:42], v[38:39]
	v_fma_f64 v[26:27], -v[22:23], v[43:44], v[24:25]
	v_fma_f64 v[22:23], v[22:23], v[41:42], v[51:52]
	v_cvt_f64_f32_e32 v[24:25], v35
	v_fma_f64 v[28:29], v[17:18], v[43:44], v[22:23]
	v_cvt_f64_f32_e32 v[17:18], v34
	v_cvt_f64_f32_e32 v[34:35], v36
	;; [unrolled: 1-line block ×3, first 2 shown]
	v_fma_f64 v[22:23], v[17:18], v[41:42], v[53:54]
	v_fma_f64 v[19:20], v[36:37], v[41:42], v[19:20]
	v_fma_f64 v[22:23], -v[24:25], v[43:44], v[22:23]
	v_fma_f64 v[24:25], v[24:25], v[41:42], v[55:56]
	v_fma_f64 v[19:20], v[34:35], v[43:44], v[19:20]
	;; [unrolled: 1-line block ×4, first 2 shown]
	global_load_dword v34, v[15:16], off offset:128
	v_fma_f64 v[17:18], -v[36:37], v[43:44], v[17:18]
	global_load_dwordx4 v[35:38], v[69:70], off
	global_load_dwordx4 v[41:44], v[69:70], off offset:48
	global_load_dwordx4 v[45:48], v[69:70], off offset:32
	;; [unrolled: 1-line block ×3, first 2 shown]
	s_waitcnt vmcnt(4)
	v_subrev_u32_e32 v34, s16, v34
	v_lshlrev_b32_e32 v34, 2, v34
	s_waitcnt vmcnt(3)
	v_cvt_f64_f32_e32 v[71:72], v35
	v_ashrrev_i32_e32 v35, 31, v34
	v_lshlrev_b64 v[34:35], 4, v[34:35]
	v_cvt_f64_f32_e32 v[73:74], v36
	v_add_co_u32_e32 v34, vcc, s6, v34
	v_addc_co_u32_e32 v35, vcc, v40, v35, vcc
	global_load_dwordx4 v[53:56], v[34:35], off offset:48
	global_load_dwordx4 v[57:60], v[34:35], off offset:32
	;; [unrolled: 1-line block ×3, first 2 shown]
	global_load_dwordx4 v[65:68], v[34:35], off
	v_cvt_f64_f32_e32 v[34:35], v37
	v_cvt_f64_f32_e32 v[36:37], v38
	v_add_co_u32_e32 v9, vcc, 0x80, v9
	v_addc_co_u32_e32 v10, vcc, 0, v10, vcc
	v_add_co_u32_e32 v15, vcc, 0x200, v15
	v_addc_co_u32_e32 v16, vcc, 0, v16, vcc
	v_cmp_ge_i64_e64 s[0:1], v[9:10], v[11:12]
	v_add_co_u32_e32 v13, vcc, 0x4000, v13
	v_addc_co_u32_e32 v14, vcc, 0, v14, vcc
	s_or_b64 s[10:11], s[0:1], s[10:11]
	s_waitcnt vmcnt(0)
	v_fma_f64 v[28:29], v[36:37], v[65:66], v[28:29]
	v_fma_f64 v[26:27], v[34:35], v[65:66], v[26:27]
	;; [unrolled: 1-line block ×5, first 2 shown]
	v_cvt_f64_f32_e32 v[34:35], v49
	v_fma_f64 v[26:27], -v[36:37], v[67:68], v[26:27]
	v_cvt_f64_f32_e32 v[36:37], v50
	v_fma_f64 v[30:31], -v[73:74], v[67:68], v[30:31]
	v_fma_f64 v[22:23], v[34:35], v[65:66], v[22:23]
	v_fma_f64 v[32:33], v[71:72], v[67:68], v[32:33]
	;; [unrolled: 1-line block ×3, first 2 shown]
	v_fma_f64 v[22:23], -v[36:37], v[67:68], v[22:23]
	v_cvt_f64_f32_e32 v[36:37], v52
	v_fma_f64 v[24:25], v[34:35], v[67:68], v[24:25]
	v_cvt_f64_f32_e32 v[34:35], v51
	v_fma_f64 v[19:20], v[36:37], v[65:66], v[19:20]
	v_fma_f64 v[17:18], v[34:35], v[65:66], v[17:18]
	;; [unrolled: 1-line block ×3, first 2 shown]
	v_cvt_f64_f32_e32 v[34:35], v45
	v_fma_f64 v[17:18], -v[36:37], v[67:68], v[17:18]
	v_cvt_f64_f32_e32 v[36:37], v46
	v_fma_f64 v[30:31], v[34:35], v[61:62], v[30:31]
	v_fma_f64 v[38:39], -v[36:37], v[63:64], v[30:31]
	v_fma_f64 v[30:31], v[36:37], v[61:62], v[32:33]
	v_cvt_f64_f32_e32 v[32:33], v48
	v_fma_f64 v[34:35], v[34:35], v[63:64], v[30:31]
	v_cvt_f64_f32_e32 v[30:31], v47
	v_fma_f64 v[26:27], v[30:31], v[61:62], v[26:27]
	v_fma_f64 v[36:37], -v[32:33], v[63:64], v[26:27]
	v_fma_f64 v[26:27], v[32:33], v[61:62], v[28:29]
	v_cvt_f64_f32_e32 v[28:29], v42
	v_fma_f64 v[45:46], v[30:31], v[63:64], v[26:27]
	;; [unrolled: 6-line block ×3, first 2 shown]
	v_cvt_f64_f32_e32 v[22:23], v43
	v_fma_f64 v[17:18], v[22:23], v[61:62], v[17:18]
	v_fma_f64 v[43:44], -v[24:25], v[63:64], v[17:18]
	v_fma_f64 v[17:18], v[24:25], v[61:62], v[19:20]
	v_fma_f64 v[49:50], v[22:23], v[63:64], v[17:18]
	global_load_dwordx4 v[17:20], v[69:70], off offset:112
	global_load_dwordx4 v[22:25], v[69:70], off offset:96
	;; [unrolled: 1-line block ×4, first 2 shown]
	s_waitcnt vmcnt(0)
	v_cvt_f64_f32_e32 v[51:52], v30
	v_cvt_f64_f32_e32 v[30:31], v31
	v_fma_f64 v[38:39], v[51:52], v[57:58], v[38:39]
	v_fma_f64 v[38:39], -v[30:31], v[59:60], v[38:39]
	v_fma_f64 v[30:31], v[30:31], v[57:58], v[34:35]
	v_cvt_f64_f32_e32 v[34:35], v32
	v_cvt_f64_f32_e32 v[32:33], v33
	v_fma_f64 v[36:37], v[34:35], v[57:58], v[36:37]
	v_fma_f64 v[30:31], v[51:52], v[59:60], v[30:31]
	v_fma_f64 v[36:37], -v[32:33], v[59:60], v[36:37]
	v_fma_f64 v[32:33], v[32:33], v[57:58], v[45:46]
	v_fma_f64 v[32:33], v[34:35], v[59:60], v[32:33]
	v_cvt_f64_f32_e32 v[34:35], v26
	v_cvt_f64_f32_e32 v[26:27], v27
	v_fma_f64 v[41:42], v[34:35], v[57:58], v[41:42]
	v_fma_f64 v[41:42], -v[26:27], v[59:60], v[41:42]
	v_fma_f64 v[26:27], v[26:27], v[57:58], v[47:48]
	v_fma_f64 v[45:46], v[34:35], v[59:60], v[26:27]
	v_cvt_f64_f32_e32 v[26:27], v28
	v_cvt_f64_f32_e32 v[28:29], v29
	;; [unrolled: 6-line block ×6, first 2 shown]
	v_fma_f64 v[22:23], v[17:18], v[53:54], v[43:44]
	v_fma_f64 v[32:33], -v[19:20], v[55:56], v[22:23]
	v_fma_f64 v[19:20], v[19:20], v[53:54], v[47:48]
	v_fma_f64 v[30:31], v[17:18], v[55:56], v[19:20]
	s_andn2_b64 exec, exec, s[10:11]
	s_cbranch_execnz .LBB173_31
; %bb.32:
	s_or_b64 exec, exec, s[10:11]
.LBB173_33:
	s_or_b64 exec, exec, s[8:9]
.LBB173_34:
	s_or_b64 exec, exec, s[2:3]
.LBB173_35:
	v_mov_b32_dpp v9, v28 row_shr:1 row_mask:0xf bank_mask:0xf
	v_mov_b32_dpp v10, v29 row_shr:1 row_mask:0xf bank_mask:0xf
	v_add_f64 v[9:10], v[28:29], v[9:10]
	v_mov_b32_dpp v11, v34 row_shr:1 row_mask:0xf bank_mask:0xf
	v_mov_b32_dpp v12, v35 row_shr:1 row_mask:0xf bank_mask:0xf
	v_add_f64 v[11:12], v[34:35], v[11:12]
	v_mov_b32_dpp v13, v38 row_shr:1 row_mask:0xf bank_mask:0xf
	v_cmp_eq_u32_e32 vcc, 31, v0
	v_mov_b32_dpp v14, v9 row_shr:2 row_mask:0xf bank_mask:0xf
	v_mov_b32_dpp v15, v10 row_shr:2 row_mask:0xf bank_mask:0xf
	v_add_f64 v[9:10], v[9:10], v[14:15]
	v_mov_b32_dpp v14, v39 row_shr:1 row_mask:0xf bank_mask:0xf
	v_mov_b32_dpp v16, v11 row_shr:2 row_mask:0xf bank_mask:0xf
	;; [unrolled: 1-line block ×4, first 2 shown]
	v_add_f64 v[13:14], v[38:39], v[13:14]
	v_add_f64 v[11:12], v[11:12], v[16:17]
	v_mov_b32_dpp v16, v37 row_shr:1 row_mask:0xf bank_mask:0xf
	v_add_f64 v[15:16], v[36:37], v[15:16]
	v_mov_b32_dpp v17, v9 row_shr:4 row_mask:0xf bank_mask:0xe
	v_mov_b32_dpp v18, v10 row_shr:4 row_mask:0xf bank_mask:0xe
	v_add_f64 v[9:10], v[9:10], v[17:18]
	v_mov_b32_dpp v17, v13 row_shr:2 row_mask:0xf bank_mask:0xf
	v_mov_b32_dpp v18, v14 row_shr:2 row_mask:0xf bank_mask:0xf
	;; [unrolled: 1-line block ×4, first 2 shown]
	v_add_f64 v[11:12], v[11:12], v[19:20]
	v_add_f64 v[13:14], v[13:14], v[17:18]
	v_mov_b32_dpp v18, v15 row_shr:2 row_mask:0xf bank_mask:0xf
	v_mov_b32_dpp v19, v16 row_shr:2 row_mask:0xf bank_mask:0xf
	v_add_f64 v[15:16], v[15:16], v[18:19]
	v_mov_b32_dpp v17, v9 row_shr:8 row_mask:0xf bank_mask:0xc
	v_mov_b32_dpp v18, v10 row_shr:8 row_mask:0xf bank_mask:0xc
	;; [unrolled: 3-line block ×3, first 2 shown]
	v_mov_b32_dpp v20, v14 row_shr:4 row_mask:0xf bank_mask:0xe
	v_add_f64 v[13:14], v[13:14], v[19:20]
	v_mov_b32_dpp v19, v15 row_shr:4 row_mask:0xf bank_mask:0xe
	v_mov_b32_dpp v20, v16 row_shr:4 row_mask:0xf bank_mask:0xe
	v_add_f64 v[15:16], v[15:16], v[19:20]
	v_mov_b32_dpp v19, v26 row_shr:1 row_mask:0xf bank_mask:0xf
	;; [unrolled: 3-line block ×3, first 2 shown]
	v_add_f64 v[11:12], v[11:12], v[17:18]
	v_mov_b32_dpp v17, v13 row_shr:8 row_mask:0xf bank_mask:0xc
	v_mov_b32_dpp v18, v14 row_shr:8 row_mask:0xf bank_mask:0xc
	v_add_f64 v[13:14], v[13:14], v[17:18]
	v_mov_b32_dpp v17, v15 row_shr:8 row_mask:0xf bank_mask:0xc
	v_mov_b32_dpp v18, v16 row_shr:8 row_mask:0xf bank_mask:0xc
	;; [unrolled: 3-line block ×3, first 2 shown]
	v_add_f64 v[28:29], v[19:20], v[17:18]
	v_mov_b32_dpp v26, v9 row_bcast:15 row_mask:0xa bank_mask:0xf
	v_mov_b32_dpp v27, v10 row_bcast:15 row_mask:0xa bank_mask:0xf
	;; [unrolled: 1-line block ×7, first 2 shown]
	v_mov_b32_dpp v34, v28 row_shr:4 row_mask:0xf bank_mask:0xe
	v_mov_b32_dpp v35, v29 row_shr:4 row_mask:0xf bank_mask:0xe
	v_add_f64 v[28:29], v[28:29], v[34:35]
	v_mov_b32_dpp v34, v24 row_shr:1 row_mask:0xf bank_mask:0xf
	v_mov_b32_dpp v35, v25 row_shr:1 row_mask:0xf bank_mask:0xf
	v_add_f64 v[24:25], v[24:25], v[34:35]
	;; [unrolled: 3-line block ×4, first 2 shown]
	v_mov_b32_dpp v34, v28 row_shr:8 row_mask:0xf bank_mask:0xc
	v_mov_b32_dpp v35, v24 row_shr:2 row_mask:0xf bank_mask:0xf
	v_mov_b32_dpp v36, v25 row_shr:2 row_mask:0xf bank_mask:0xf
	v_add_f64 v[24:25], v[24:25], v[35:36]
	v_mov_b32_dpp v35, v32 row_shr:2 row_mask:0xf bank_mask:0xf
	v_mov_b32_dpp v36, v33 row_shr:2 row_mask:0xf bank_mask:0xf
	v_add_f64 v[32:33], v[32:33], v[35:36]
	v_mov_b32_dpp v35, v30 row_shr:2 row_mask:0xf bank_mask:0xf
	v_mov_b32_dpp v36, v31 row_shr:2 row_mask:0xf bank_mask:0xf
	;; [unrolled: 3-line block ×3, first 2 shown]
	v_mov_b32_dpp v37, v25 row_shr:4 row_mask:0xf bank_mask:0xe
	v_add_f64 v[36:37], v[24:25], v[36:37]
	v_mov_b32_dpp v24, v32 row_shr:4 row_mask:0xf bank_mask:0xe
	v_mov_b32_dpp v25, v33 row_shr:4 row_mask:0xf bank_mask:0xe
	v_add_f64 v[32:33], v[32:33], v[24:25]
	v_mov_b32_dpp v24, v30 row_shr:4 row_mask:0xf bank_mask:0xe
	v_mov_b32_dpp v25, v31 row_shr:4 row_mask:0xf bank_mask:0xe
	v_add_f64 v[38:39], v[30:31], v[24:25]
	v_add_f64 v[24:25], v[28:29], v[34:35]
	v_mov_b32_dpp v28, v36 row_shr:8 row_mask:0xf bank_mask:0xc
	v_mov_b32_dpp v29, v37 row_shr:8 row_mask:0xf bank_mask:0xc
	v_add_f64 v[28:29], v[36:37], v[28:29]
	v_mov_b32_dpp v30, v32 row_shr:8 row_mask:0xf bank_mask:0xc
	v_mov_b32_dpp v31, v33 row_shr:8 row_mask:0xf bank_mask:0xc
	;; [unrolled: 3-line block ×3, first 2 shown]
	v_add_f64 v[32:33], v[38:39], v[32:33]
	v_mov_b32_dpp v18, v16 row_bcast:15 row_mask:0xa bank_mask:0xf
	v_mov_b32_dpp v40, v24 row_bcast:15 row_mask:0xa bank_mask:0xf
	;; [unrolled: 1-line block ×9, first 2 shown]
	s_and_b64 exec, exec, vcc
	s_cbranch_execz .LBB173_8
; %bb.36:
	v_add_f64 v[11:12], v[11:12], v[22:23]
	v_add_f64 v[22:23], v[13:14], v[19:20]
	;; [unrolled: 1-line block ×8, first 2 shown]
	v_mul_f64 v[19:20], v[11:12], -v[7:8]
	v_mul_f64 v[11:12], v[5:6], v[11:12]
	v_mul_f64 v[28:29], v[13:14], -v[7:8]
	v_mul_f64 v[30:31], v[5:6], v[13:14]
	;; [unrolled: 2-line block ×4, first 2 shown]
	v_cmp_eq_f64_e32 vcc, 0, v[1:2]
	v_cmp_eq_f64_e64 s[0:1], 0, v[3:4]
	v_fma_f64 v[17:18], v[5:6], v[9:10], v[19:20]
	v_fma_f64 v[19:20], v[7:8], v[9:10], v[11:12]
	;; [unrolled: 1-line block ×8, first 2 shown]
	s_load_dwordx2 s[2:3], s[4:5], 0x60
	s_and_b64 s[0:1], vcc, s[0:1]
	v_lshlrev_b32_e32 v21, 2, v21
	s_and_saveexec_b64 s[4:5], s[0:1]
	s_xor_b64 s[0:1], exec, s[4:5]
	s_cbranch_execz .LBB173_38
; %bb.37:
	v_ashrrev_i32_e32 v22, 31, v21
	v_lshlrev_b64 v[0:1], 4, v[21:22]
	s_waitcnt lgkmcnt(0)
	v_mov_b32_e32 v2, s3
	v_add_co_u32_e32 v0, vcc, s2, v0
	v_addc_co_u32_e32 v1, vcc, v2, v1, vcc
	global_store_dwordx4 v[0:1], v[17:20], off
	global_store_dwordx4 v[0:1], v[13:16], off offset:16
	global_store_dwordx4 v[0:1], v[9:12], off offset:32
	;; [unrolled: 1-line block ×3, first 2 shown]
                                        ; implicit-def: $vgpr3_vgpr4
                                        ; implicit-def: $vgpr17_vgpr18
                                        ; implicit-def: $vgpr21
                                        ; implicit-def: $vgpr13_vgpr14
                                        ; implicit-def: $vgpr9_vgpr10
                                        ; implicit-def: $vgpr5_vgpr6
.LBB173_38:
	s_andn2_saveexec_b64 s[0:1], s[0:1]
	s_cbranch_execz .LBB173_8
; %bb.39:
	v_ashrrev_i32_e32 v22, 31, v21
	v_lshlrev_b64 v[21:22], 4, v[21:22]
	s_waitcnt lgkmcnt(0)
	v_mov_b32_e32 v0, s3
	v_add_co_u32_e32 v37, vcc, s2, v21
	v_addc_co_u32_e32 v38, vcc, v0, v22, vcc
	global_load_dwordx4 v[21:24], v[37:38], off
	global_load_dwordx4 v[25:28], v[37:38], off offset:16
	global_load_dwordx4 v[29:32], v[37:38], off offset:32
	;; [unrolled: 1-line block ×3, first 2 shown]
	s_waitcnt vmcnt(3)
	v_fma_f64 v[17:18], v[1:2], v[21:22], v[17:18]
	v_fma_f64 v[19:20], v[3:4], v[21:22], v[19:20]
	s_waitcnt vmcnt(2)
	v_fma_f64 v[13:14], v[1:2], v[25:26], v[13:14]
	v_fma_f64 v[15:16], v[3:4], v[25:26], v[15:16]
	;; [unrolled: 3-line block ×4, first 2 shown]
	v_fma_f64 v[5:6], -v[3:4], v[23:24], v[17:18]
	v_fma_f64 v[7:8], v[1:2], v[23:24], v[19:20]
	v_fma_f64 v[9:10], -v[3:4], v[27:28], v[13:14]
	v_fma_f64 v[11:12], v[1:2], v[27:28], v[15:16]
	;; [unrolled: 2-line block ×4, first 2 shown]
	global_store_dwordx4 v[37:38], v[5:8], off
	global_store_dwordx4 v[37:38], v[9:12], off offset:16
	global_store_dwordx4 v[37:38], v[13:16], off offset:32
	;; [unrolled: 1-line block ×3, first 2 shown]
	s_endpgm
	.section	.rodata,"a",@progbits
	.p2align	6, 0x0
	.amdhsa_kernel _ZN9rocsparseL18bsrxmvn_4x4_kernelILj128ELj32E21rocsparse_complex_numIdEliS1_IfES2_S2_EEvT3_20rocsparse_direction_NS_24const_host_device_scalarIT1_EES4_PKS4_PKT2_SD_SA_PKT4_PKT5_S8_PT6_21rocsparse_index_base_b
		.amdhsa_group_segment_fixed_size 0
		.amdhsa_private_segment_fixed_size 0
		.amdhsa_kernarg_size 112
		.amdhsa_user_sgpr_count 6
		.amdhsa_user_sgpr_private_segment_buffer 1
		.amdhsa_user_sgpr_dispatch_ptr 0
		.amdhsa_user_sgpr_queue_ptr 0
		.amdhsa_user_sgpr_kernarg_segment_ptr 1
		.amdhsa_user_sgpr_dispatch_id 0
		.amdhsa_user_sgpr_flat_scratch_init 0
		.amdhsa_user_sgpr_private_segment_size 0
		.amdhsa_uses_dynamic_stack 0
		.amdhsa_system_sgpr_private_segment_wavefront_offset 0
		.amdhsa_system_sgpr_workgroup_id_x 1
		.amdhsa_system_sgpr_workgroup_id_y 0
		.amdhsa_system_sgpr_workgroup_id_z 0
		.amdhsa_system_sgpr_workgroup_info 0
		.amdhsa_system_vgpr_workitem_id 0
		.amdhsa_next_free_vgpr 87
		.amdhsa_next_free_sgpr 20
		.amdhsa_reserve_vcc 1
		.amdhsa_reserve_flat_scratch 0
		.amdhsa_float_round_mode_32 0
		.amdhsa_float_round_mode_16_64 0
		.amdhsa_float_denorm_mode_32 3
		.amdhsa_float_denorm_mode_16_64 3
		.amdhsa_dx10_clamp 1
		.amdhsa_ieee_mode 1
		.amdhsa_fp16_overflow 0
		.amdhsa_exception_fp_ieee_invalid_op 0
		.amdhsa_exception_fp_denorm_src 0
		.amdhsa_exception_fp_ieee_div_zero 0
		.amdhsa_exception_fp_ieee_overflow 0
		.amdhsa_exception_fp_ieee_underflow 0
		.amdhsa_exception_fp_ieee_inexact 0
		.amdhsa_exception_int_div_zero 0
	.end_amdhsa_kernel
	.section	.text._ZN9rocsparseL18bsrxmvn_4x4_kernelILj128ELj32E21rocsparse_complex_numIdEliS1_IfES2_S2_EEvT3_20rocsparse_direction_NS_24const_host_device_scalarIT1_EES4_PKS4_PKT2_SD_SA_PKT4_PKT5_S8_PT6_21rocsparse_index_base_b,"axG",@progbits,_ZN9rocsparseL18bsrxmvn_4x4_kernelILj128ELj32E21rocsparse_complex_numIdEliS1_IfES2_S2_EEvT3_20rocsparse_direction_NS_24const_host_device_scalarIT1_EES4_PKS4_PKT2_SD_SA_PKT4_PKT5_S8_PT6_21rocsparse_index_base_b,comdat
.Lfunc_end173:
	.size	_ZN9rocsparseL18bsrxmvn_4x4_kernelILj128ELj32E21rocsparse_complex_numIdEliS1_IfES2_S2_EEvT3_20rocsparse_direction_NS_24const_host_device_scalarIT1_EES4_PKS4_PKT2_SD_SA_PKT4_PKT5_S8_PT6_21rocsparse_index_base_b, .Lfunc_end173-_ZN9rocsparseL18bsrxmvn_4x4_kernelILj128ELj32E21rocsparse_complex_numIdEliS1_IfES2_S2_EEvT3_20rocsparse_direction_NS_24const_host_device_scalarIT1_EES4_PKS4_PKT2_SD_SA_PKT4_PKT5_S8_PT6_21rocsparse_index_base_b
                                        ; -- End function
	.set _ZN9rocsparseL18bsrxmvn_4x4_kernelILj128ELj32E21rocsparse_complex_numIdEliS1_IfES2_S2_EEvT3_20rocsparse_direction_NS_24const_host_device_scalarIT1_EES4_PKS4_PKT2_SD_SA_PKT4_PKT5_S8_PT6_21rocsparse_index_base_b.num_vgpr, 87
	.set _ZN9rocsparseL18bsrxmvn_4x4_kernelILj128ELj32E21rocsparse_complex_numIdEliS1_IfES2_S2_EEvT3_20rocsparse_direction_NS_24const_host_device_scalarIT1_EES4_PKS4_PKT2_SD_SA_PKT4_PKT5_S8_PT6_21rocsparse_index_base_b.num_agpr, 0
	.set _ZN9rocsparseL18bsrxmvn_4x4_kernelILj128ELj32E21rocsparse_complex_numIdEliS1_IfES2_S2_EEvT3_20rocsparse_direction_NS_24const_host_device_scalarIT1_EES4_PKS4_PKT2_SD_SA_PKT4_PKT5_S8_PT6_21rocsparse_index_base_b.numbered_sgpr, 20
	.set _ZN9rocsparseL18bsrxmvn_4x4_kernelILj128ELj32E21rocsparse_complex_numIdEliS1_IfES2_S2_EEvT3_20rocsparse_direction_NS_24const_host_device_scalarIT1_EES4_PKS4_PKT2_SD_SA_PKT4_PKT5_S8_PT6_21rocsparse_index_base_b.num_named_barrier, 0
	.set _ZN9rocsparseL18bsrxmvn_4x4_kernelILj128ELj32E21rocsparse_complex_numIdEliS1_IfES2_S2_EEvT3_20rocsparse_direction_NS_24const_host_device_scalarIT1_EES4_PKS4_PKT2_SD_SA_PKT4_PKT5_S8_PT6_21rocsparse_index_base_b.private_seg_size, 0
	.set _ZN9rocsparseL18bsrxmvn_4x4_kernelILj128ELj32E21rocsparse_complex_numIdEliS1_IfES2_S2_EEvT3_20rocsparse_direction_NS_24const_host_device_scalarIT1_EES4_PKS4_PKT2_SD_SA_PKT4_PKT5_S8_PT6_21rocsparse_index_base_b.uses_vcc, 1
	.set _ZN9rocsparseL18bsrxmvn_4x4_kernelILj128ELj32E21rocsparse_complex_numIdEliS1_IfES2_S2_EEvT3_20rocsparse_direction_NS_24const_host_device_scalarIT1_EES4_PKS4_PKT2_SD_SA_PKT4_PKT5_S8_PT6_21rocsparse_index_base_b.uses_flat_scratch, 0
	.set _ZN9rocsparseL18bsrxmvn_4x4_kernelILj128ELj32E21rocsparse_complex_numIdEliS1_IfES2_S2_EEvT3_20rocsparse_direction_NS_24const_host_device_scalarIT1_EES4_PKS4_PKT2_SD_SA_PKT4_PKT5_S8_PT6_21rocsparse_index_base_b.has_dyn_sized_stack, 0
	.set _ZN9rocsparseL18bsrxmvn_4x4_kernelILj128ELj32E21rocsparse_complex_numIdEliS1_IfES2_S2_EEvT3_20rocsparse_direction_NS_24const_host_device_scalarIT1_EES4_PKS4_PKT2_SD_SA_PKT4_PKT5_S8_PT6_21rocsparse_index_base_b.has_recursion, 0
	.set _ZN9rocsparseL18bsrxmvn_4x4_kernelILj128ELj32E21rocsparse_complex_numIdEliS1_IfES2_S2_EEvT3_20rocsparse_direction_NS_24const_host_device_scalarIT1_EES4_PKS4_PKT2_SD_SA_PKT4_PKT5_S8_PT6_21rocsparse_index_base_b.has_indirect_call, 0
	.section	.AMDGPU.csdata,"",@progbits
; Kernel info:
; codeLenInByte = 11092
; TotalNumSgprs: 24
; NumVgprs: 87
; ScratchSize: 0
; MemoryBound: 0
; FloatMode: 240
; IeeeMode: 1
; LDSByteSize: 0 bytes/workgroup (compile time only)
; SGPRBlocks: 2
; VGPRBlocks: 21
; NumSGPRsForWavesPerEU: 24
; NumVGPRsForWavesPerEU: 87
; Occupancy: 2
; WaveLimiterHint : 1
; COMPUTE_PGM_RSRC2:SCRATCH_EN: 0
; COMPUTE_PGM_RSRC2:USER_SGPR: 6
; COMPUTE_PGM_RSRC2:TRAP_HANDLER: 0
; COMPUTE_PGM_RSRC2:TGID_X_EN: 1
; COMPUTE_PGM_RSRC2:TGID_Y_EN: 0
; COMPUTE_PGM_RSRC2:TGID_Z_EN: 0
; COMPUTE_PGM_RSRC2:TIDIG_COMP_CNT: 0
	.section	.text._ZN9rocsparseL18bsrxmvn_4x4_kernelILj128ELj64E21rocsparse_complex_numIdEliS1_IfES2_S2_EEvT3_20rocsparse_direction_NS_24const_host_device_scalarIT1_EES4_PKS4_PKT2_SD_SA_PKT4_PKT5_S8_PT6_21rocsparse_index_base_b,"axG",@progbits,_ZN9rocsparseL18bsrxmvn_4x4_kernelILj128ELj64E21rocsparse_complex_numIdEliS1_IfES2_S2_EEvT3_20rocsparse_direction_NS_24const_host_device_scalarIT1_EES4_PKS4_PKT2_SD_SA_PKT4_PKT5_S8_PT6_21rocsparse_index_base_b,comdat
	.globl	_ZN9rocsparseL18bsrxmvn_4x4_kernelILj128ELj64E21rocsparse_complex_numIdEliS1_IfES2_S2_EEvT3_20rocsparse_direction_NS_24const_host_device_scalarIT1_EES4_PKS4_PKT2_SD_SA_PKT4_PKT5_S8_PT6_21rocsparse_index_base_b ; -- Begin function _ZN9rocsparseL18bsrxmvn_4x4_kernelILj128ELj64E21rocsparse_complex_numIdEliS1_IfES2_S2_EEvT3_20rocsparse_direction_NS_24const_host_device_scalarIT1_EES4_PKS4_PKT2_SD_SA_PKT4_PKT5_S8_PT6_21rocsparse_index_base_b
	.p2align	8
	.type	_ZN9rocsparseL18bsrxmvn_4x4_kernelILj128ELj64E21rocsparse_complex_numIdEliS1_IfES2_S2_EEvT3_20rocsparse_direction_NS_24const_host_device_scalarIT1_EES4_PKS4_PKT2_SD_SA_PKT4_PKT5_S8_PT6_21rocsparse_index_base_b,@function
_ZN9rocsparseL18bsrxmvn_4x4_kernelILj128ELj64E21rocsparse_complex_numIdEliS1_IfES2_S2_EEvT3_20rocsparse_direction_NS_24const_host_device_scalarIT1_EES4_PKS4_PKT2_SD_SA_PKT4_PKT5_S8_PT6_21rocsparse_index_base_b: ; @_ZN9rocsparseL18bsrxmvn_4x4_kernelILj128ELj64E21rocsparse_complex_numIdEliS1_IfES2_S2_EEvT3_20rocsparse_direction_NS_24const_host_device_scalarIT1_EES4_PKS4_PKT2_SD_SA_PKT4_PKT5_S8_PT6_21rocsparse_index_base_b
; %bb.0:
	s_load_dwordx2 s[0:1], s[4:5], 0x8
	s_load_dwordx2 s[16:17], s[4:5], 0x68
	s_add_u32 s7, s4, 8
	s_addc_u32 s8, s5, 0
	s_add_u32 s9, s4, 0x50
	s_addc_u32 s10, s5, 0
	s_waitcnt lgkmcnt(0)
	s_bitcmp1_b32 s17, 0
	s_cselect_b32 s1, s8, s1
	s_cselect_b32 s0, s7, s0
	v_mov_b32_e32 v1, s0
	v_mov_b32_e32 v2, s1
	flat_load_dwordx4 v[5:8], v[1:2]
	s_load_dwordx2 s[2:3], s[4:5], 0x50
	s_waitcnt lgkmcnt(0)
	s_cselect_b32 s0, s10, s3
	s_cselect_b32 s1, s9, s2
	v_mov_b32_e32 v1, s1
	v_mov_b32_e32 v2, s0
	flat_load_dwordx4 v[1:4], v[1:2]
	s_waitcnt vmcnt(0)
	v_cmp_eq_f64_e32 vcc, 0, v[5:6]
	v_cmp_eq_f64_e64 s[0:1], 0, v[7:8]
	s_and_b64 s[8:9], vcc, s[0:1]
	s_mov_b64 s[0:1], -1
	s_and_saveexec_b64 s[2:3], s[8:9]
	s_cbranch_execz .LBB174_2
; %bb.1:
	s_waitcnt lgkmcnt(0)
	v_cmp_neq_f64_e32 vcc, 1.0, v[1:2]
	v_cmp_neq_f64_e64 s[0:1], 0, v[3:4]
	s_or_b64 s[0:1], vcc, s[0:1]
	s_orn2_b64 s[0:1], s[0:1], exec
.LBB174_2:
	s_or_b64 exec, exec, s[2:3]
	s_and_saveexec_b64 s[2:3], s[0:1]
	s_cbranch_execz .LBB174_8
; %bb.3:
	s_load_dwordx2 s[8:9], s[4:5], 0x20
	s_load_dwordx2 s[0:1], s[4:5], 0x0
	v_lshrrev_b32_e32 v9, 6, v0
	v_lshl_or_b32 v21, s6, 1, v9
	s_mov_b64 s[2:3], 0
	s_waitcnt lgkmcnt(0)
	s_cmp_lg_u64 s[8:9], 0
	s_cbranch_scc0 .LBB174_9
; %bb.4:
	s_load_dword s6, s[4:5], 0x18
                                        ; implicit-def: $vgpr9
	s_waitcnt lgkmcnt(0)
	v_cmp_gt_i32_e32 vcc, s6, v21
	s_and_saveexec_b64 s[6:7], vcc
	s_xor_b64 s[6:7], exec, s[6:7]
	s_cbranch_execz .LBB174_6
; %bb.5:
	v_ashrrev_i32_e32 v22, 31, v21
	v_lshlrev_b64 v[9:10], 2, v[21:22]
	v_mov_b32_e32 v11, s9
	v_add_co_u32_e32 v9, vcc, s8, v9
	v_addc_co_u32_e32 v10, vcc, v11, v10, vcc
	global_load_dword v9, v[9:10], off
	s_mov_b64 s[2:3], exec
	s_waitcnt vmcnt(0)
	v_subrev_u32_e32 v9, s16, v9
.LBB174_6:
	s_or_b64 exec, exec, s[6:7]
	s_branch .LBB174_10
.LBB174_7:
	v_cmp_gt_i32_e32 vcc, s0, v21
	s_andn2_b64 s[2:3], s[2:3], exec
	s_and_b64 s[6:7], vcc, exec
	s_or_b64 s[2:3], s[2:3], s[6:7]
	s_and_b64 exec, exec, s[2:3]
	s_cbranch_execnz .LBB174_11
.LBB174_8:
	s_endpgm
.LBB174_9:
                                        ; implicit-def: $vgpr9
	s_cbranch_execnz .LBB174_7
.LBB174_10:
	v_mov_b32_e32 v21, v9
	s_and_b64 exec, exec, s[2:3]
	s_cbranch_execz .LBB174_8
.LBB174_11:
	s_load_dwordx8 s[8:15], s[4:5], 0x28
	v_ashrrev_i32_e32 v22, 31, v21
	v_lshlrev_b64 v[9:10], 3, v[21:22]
	v_and_b32_e32 v0, 63, v0
	s_load_dwordx2 s[6:7], s[4:5], 0x48
	s_waitcnt lgkmcnt(0)
	v_mov_b32_e32 v12, s9
	v_add_co_u32_e32 v11, vcc, s8, v9
	v_addc_co_u32_e32 v12, vcc, v12, v10, vcc
	global_load_dwordx2 v[15:16], v[11:12], off
	v_add_co_u32_e32 v11, vcc, 8, v11
	v_addc_co_u32_e32 v12, vcc, 0, v12, vcc
	v_mov_b32_e32 v13, s11
	v_add_co_u32_e32 v9, vcc, s10, v9
	s_cmp_eq_u64 s[10:11], 0
	v_addc_co_u32_e32 v10, vcc, v13, v10, vcc
	s_cselect_b64 vcc, -1, 0
	v_cndmask_b32_e32 v10, v10, v12, vcc
	v_cndmask_b32_e32 v9, v9, v11, vcc
	global_load_dwordx2 v[11:12], v[9:10], off
	v_mov_b32_e32 v17, s15
	s_cmp_eq_u32 s1, 1
	s_waitcnt vmcnt(1)
	v_subrev_co_u32_e32 v9, vcc, s16, v15
	v_subbrev_co_u32_e32 v10, vcc, 0, v16, vcc
	v_add_co_u32_e32 v9, vcc, v9, v0
	v_addc_co_u32_e32 v10, vcc, 0, v10, vcc
	v_lshlrev_b64 v[13:14], 7, v[9:10]
	s_waitcnt vmcnt(0)
	v_subrev_co_u32_e32 v11, vcc, s16, v11
	v_subbrev_co_u32_e32 v12, vcc, 0, v12, vcc
	v_cmp_lt_i64_e64 s[0:1], v[9:10], v[11:12]
	v_add_co_u32_e32 v13, vcc, s14, v13
	v_addc_co_u32_e32 v14, vcc, v17, v14, vcc
	s_cbranch_scc1 .LBB174_23
; %bb.12:
	v_mov_b32_e32 v34, 0
	v_mov_b32_e32 v32, 0
	;; [unrolled: 1-line block ×16, first 2 shown]
	s_and_saveexec_b64 s[8:9], s[0:1]
	s_cbranch_execz .LBB174_22
; %bb.13:
	v_or_b32_e32 v17, 64, v0
	v_subrev_co_u32_e32 v17, vcc, s16, v17
	v_subb_co_u32_e64 v18, s[2:3], 0, 0, vcc
	v_add_co_u32_e32 v17, vcc, v17, v15
	v_addc_co_u32_e32 v18, vcc, v18, v16, vcc
	v_cmp_gt_i64_e32 vcc, v[17:18], v[11:12]
	v_not_b32_e32 v20, v15
	v_cndmask_b32_e32 v18, v12, v18, vcc
	v_cndmask_b32_e32 v17, v11, v17, vcc
	v_sub_co_u32_e32 v22, vcc, s16, v0
	v_not_b32_e32 v19, v16
	v_subb_co_u32_e64 v23, s[2:3], 0, 0, vcc
	v_add_co_u32_e32 v20, vcc, v22, v20
	v_addc_co_u32_e32 v19, vcc, v23, v19, vcc
	v_add_co_u32_e32 v22, vcc, v20, v17
	v_addc_co_u32_e32 v23, vcc, v19, v18, vcc
	v_and_b32_e32 v17, 0xc0, v22
	v_mov_b32_e32 v18, 0
	s_mov_b64 s[2:3], 0xc0
	v_cmp_ne_u64_e32 vcc, s[2:3], v[17:18]
	v_mov_b32_e32 v28, 0
	v_mov_b32_e32 v26, 0
	;; [unrolled: 1-line block ×20, first 2 shown]
	s_and_saveexec_b64 s[10:11], vcc
	s_cbranch_execz .LBB174_17
; %bb.14:
	v_lshrrev_b32_e32 v17, 6, v22
	v_add_u32_e32 v17, 1, v17
	v_and_b32_e32 v19, 3, v17
	v_lshlrev_b64 v[17:18], 2, v[9:10]
	v_mov_b32_e32 v20, s13
	v_add_co_u32_e32 v40, vcc, s12, v17
	v_addc_co_u32_e32 v41, vcc, v20, v18, vcc
	v_sub_co_u32_e32 v42, vcc, 0, v19
	v_mov_b32_e32 v34, 0
	v_mov_b32_e32 v18, v10
	;; [unrolled: 1-line block ×10, first 2 shown]
	s_mov_b64 s[14:15], 0
	v_subb_co_u32_e64 v43, s[2:3], 0, 0, vcc
	v_mov_b32_e32 v35, 0
	s_movk_i32 s17, 0x2000
	v_mov_b32_e32 v44, s7
	v_mov_b32_e32 v17, v9
	;; [unrolled: 1-line block ×10, first 2 shown]
.LBB174_15:                             ; =>This Inner Loop Header: Depth=1
	global_load_dword v53, v[40:41], off
	global_load_dwordx4 v[45:48], v[19:20], off
	global_load_dwordx4 v[49:52], v[19:20], off offset:32
	v_add_co_u32_e64 v17, s[2:3], 64, v17
	v_addc_co_u32_e64 v18, s[2:3], 0, v18, s[2:3]
	v_add_co_u32_e64 v42, s[2:3], 1, v42
	v_addc_co_u32_e64 v43, s[2:3], 0, v43, s[2:3]
	v_cmp_eq_u64_e64 s[2:3], 0, v[42:43]
	s_or_b64 s[14:15], s[2:3], s[14:15]
	s_waitcnt vmcnt(2)
	v_subrev_u32_e32 v53, s16, v53
	v_lshlrev_b32_e32 v53, 2, v53
	v_ashrrev_i32_e32 v54, 31, v53
	v_lshlrev_b64 v[53:54], 4, v[53:54]
	s_waitcnt vmcnt(1)
	v_cvt_f64_f32_e32 v[57:58], v45
	v_add_co_u32_e32 v59, vcc, s6, v53
	v_addc_co_u32_e32 v60, vcc, v44, v54, vcc
	global_load_dwordx4 v[53:56], v[59:60], off
	v_cvt_f64_f32_e32 v[45:46], v46
	s_waitcnt vmcnt(0)
	v_fma_f64 v[32:33], v[57:58], v[53:54], v[32:33]
	v_fma_f64 v[34:35], v[45:46], v[53:54], v[34:35]
	v_fma_f64 v[45:46], -v[45:46], v[55:56], v[32:33]
	v_cvt_f64_f32_e32 v[32:33], v49
	v_fma_f64 v[57:58], v[57:58], v[55:56], v[34:35]
	v_cvt_f64_f32_e32 v[34:35], v50
	v_fma_f64 v[38:39], v[32:33], v[53:54], v[38:39]
	v_fma_f64 v[36:37], v[34:35], v[53:54], v[36:37]
	v_fma_f64 v[38:39], -v[34:35], v[55:56], v[38:39]
	v_fma_f64 v[36:37], v[32:33], v[55:56], v[36:37]
	global_load_dwordx4 v[32:35], v[19:20], off offset:64
	s_waitcnt vmcnt(0)
	v_cvt_f64_f32_e32 v[49:50], v32
	v_cvt_f64_f32_e32 v[32:33], v33
	;; [unrolled: 1-line block ×4, first 2 shown]
	v_fma_f64 v[30:31], v[49:50], v[53:54], v[30:31]
	v_fma_f64 v[24:25], v[32:33], v[53:54], v[24:25]
	v_fma_f64 v[61:62], -v[32:33], v[55:56], v[30:31]
	global_load_dwordx4 v[30:33], v[19:20], off offset:96
	v_fma_f64 v[49:50], v[49:50], v[55:56], v[24:25]
	s_waitcnt vmcnt(0)
	v_cvt_f64_f32_e32 v[24:25], v30
	v_cvt_f64_f32_e32 v[30:31], v31
	;; [unrolled: 1-line block ×4, first 2 shown]
	v_fma_f64 v[28:29], v[24:25], v[53:54], v[28:29]
	v_fma_f64 v[26:27], v[30:31], v[53:54], v[26:27]
	v_fma_f64 v[53:54], -v[30:31], v[55:56], v[28:29]
	v_fma_f64 v[55:56], v[24:25], v[55:56], v[26:27]
	global_load_dwordx4 v[24:27], v[59:60], off offset:16
	v_cvt_f64_f32_e32 v[28:29], v47
	v_cvt_f64_f32_e32 v[30:31], v48
	v_cvt_f64_f32_e32 v[47:48], v51
	v_cvt_f64_f32_e32 v[51:52], v52
	s_waitcnt vmcnt(0)
	v_fma_f64 v[32:33], v[28:29], v[24:25], v[45:46]
	v_fma_f64 v[45:46], v[30:31], v[24:25], v[57:58]
	v_fma_f64 v[57:58], -v[30:31], v[26:27], v[32:33]
	v_fma_f64 v[45:46], v[28:29], v[26:27], v[45:46]
	v_fma_f64 v[28:29], v[47:48], v[24:25], v[38:39]
	v_fma_f64 v[30:31], v[51:52], v[24:25], v[36:37]
	v_fma_f64 v[32:33], v[63:64], v[24:25], v[61:62]
	v_fma_f64 v[36:37], -v[51:52], v[26:27], v[28:29]
	v_fma_f64 v[38:39], v[47:48], v[26:27], v[30:31]
	v_fma_f64 v[47:48], v[34:35], v[24:25], v[49:50]
	;; [unrolled: 1-line block ×4, first 2 shown]
	global_load_dwordx4 v[28:31], v[19:20], off offset:16
	v_fma_f64 v[49:50], -v[34:35], v[26:27], v[32:33]
	global_load_dwordx4 v[32:35], v[19:20], off offset:48
	v_fma_f64 v[47:48], v[63:64], v[26:27], v[47:48]
	v_fma_f64 v[51:52], -v[67:68], v[26:27], v[51:52]
	v_fma_f64 v[55:56], v[65:66], v[26:27], v[24:25]
	global_load_dwordx4 v[24:27], v[59:60], off offset:32
	s_waitcnt vmcnt(2)
	v_cvt_f64_f32_e32 v[53:54], v28
	v_cvt_f64_f32_e32 v[28:29], v29
	s_waitcnt vmcnt(1)
	v_cvt_f64_f32_e32 v[63:64], v34
	v_cvt_f64_f32_e32 v[65:66], v35
	s_waitcnt vmcnt(0)
	v_fma_f64 v[57:58], v[53:54], v[24:25], v[57:58]
	v_fma_f64 v[45:46], v[28:29], v[24:25], v[45:46]
	v_fma_f64 v[28:29], -v[28:29], v[26:27], v[57:58]
	v_cvt_f64_f32_e32 v[57:58], v32
	v_cvt_f64_f32_e32 v[32:33], v33
	v_fma_f64 v[53:54], v[53:54], v[26:27], v[45:46]
	v_fma_f64 v[36:37], v[57:58], v[24:25], v[36:37]
	;; [unrolled: 1-line block ×3, first 2 shown]
	v_fma_f64 v[61:62], -v[32:33], v[26:27], v[36:37]
	v_fma_f64 v[57:58], v[57:58], v[26:27], v[38:39]
	global_load_dwordx4 v[36:39], v[19:20], off offset:80
	s_waitcnt vmcnt(0)
	v_cvt_f64_f32_e32 v[32:33], v36
	v_cvt_f64_f32_e32 v[36:37], v37
	;; [unrolled: 1-line block ×4, first 2 shown]
	v_fma_f64 v[45:46], v[32:33], v[24:25], v[49:50]
	v_fma_f64 v[47:48], v[36:37], v[24:25], v[47:48]
	v_fma_f64 v[36:37], -v[36:37], v[26:27], v[45:46]
	v_fma_f64 v[49:50], v[32:33], v[26:27], v[47:48]
	global_load_dwordx4 v[45:48], v[19:20], off offset:112
	v_add_co_u32_e32 v19, vcc, s17, v19
	v_addc_co_u32_e32 v20, vcc, 0, v20, vcc
	v_add_co_u32_e32 v40, vcc, 0x100, v40
	v_addc_co_u32_e32 v41, vcc, 0, v41, vcc
	s_waitcnt vmcnt(0)
	v_cvt_f64_f32_e32 v[32:33], v45
	v_cvt_f64_f32_e32 v[45:46], v46
	;; [unrolled: 1-line block ×4, first 2 shown]
	v_fma_f64 v[51:52], v[32:33], v[24:25], v[51:52]
	v_fma_f64 v[24:25], v[45:46], v[24:25], v[55:56]
	v_cvt_f64_f32_e32 v[55:56], v30
	v_cvt_f64_f32_e32 v[30:31], v31
	v_fma_f64 v[45:46], -v[45:46], v[26:27], v[51:52]
	v_fma_f64 v[51:52], v[32:33], v[26:27], v[24:25]
	global_load_dwordx4 v[24:27], v[59:60], off offset:48
	s_waitcnt vmcnt(0)
	v_fma_f64 v[28:29], v[55:56], v[24:25], v[28:29]
	v_fma_f64 v[34:35], v[30:31], v[24:25], v[53:54]
	;; [unrolled: 1-line block ×6, first 2 shown]
	v_fma_f64 v[32:33], -v[30:31], v[26:27], v[28:29]
	v_fma_f64 v[28:29], v[63:64], v[24:25], v[61:62]
	v_fma_f64 v[30:31], v[65:66], v[24:25], v[57:58]
	;; [unrolled: 1-line block ×4, first 2 shown]
	v_fma_f64 v[38:39], -v[65:66], v[26:27], v[28:29]
	v_fma_f64 v[36:37], v[63:64], v[26:27], v[30:31]
	v_fma_f64 v[30:31], -v[69:70], v[26:27], v[53:54]
	v_fma_f64 v[28:29], -v[47:48], v[26:27], v[45:46]
	v_fma_f64 v[26:27], v[71:72], v[26:27], v[51:52]
	s_andn2_b64 exec, exec, s[14:15]
	s_cbranch_execnz .LBB174_15
; %bb.16:
	s_or_b64 exec, exec, s[14:15]
.LBB174_17:
	s_or_b64 exec, exec, s[10:11]
	s_mov_b64 s[2:3], 0xbf
	v_cmp_lt_u64_e32 vcc, s[2:3], v[22:23]
	s_and_saveexec_b64 s[10:11], vcc
	s_cbranch_execz .LBB174_21
; %bb.18:
	v_lshlrev_b64 v[22:23], 2, v[17:18]
	v_mov_b32_e32 v40, s13
	v_add_co_u32_e32 v22, vcc, s12, v22
	v_addc_co_u32_e32 v23, vcc, v40, v23, vcc
	v_add_co_u32_e32 v22, vcc, 0x200, v22
	v_addc_co_u32_e32 v23, vcc, 0, v23, vcc
	s_mov_b64 s[14:15], 0
	v_mov_b32_e32 v42, s7
	s_movk_i32 s17, 0x2000
	s_movk_i32 s18, 0x4000
	;; [unrolled: 1-line block ×3, first 2 shown]
.LBB174_19:                             ; =>This Inner Loop Header: Depth=1
	global_load_dword v40, v[22:23], off offset:-512
	global_load_dwordx4 v[43:46], v[19:20], off offset:48
	global_load_dwordx4 v[47:50], v[19:20], off offset:32
	;; [unrolled: 1-line block ×3, first 2 shown]
	global_load_dwordx4 v[55:58], v[19:20], off
	s_waitcnt vmcnt(4)
	v_subrev_u32_e32 v40, s16, v40
	v_lshlrev_b32_e32 v40, 2, v40
	v_ashrrev_i32_e32 v41, 31, v40
	v_lshlrev_b64 v[40:41], 4, v[40:41]
	s_waitcnt vmcnt(0)
	v_cvt_f64_f32_e32 v[75:76], v55
	v_add_co_u32_e32 v40, vcc, s6, v40
	v_addc_co_u32_e32 v41, vcc, v42, v41, vcc
	global_load_dwordx4 v[59:62], v[40:41], off offset:48
	global_load_dwordx4 v[63:66], v[40:41], off offset:32
	global_load_dwordx4 v[67:70], v[40:41], off offset:16
	global_load_dwordx4 v[71:74], v[40:41], off
	v_cvt_f64_f32_e32 v[55:56], v56
	v_cvt_f64_f32_e32 v[40:41], v57
	s_waitcnt vmcnt(0)
	v_fma_f64 v[32:33], v[75:76], v[71:72], v[32:33]
	v_fma_f64 v[34:35], v[55:56], v[71:72], v[34:35]
	v_fma_f64 v[32:33], -v[55:56], v[73:74], v[32:33]
	v_fma_f64 v[34:35], v[75:76], v[73:74], v[34:35]
	v_cvt_f64_f32_e32 v[55:56], v58
	v_fma_f64 v[32:33], v[40:41], v[67:68], v[32:33]
	v_fma_f64 v[34:35], v[55:56], v[67:68], v[34:35]
	v_fma_f64 v[32:33], -v[55:56], v[69:70], v[32:33]
	v_fma_f64 v[34:35], v[40:41], v[69:70], v[34:35]
	v_cvt_f64_f32_e32 v[40:41], v51
	v_cvt_f64_f32_e32 v[51:52], v52
	v_fma_f64 v[32:33], v[40:41], v[63:64], v[32:33]
	v_fma_f64 v[34:35], v[51:52], v[63:64], v[34:35]
	v_fma_f64 v[32:33], -v[51:52], v[65:66], v[32:33]
	v_fma_f64 v[34:35], v[40:41], v[65:66], v[34:35]
	v_cvt_f64_f32_e32 v[40:41], v53
	v_cvt_f64_f32_e32 v[51:52], v54
	v_fma_f64 v[32:33], v[40:41], v[59:60], v[32:33]
	v_fma_f64 v[75:76], -v[51:52], v[61:62], v[32:33]
	v_fma_f64 v[32:33], v[51:52], v[59:60], v[34:35]
	v_cvt_f64_f32_e32 v[34:35], v48
	v_fma_f64 v[40:41], v[40:41], v[61:62], v[32:33]
	v_cvt_f64_f32_e32 v[32:33], v47
	v_fma_f64 v[38:39], v[32:33], v[71:72], v[38:39]
	v_fma_f64 v[38:39], -v[34:35], v[73:74], v[38:39]
	v_fma_f64 v[34:35], v[34:35], v[71:72], v[36:37]
	v_cvt_f64_f32_e32 v[36:37], v50
	v_fma_f64 v[32:33], v[32:33], v[73:74], v[34:35]
	v_cvt_f64_f32_e32 v[34:35], v49
	v_fma_f64 v[38:39], v[34:35], v[67:68], v[38:39]
	v_fma_f64 v[32:33], v[36:37], v[67:68], v[32:33]
	v_fma_f64 v[38:39], -v[36:37], v[69:70], v[38:39]
	v_cvt_f64_f32_e32 v[36:37], v44
	v_fma_f64 v[32:33], v[34:35], v[69:70], v[32:33]
	v_cvt_f64_f32_e32 v[34:35], v43
	v_fma_f64 v[38:39], v[34:35], v[63:64], v[38:39]
	v_fma_f64 v[32:33], v[36:37], v[63:64], v[32:33]
	v_fma_f64 v[38:39], -v[36:37], v[65:66], v[38:39]
	;; [unrolled: 6-line block ×3, first 2 shown]
	v_fma_f64 v[79:80], v[34:35], v[61:62], v[32:33]
	global_load_dwordx4 v[32:35], v[19:20], off offset:112
	global_load_dwordx4 v[36:39], v[19:20], off offset:96
	;; [unrolled: 1-line block ×4, first 2 shown]
	s_waitcnt vmcnt(0)
	v_cvt_f64_f32_e32 v[51:52], v47
	v_cvt_f64_f32_e32 v[47:48], v48
	v_fma_f64 v[30:31], v[51:52], v[71:72], v[30:31]
	v_fma_f64 v[24:25], v[47:48], v[71:72], v[24:25]
	v_fma_f64 v[30:31], -v[47:48], v[73:74], v[30:31]
	v_fma_f64 v[24:25], v[51:52], v[73:74], v[24:25]
	v_cvt_f64_f32_e32 v[47:48], v49
	v_cvt_f64_f32_e32 v[49:50], v50
	v_fma_f64 v[30:31], v[47:48], v[67:68], v[30:31]
	v_fma_f64 v[24:25], v[49:50], v[67:68], v[24:25]
	v_fma_f64 v[30:31], -v[49:50], v[69:70], v[30:31]
	v_fma_f64 v[24:25], v[47:48], v[69:70], v[24:25]
	;; [unrolled: 6-line block ×3, first 2 shown]
	v_cvt_f64_f32_e32 v[43:44], v45
	v_cvt_f64_f32_e32 v[45:46], v46
	v_fma_f64 v[30:31], v[43:44], v[59:60], v[30:31]
	v_fma_f64 v[24:25], v[45:46], v[59:60], v[24:25]
	v_fma_f64 v[81:82], -v[45:46], v[61:62], v[30:31]
	v_cvt_f64_f32_e32 v[30:31], v37
	v_fma_f64 v[83:84], v[43:44], v[61:62], v[24:25]
	v_cvt_f64_f32_e32 v[24:25], v36
	v_fma_f64 v[26:27], v[30:31], v[71:72], v[26:27]
	v_fma_f64 v[28:29], v[24:25], v[71:72], v[28:29]
	v_fma_f64 v[24:25], v[24:25], v[73:74], v[26:27]
	v_cvt_f64_f32_e32 v[26:27], v38
	v_fma_f64 v[28:29], -v[30:31], v[73:74], v[28:29]
	v_cvt_f64_f32_e32 v[30:31], v39
	v_fma_f64 v[24:25], v[30:31], v[67:68], v[24:25]
	v_fma_f64 v[28:29], v[26:27], v[67:68], v[28:29]
	v_fma_f64 v[24:25], v[26:27], v[69:70], v[24:25]
	v_cvt_f64_f32_e32 v[26:27], v32
	v_fma_f64 v[28:29], -v[30:31], v[69:70], v[28:29]
	v_cvt_f64_f32_e32 v[30:31], v33
	v_fma_f64 v[24:25], v[30:31], v[63:64], v[24:25]
	v_fma_f64 v[28:29], v[26:27], v[63:64], v[28:29]
	v_fma_f64 v[24:25], v[26:27], v[65:66], v[24:25]
	v_cvt_f64_f32_e32 v[26:27], v34
	v_fma_f64 v[28:29], -v[30:31], v[65:66], v[28:29]
	v_cvt_f64_f32_e32 v[30:31], v35
	v_fma_f64 v[24:25], v[30:31], v[59:60], v[24:25]
	v_fma_f64 v[28:29], v[26:27], v[59:60], v[28:29]
	;; [unrolled: 1-line block ×3, first 2 shown]
	global_load_dword v24, v[22:23], off offset:-256
	v_fma_f64 v[63:64], -v[30:31], v[61:62], v[28:29]
	v_add_co_u32_e32 v61, vcc, s17, v19
	v_addc_co_u32_e32 v62, vcc, 0, v20, vcc
	s_waitcnt vmcnt(0)
	v_subrev_u32_e32 v24, s16, v24
	v_lshlrev_b32_e32 v43, 2, v24
	v_ashrrev_i32_e32 v44, 31, v43
	v_lshlrev_b64 v[43:44], 4, v[43:44]
	global_load_dwordx4 v[24:27], v[61:62], off
	global_load_dwordx4 v[28:31], v[61:62], off offset:48
	global_load_dwordx4 v[32:35], v[61:62], off offset:32
	;; [unrolled: 1-line block ×3, first 2 shown]
	v_add_co_u32_e32 v67, vcc, s6, v43
	v_addc_co_u32_e32 v68, vcc, v42, v44, vcc
	global_load_dwordx4 v[43:46], v[67:68], off offset:48
	global_load_dwordx4 v[47:50], v[67:68], off offset:32
	;; [unrolled: 1-line block ×3, first 2 shown]
	global_load_dwordx4 v[55:58], v[67:68], off
	s_waitcnt vmcnt(7)
	v_cvt_f64_f32_e32 v[65:66], v24
	v_cvt_f64_f32_e32 v[24:25], v25
	s_waitcnt vmcnt(0)
	v_fma_f64 v[67:68], v[65:66], v[55:56], v[75:76]
	v_fma_f64 v[67:68], -v[24:25], v[57:58], v[67:68]
	v_fma_f64 v[24:25], v[24:25], v[55:56], v[40:41]
	v_cvt_f64_f32_e32 v[40:41], v26
	v_cvt_f64_f32_e32 v[26:27], v27
	v_fma_f64 v[24:25], v[65:66], v[57:58], v[24:25]
	v_fma_f64 v[65:66], v[40:41], v[51:52], v[67:68]
	;; [unrolled: 1-line block ×3, first 2 shown]
	v_fma_f64 v[65:66], -v[26:27], v[53:54], v[65:66]
	v_cvt_f64_f32_e32 v[26:27], v36
	v_cvt_f64_f32_e32 v[36:37], v37
	v_fma_f64 v[24:25], v[40:41], v[53:54], v[24:25]
	v_fma_f64 v[40:41], v[26:27], v[47:48], v[65:66]
	;; [unrolled: 1-line block ×3, first 2 shown]
	v_fma_f64 v[40:41], -v[36:37], v[49:50], v[40:41]
	v_cvt_f64_f32_e32 v[36:37], v39
	v_fma_f64 v[24:25], v[26:27], v[49:50], v[24:25]
	v_cvt_f64_f32_e32 v[26:27], v38
	v_fma_f64 v[38:39], v[26:27], v[43:44], v[40:41]
	v_fma_f64 v[24:25], v[36:37], v[43:44], v[24:25]
	v_fma_f64 v[40:41], -v[36:37], v[45:46], v[38:39]
	v_fma_f64 v[65:66], v[26:27], v[45:46], v[24:25]
	v_cvt_f64_f32_e32 v[24:25], v32
	v_cvt_f64_f32_e32 v[26:27], v33
	v_fma_f64 v[32:33], v[24:25], v[55:56], v[77:78]
	v_fma_f64 v[32:33], -v[26:27], v[57:58], v[32:33]
	v_fma_f64 v[26:27], v[26:27], v[55:56], v[79:80]
	v_add_co_u32_e32 v79, vcc, s18, v19
	v_addc_co_u32_e32 v80, vcc, 0, v20, vcc
	v_fma_f64 v[24:25], v[24:25], v[57:58], v[26:27]
	v_cvt_f64_f32_e32 v[26:27], v34
	v_cvt_f64_f32_e32 v[34:35], v35
	v_fma_f64 v[32:33], v[26:27], v[51:52], v[32:33]
	v_fma_f64 v[24:25], v[34:35], v[51:52], v[24:25]
	v_fma_f64 v[32:33], -v[34:35], v[53:54], v[32:33]
	v_fma_f64 v[24:25], v[26:27], v[53:54], v[24:25]
	v_cvt_f64_f32_e32 v[26:27], v28
	v_cvt_f64_f32_e32 v[28:29], v29
	v_fma_f64 v[32:33], v[26:27], v[47:48], v[32:33]
	v_fma_f64 v[24:25], v[28:29], v[47:48], v[24:25]
	v_fma_f64 v[32:33], -v[28:29], v[49:50], v[32:33]
	v_cvt_f64_f32_e32 v[28:29], v31
	v_fma_f64 v[24:25], v[26:27], v[49:50], v[24:25]
	v_cvt_f64_f32_e32 v[26:27], v30
	v_fma_f64 v[30:31], v[26:27], v[43:44], v[32:33]
	v_fma_f64 v[24:25], v[28:29], v[43:44], v[24:25]
	v_fma_f64 v[67:68], -v[28:29], v[45:46], v[30:31]
	v_fma_f64 v[69:70], v[26:27], v[45:46], v[24:25]
	global_load_dwordx4 v[24:27], v[61:62], off offset:112
	global_load_dwordx4 v[28:31], v[61:62], off offset:96
	;; [unrolled: 1-line block ×4, first 2 shown]
	s_waitcnt vmcnt(0)
	v_cvt_f64_f32_e32 v[61:62], v36
	v_cvt_f64_f32_e32 v[36:37], v37
	v_fma_f64 v[71:72], v[61:62], v[55:56], v[81:82]
	v_fma_f64 v[71:72], -v[36:37], v[57:58], v[71:72]
	v_fma_f64 v[36:37], v[36:37], v[55:56], v[83:84]
	v_fma_f64 v[36:37], v[61:62], v[57:58], v[36:37]
	v_cvt_f64_f32_e32 v[61:62], v38
	v_cvt_f64_f32_e32 v[38:39], v39
	v_fma_f64 v[71:72], v[61:62], v[51:52], v[71:72]
	v_fma_f64 v[36:37], v[38:39], v[51:52], v[36:37]
	v_fma_f64 v[71:72], -v[38:39], v[53:54], v[71:72]
	v_cvt_f64_f32_e32 v[38:39], v32
	v_cvt_f64_f32_e32 v[32:33], v33
	v_fma_f64 v[36:37], v[61:62], v[53:54], v[36:37]
	v_fma_f64 v[61:62], v[38:39], v[47:48], v[71:72]
	v_fma_f64 v[61:62], -v[32:33], v[49:50], v[61:62]
	v_fma_f64 v[32:33], v[32:33], v[47:48], v[36:37]
	v_cvt_f64_f32_e32 v[36:37], v34
	v_cvt_f64_f32_e32 v[34:35], v35
	v_fma_f64 v[32:33], v[38:39], v[49:50], v[32:33]
	v_fma_f64 v[38:39], v[36:37], v[43:44], v[61:62]
	;; [unrolled: 1-line block ×3, first 2 shown]
	v_fma_f64 v[71:72], -v[34:35], v[45:46], v[38:39]
	v_fma_f64 v[73:74], v[36:37], v[45:46], v[32:33]
	v_cvt_f64_f32_e32 v[32:33], v28
	v_cvt_f64_f32_e32 v[28:29], v29
	v_fma_f64 v[34:35], v[32:33], v[55:56], v[63:64]
	v_fma_f64 v[34:35], -v[28:29], v[57:58], v[34:35]
	v_fma_f64 v[28:29], v[28:29], v[55:56], v[59:60]
	v_fma_f64 v[28:29], v[32:33], v[57:58], v[28:29]
	v_cvt_f64_f32_e32 v[32:33], v30
	v_cvt_f64_f32_e32 v[30:31], v31
	v_fma_f64 v[34:35], v[32:33], v[51:52], v[34:35]
	v_fma_f64 v[28:29], v[30:31], v[51:52], v[28:29]
	v_fma_f64 v[34:35], -v[30:31], v[53:54], v[34:35]
	v_cvt_f64_f32_e32 v[30:31], v24
	v_cvt_f64_f32_e32 v[24:25], v25
	v_fma_f64 v[28:29], v[32:33], v[53:54], v[28:29]
	v_fma_f64 v[32:33], v[30:31], v[47:48], v[34:35]
	v_fma_f64 v[32:33], -v[24:25], v[49:50], v[32:33]
	v_fma_f64 v[24:25], v[24:25], v[47:48], v[28:29]
	v_cvt_f64_f32_e32 v[28:29], v26
	v_cvt_f64_f32_e32 v[26:27], v27
	v_fma_f64 v[24:25], v[30:31], v[49:50], v[24:25]
	v_fma_f64 v[30:31], v[28:29], v[43:44], v[32:33]
	;; [unrolled: 1-line block ×3, first 2 shown]
	v_fma_f64 v[75:76], -v[26:27], v[45:46], v[30:31]
	v_fma_f64 v[77:78], v[28:29], v[45:46], v[24:25]
	global_load_dword v24, v[22:23], off
	s_waitcnt vmcnt(0)
	v_subrev_u32_e32 v24, s16, v24
	v_lshlrev_b32_e32 v43, 2, v24
	v_ashrrev_i32_e32 v44, 31, v43
	v_lshlrev_b64 v[43:44], 4, v[43:44]
	global_load_dwordx4 v[24:27], v[79:80], off
	global_load_dwordx4 v[28:31], v[79:80], off offset:48
	global_load_dwordx4 v[36:39], v[79:80], off offset:32
	;; [unrolled: 1-line block ×3, first 2 shown]
	v_add_co_u32_e32 v61, vcc, s6, v43
	v_addc_co_u32_e32 v62, vcc, v42, v44, vcc
	global_load_dwordx4 v[43:46], v[61:62], off offset:48
	global_load_dwordx4 v[47:50], v[61:62], off offset:32
	;; [unrolled: 1-line block ×3, first 2 shown]
	global_load_dwordx4 v[55:58], v[61:62], off
	s_waitcnt vmcnt(7)
	v_cvt_f64_f32_e32 v[59:60], v24
	v_cvt_f64_f32_e32 v[24:25], v25
	s_waitcnt vmcnt(0)
	v_fma_f64 v[40:41], v[59:60], v[55:56], v[40:41]
	v_fma_f64 v[40:41], -v[24:25], v[57:58], v[40:41]
	v_fma_f64 v[24:25], v[24:25], v[55:56], v[65:66]
	v_fma_f64 v[24:25], v[59:60], v[57:58], v[24:25]
	v_cvt_f64_f32_e32 v[59:60], v26
	v_cvt_f64_f32_e32 v[26:27], v27
	v_fma_f64 v[40:41], v[59:60], v[51:52], v[40:41]
	v_fma_f64 v[24:25], v[26:27], v[51:52], v[24:25]
	v_fma_f64 v[40:41], -v[26:27], v[53:54], v[40:41]
	v_cvt_f64_f32_e32 v[26:27], v32
	v_cvt_f64_f32_e32 v[32:33], v33
	v_fma_f64 v[24:25], v[59:60], v[53:54], v[24:25]
	v_fma_f64 v[40:41], v[26:27], v[47:48], v[40:41]
	;; [unrolled: 1-line block ×3, first 2 shown]
	v_fma_f64 v[40:41], -v[32:33], v[49:50], v[40:41]
	v_fma_f64 v[24:25], v[26:27], v[49:50], v[24:25]
	v_cvt_f64_f32_e32 v[26:27], v34
	v_cvt_f64_f32_e32 v[34:35], v35
	v_fma_f64 v[32:33], v[26:27], v[43:44], v[40:41]
	v_fma_f64 v[24:25], v[34:35], v[43:44], v[24:25]
	v_fma_f64 v[32:33], -v[34:35], v[45:46], v[32:33]
	v_fma_f64 v[34:35], v[26:27], v[45:46], v[24:25]
	v_cvt_f64_f32_e32 v[24:25], v36
	v_cvt_f64_f32_e32 v[26:27], v37
	v_fma_f64 v[36:37], v[24:25], v[55:56], v[67:68]
	v_fma_f64 v[36:37], -v[26:27], v[57:58], v[36:37]
	v_fma_f64 v[26:27], v[26:27], v[55:56], v[69:70]
	v_fma_f64 v[24:25], v[24:25], v[57:58], v[26:27]
	v_cvt_f64_f32_e32 v[26:27], v38
	v_cvt_f64_f32_e32 v[38:39], v39
	v_fma_f64 v[36:37], v[26:27], v[51:52], v[36:37]
	v_fma_f64 v[24:25], v[38:39], v[51:52], v[24:25]
	v_fma_f64 v[36:37], -v[38:39], v[53:54], v[36:37]
	v_fma_f64 v[24:25], v[26:27], v[53:54], v[24:25]
	v_cvt_f64_f32_e32 v[26:27], v28
	v_cvt_f64_f32_e32 v[28:29], v29
	v_fma_f64 v[36:37], v[26:27], v[47:48], v[36:37]
	v_fma_f64 v[24:25], v[28:29], v[47:48], v[24:25]
	v_fma_f64 v[36:37], -v[28:29], v[49:50], v[36:37]
	v_cvt_f64_f32_e32 v[28:29], v31
	v_fma_f64 v[24:25], v[26:27], v[49:50], v[24:25]
	v_cvt_f64_f32_e32 v[26:27], v30
	v_fma_f64 v[30:31], v[26:27], v[43:44], v[36:37]
	v_fma_f64 v[24:25], v[28:29], v[43:44], v[24:25]
	v_fma_f64 v[36:37], -v[28:29], v[45:46], v[30:31]
	v_fma_f64 v[38:39], v[26:27], v[45:46], v[24:25]
	global_load_dwordx4 v[26:29], v[79:80], off offset:112
	global_load_dwordx4 v[59:62], v[79:80], off offset:96
	;; [unrolled: 1-line block ×4, first 2 shown]
	s_waitcnt vmcnt(0)
	v_cvt_f64_f32_e32 v[24:25], v67
	v_cvt_f64_f32_e32 v[30:31], v68
	;; [unrolled: 1-line block ×3, first 2 shown]
	v_fma_f64 v[40:41], v[24:25], v[55:56], v[71:72]
	v_fma_f64 v[40:41], -v[30:31], v[57:58], v[40:41]
	v_fma_f64 v[30:31], v[30:31], v[55:56], v[73:74]
	v_fma_f64 v[24:25], v[24:25], v[57:58], v[30:31]
	v_cvt_f64_f32_e32 v[30:31], v69
	v_fma_f64 v[40:41], v[30:31], v[51:52], v[40:41]
	v_fma_f64 v[24:25], v[67:68], v[51:52], v[24:25]
	v_fma_f64 v[40:41], -v[67:68], v[53:54], v[40:41]
	v_fma_f64 v[24:25], v[30:31], v[53:54], v[24:25]
	v_cvt_f64_f32_e32 v[30:31], v63
	v_cvt_f64_f32_e32 v[63:64], v64
	v_fma_f64 v[40:41], v[30:31], v[47:48], v[40:41]
	v_fma_f64 v[24:25], v[63:64], v[47:48], v[24:25]
	v_fma_f64 v[40:41], -v[63:64], v[49:50], v[40:41]
	v_cvt_f64_f32_e32 v[63:64], v65
	v_cvt_f64_f32_e32 v[65:66], v66
	v_fma_f64 v[30:31], v[30:31], v[49:50], v[24:25]
	v_fma_f64 v[24:25], v[63:64], v[43:44], v[40:41]
	v_cvt_f64_f32_e32 v[40:41], v59
	v_cvt_f64_f32_e32 v[59:60], v60
	v_fma_f64 v[30:31], v[65:66], v[43:44], v[30:31]
	v_fma_f64 v[24:25], -v[65:66], v[45:46], v[24:25]
	v_fma_f64 v[30:31], v[63:64], v[45:46], v[30:31]
	v_fma_f64 v[63:64], v[40:41], v[55:56], v[75:76]
	v_fma_f64 v[55:56], v[59:60], v[55:56], v[77:78]
	v_add_co_u32_e32 v75, vcc, s19, v19
	v_addc_co_u32_e32 v76, vcc, 0, v20, vcc
	v_fma_f64 v[63:64], -v[59:60], v[57:58], v[63:64]
	v_fma_f64 v[40:41], v[40:41], v[57:58], v[55:56]
	v_cvt_f64_f32_e32 v[55:56], v61
	v_cvt_f64_f32_e32 v[57:58], v62
	v_fma_f64 v[59:60], v[55:56], v[51:52], v[63:64]
	v_fma_f64 v[40:41], v[57:58], v[51:52], v[40:41]
	v_cvt_f64_f32_e32 v[51:52], v26
	v_cvt_f64_f32_e32 v[26:27], v27
	v_fma_f64 v[59:60], -v[57:58], v[53:54], v[59:60]
	v_fma_f64 v[40:41], v[55:56], v[53:54], v[40:41]
	v_fma_f64 v[53:54], v[51:52], v[47:48], v[59:60]
	v_fma_f64 v[53:54], -v[26:27], v[49:50], v[53:54]
	v_fma_f64 v[26:27], v[26:27], v[47:48], v[40:41]
	v_cvt_f64_f32_e32 v[47:48], v28
	v_cvt_f64_f32_e32 v[28:29], v29
	v_fma_f64 v[40:41], v[51:52], v[49:50], v[26:27]
	v_fma_f64 v[26:27], v[47:48], v[43:44], v[53:54]
	v_fma_f64 v[26:27], -v[28:29], v[45:46], v[26:27]
	v_fma_f64 v[28:29], v[28:29], v[43:44], v[40:41]
	global_load_dword v40, v[22:23], off offset:256
	v_fma_f64 v[28:29], v[47:48], v[45:46], v[28:29]
	global_load_dwordx4 v[43:46], v[75:76], off
	global_load_dwordx4 v[47:50], v[75:76], off offset:48
	global_load_dwordx4 v[51:54], v[75:76], off offset:32
	;; [unrolled: 1-line block ×3, first 2 shown]
	s_waitcnt vmcnt(4)
	v_subrev_u32_e32 v40, s16, v40
	v_lshlrev_b32_e32 v40, 2, v40
	v_ashrrev_i32_e32 v41, 31, v40
	v_lshlrev_b64 v[40:41], 4, v[40:41]
	v_add_co_u32_e32 v40, vcc, s6, v40
	v_addc_co_u32_e32 v41, vcc, v42, v41, vcc
	global_load_dwordx4 v[59:62], v[40:41], off offset:48
	global_load_dwordx4 v[63:66], v[40:41], off offset:32
	;; [unrolled: 1-line block ×3, first 2 shown]
	global_load_dwordx4 v[71:74], v[40:41], off
	s_waitcnt vmcnt(7)
	v_cvt_f64_f32_e32 v[77:78], v43
	v_cvt_f64_f32_e32 v[43:44], v44
	v_cvt_f64_f32_e32 v[40:41], v45
	v_add_co_u32_e32 v17, vcc, 0x100, v17
	v_addc_co_u32_e32 v18, vcc, 0, v18, vcc
	v_add_co_u32_e32 v22, vcc, 0x400, v22
	v_addc_co_u32_e32 v23, vcc, 0, v23, vcc
	v_cmp_ge_i64_e64 s[2:3], v[17:18], v[11:12]
	v_add_co_u32_e32 v19, vcc, 0x8000, v19
	v_addc_co_u32_e32 v20, vcc, 0, v20, vcc
	s_or_b64 s[14:15], s[2:3], s[14:15]
	s_waitcnt vmcnt(0)
	v_fma_f64 v[34:35], v[43:44], v[71:72], v[34:35]
	v_fma_f64 v[32:33], v[77:78], v[71:72], v[32:33]
	v_fma_f64 v[34:35], v[77:78], v[73:74], v[34:35]
	v_fma_f64 v[32:33], -v[43:44], v[73:74], v[32:33]
	v_cvt_f64_f32_e32 v[43:44], v46
	v_cvt_f64_f32_e32 v[45:46], v50
	v_fma_f64 v[34:35], v[43:44], v[67:68], v[34:35]
	v_fma_f64 v[32:33], v[40:41], v[67:68], v[32:33]
	v_fma_f64 v[34:35], v[40:41], v[69:70], v[34:35]
	v_fma_f64 v[32:33], -v[43:44], v[69:70], v[32:33]
	v_cvt_f64_f32_e32 v[43:44], v56
	v_cvt_f64_f32_e32 v[40:41], v55
	v_fma_f64 v[34:35], v[43:44], v[63:64], v[34:35]
	v_fma_f64 v[32:33], v[40:41], v[63:64], v[32:33]
	v_fma_f64 v[34:35], v[40:41], v[65:66], v[34:35]
	v_fma_f64 v[32:33], -v[43:44], v[65:66], v[32:33]
	v_cvt_f64_f32_e32 v[43:44], v58
	v_cvt_f64_f32_e32 v[40:41], v57
	v_fma_f64 v[34:35], v[43:44], v[59:60], v[34:35]
	v_fma_f64 v[32:33], v[40:41], v[59:60], v[32:33]
	;; [unrolled: 1-line block ×3, first 2 shown]
	v_cvt_f64_f32_e32 v[40:41], v51
	v_fma_f64 v[32:33], -v[43:44], v[61:62], v[32:33]
	v_cvt_f64_f32_e32 v[43:44], v52
	v_fma_f64 v[36:37], v[40:41], v[71:72], v[36:37]
	v_fma_f64 v[38:39], v[43:44], v[71:72], v[38:39]
	v_fma_f64 v[36:37], -v[43:44], v[73:74], v[36:37]
	v_cvt_f64_f32_e32 v[43:44], v54
	v_fma_f64 v[38:39], v[40:41], v[73:74], v[38:39]
	v_cvt_f64_f32_e32 v[40:41], v53
	v_fma_f64 v[36:37], v[40:41], v[67:68], v[36:37]
	v_fma_f64 v[38:39], v[43:44], v[67:68], v[38:39]
	v_fma_f64 v[36:37], -v[43:44], v[69:70], v[36:37]
	v_cvt_f64_f32_e32 v[43:44], v48
	v_fma_f64 v[38:39], v[40:41], v[69:70], v[38:39]
	;; [unrolled: 6-line block ×3, first 2 shown]
	v_fma_f64 v[36:37], v[43:44], v[59:60], v[36:37]
	v_fma_f64 v[38:39], -v[45:46], v[61:62], v[36:37]
	v_fma_f64 v[36:37], v[45:46], v[59:60], v[40:41]
	v_fma_f64 v[36:37], v[43:44], v[61:62], v[36:37]
	global_load_dwordx4 v[43:46], v[75:76], off offset:112
	global_load_dwordx4 v[47:50], v[75:76], off offset:96
	;; [unrolled: 1-line block ×4, first 2 shown]
	s_waitcnt vmcnt(0)
	v_cvt_f64_f32_e32 v[40:41], v55
	v_cvt_f64_f32_e32 v[55:56], v56
	v_fma_f64 v[24:25], v[40:41], v[71:72], v[24:25]
	v_fma_f64 v[30:31], v[55:56], v[71:72], v[30:31]
	v_fma_f64 v[24:25], -v[55:56], v[73:74], v[24:25]
	v_fma_f64 v[30:31], v[40:41], v[73:74], v[30:31]
	v_cvt_f64_f32_e32 v[40:41], v57
	v_cvt_f64_f32_e32 v[55:56], v58
	v_fma_f64 v[24:25], v[40:41], v[67:68], v[24:25]
	v_fma_f64 v[30:31], v[55:56], v[67:68], v[30:31]
	v_fma_f64 v[24:25], -v[55:56], v[69:70], v[24:25]
	v_fma_f64 v[30:31], v[40:41], v[69:70], v[30:31]
	v_cvt_f64_f32_e32 v[40:41], v51
	v_cvt_f64_f32_e32 v[51:52], v52
	v_fma_f64 v[24:25], v[40:41], v[63:64], v[24:25]
	v_fma_f64 v[30:31], v[51:52], v[63:64], v[30:31]
	v_fma_f64 v[24:25], -v[51:52], v[65:66], v[24:25]
	v_cvt_f64_f32_e32 v[51:52], v53
	v_fma_f64 v[40:41], v[40:41], v[65:66], v[30:31]
	v_cvt_f64_f32_e32 v[53:54], v54
	v_fma_f64 v[24:25], v[51:52], v[59:60], v[24:25]
	v_fma_f64 v[30:31], -v[53:54], v[61:62], v[24:25]
	v_fma_f64 v[24:25], v[53:54], v[59:60], v[40:41]
	v_cvt_f64_f32_e32 v[40:41], v47
	v_cvt_f64_f32_e32 v[47:48], v48
	v_fma_f64 v[26:27], v[40:41], v[71:72], v[26:27]
	v_fma_f64 v[28:29], v[47:48], v[71:72], v[28:29]
	;; [unrolled: 1-line block ×3, first 2 shown]
	v_fma_f64 v[26:27], -v[47:48], v[73:74], v[26:27]
	v_fma_f64 v[28:29], v[40:41], v[73:74], v[28:29]
	v_cvt_f64_f32_e32 v[40:41], v49
	v_cvt_f64_f32_e32 v[47:48], v50
	v_fma_f64 v[26:27], v[40:41], v[67:68], v[26:27]
	v_fma_f64 v[28:29], v[47:48], v[67:68], v[28:29]
	v_fma_f64 v[26:27], -v[47:48], v[69:70], v[26:27]
	v_fma_f64 v[28:29], v[40:41], v[69:70], v[28:29]
	v_cvt_f64_f32_e32 v[40:41], v43
	v_cvt_f64_f32_e32 v[43:44], v44
	v_fma_f64 v[26:27], v[40:41], v[63:64], v[26:27]
	v_fma_f64 v[28:29], v[43:44], v[63:64], v[28:29]
	v_fma_f64 v[26:27], -v[43:44], v[65:66], v[26:27]
	v_cvt_f64_f32_e32 v[43:44], v45
	v_fma_f64 v[40:41], v[40:41], v[65:66], v[28:29]
	v_cvt_f64_f32_e32 v[45:46], v46
	v_fma_f64 v[26:27], v[43:44], v[59:60], v[26:27]
	v_fma_f64 v[28:29], -v[45:46], v[61:62], v[26:27]
	v_fma_f64 v[26:27], v[45:46], v[59:60], v[40:41]
	v_fma_f64 v[26:27], v[43:44], v[61:62], v[26:27]
	s_andn2_b64 exec, exec, s[14:15]
	s_cbranch_execnz .LBB174_19
; %bb.20:
	s_or_b64 exec, exec, s[14:15]
.LBB174_21:
	s_or_b64 exec, exec, s[10:11]
.LBB174_22:
	s_or_b64 exec, exec, s[8:9]
	s_cbranch_execz .LBB174_24
	s_branch .LBB174_35
.LBB174_23:
                                        ; implicit-def: $vgpr34_vgpr35
                                        ; implicit-def: $vgpr32_vgpr33
                                        ; implicit-def: $vgpr36_vgpr37
                                        ; implicit-def: $vgpr38_vgpr39
                                        ; implicit-def: $vgpr24_vgpr25
                                        ; implicit-def: $vgpr30_vgpr31
                                        ; implicit-def: $vgpr26_vgpr27
                                        ; implicit-def: $vgpr28_vgpr29
.LBB174_24:
	v_mov_b32_e32 v34, 0
	v_mov_b32_e32 v32, 0
	;; [unrolled: 1-line block ×16, first 2 shown]
	s_and_saveexec_b64 s[2:3], s[0:1]
	s_cbranch_execz .LBB174_34
; %bb.25:
	v_or_b32_e32 v17, 64, v0
	v_subrev_co_u32_e32 v17, vcc, s16, v17
	v_subb_co_u32_e64 v18, s[0:1], 0, 0, vcc
	v_add_co_u32_e32 v17, vcc, v17, v15
	v_addc_co_u32_e32 v18, vcc, v18, v16, vcc
	v_cmp_gt_i64_e32 vcc, v[17:18], v[11:12]
	v_not_b32_e32 v15, v15
	v_cndmask_b32_e32 v18, v12, v18, vcc
	v_cndmask_b32_e32 v17, v11, v17, vcc
	v_sub_co_u32_e32 v19, vcc, s16, v0
	v_not_b32_e32 v16, v16
	v_subb_co_u32_e64 v20, s[0:1], 0, 0, vcc
	v_add_co_u32_e32 v15, vcc, v19, v15
	v_addc_co_u32_e32 v16, vcc, v20, v16, vcc
	v_add_co_u32_e32 v15, vcc, v15, v17
	v_addc_co_u32_e32 v16, vcc, v16, v18, vcc
	v_and_b32_e32 v17, 0xc0, v15
	v_mov_b32_e32 v18, 0
	s_mov_b64 s[0:1], 0xc0
	v_cmp_ne_u64_e32 vcc, s[0:1], v[17:18]
	v_mov_b32_e32 v28, 0
	v_mov_b32_e32 v26, 0
	v_mov_b32_e32 v30, 0
	v_mov_b32_e32 v24, 0
	v_mov_b32_e32 v38, 0
	v_mov_b32_e32 v36, 0
	v_mov_b32_e32 v32, 0
	v_mov_b32_e32 v34, 0
	v_mov_b32_e32 v29, 0
	v_mov_b32_e32 v27, 0
	v_mov_b32_e32 v31, 0
	v_mov_b32_e32 v25, 0
	v_mov_b32_e32 v39, 0
	v_mov_b32_e32 v37, 0
	v_mov_b32_e32 v33, 0
	v_mov_b32_e32 v35, 0
	s_and_saveexec_b64 s[0:1], vcc
	s_cbranch_execz .LBB174_29
; %bb.26:
	v_lshrrev_b32_e32 v17, 6, v15
	v_add_u32_e32 v17, 1, v17
	v_and_b32_e32 v19, 3, v17
	v_lshlrev_b64 v[17:18], 2, v[9:10]
	v_mov_b32_e32 v20, s13
	v_add_co_u32_e32 v17, vcc, s12, v17
	v_addc_co_u32_e32 v18, vcc, v20, v18, vcc
	v_sub_co_u32_e32 v19, vcc, 0, v19
	v_subb_co_u32_e64 v20, s[10:11], 0, 0, vcc
	v_mov_b32_e32 v34, 0
	v_mov_b32_e32 v32, 0
	;; [unrolled: 1-line block ×8, first 2 shown]
	s_mov_b64 s[8:9], 0
	v_mov_b32_e32 v35, 0
	s_movk_i32 s10, 0x2000
	v_mov_b32_e32 v33, 0
	v_mov_b32_e32 v37, 0
	;; [unrolled: 1-line block ×8, first 2 shown]
.LBB174_27:                             ; =>This Inner Loop Header: Depth=1
	global_load_dword v23, v[17:18], off
	global_load_dwordx4 v[40:43], v[13:14], off offset:48
	global_load_dwordx4 v[44:47], v[13:14], off offset:32
	global_load_dwordx4 v[48:51], v[13:14], off offset:16
	global_load_dwordx4 v[52:55], v[13:14], off
	s_waitcnt vmcnt(4)
	v_subrev_u32_e32 v23, s16, v23
	v_lshlrev_b32_e32 v56, 2, v23
	v_ashrrev_i32_e32 v57, 31, v56
	v_lshlrev_b64 v[56:57], 4, v[56:57]
	s_waitcnt vmcnt(0)
	v_cvt_f64_f32_e32 v[72:73], v52
	v_add_co_u32_e32 v74, vcc, s6, v56
	v_addc_co_u32_e32 v75, vcc, v22, v57, vcc
	global_load_dwordx4 v[56:59], v[74:75], off offset:48
	global_load_dwordx4 v[60:63], v[74:75], off offset:32
	;; [unrolled: 1-line block ×3, first 2 shown]
	global_load_dwordx4 v[68:71], v[74:75], off
	v_cvt_f64_f32_e32 v[52:53], v53
	s_waitcnt vmcnt(0)
	v_fma_f64 v[32:33], v[72:73], v[68:69], v[32:33]
	v_fma_f64 v[34:35], v[52:53], v[68:69], v[34:35]
	v_fma_f64 v[32:33], -v[52:53], v[70:71], v[32:33]
	v_cvt_f64_f32_e32 v[52:53], v54
	v_cvt_f64_f32_e32 v[54:55], v55
	v_fma_f64 v[34:35], v[72:73], v[70:71], v[34:35]
	v_fma_f64 v[38:39], v[52:53], v[68:69], v[38:39]
	;; [unrolled: 1-line block ×3, first 2 shown]
	v_fma_f64 v[38:39], -v[54:55], v[70:71], v[38:39]
	v_fma_f64 v[36:37], v[52:53], v[70:71], v[36:37]
	v_cvt_f64_f32_e32 v[52:53], v48
	v_cvt_f64_f32_e32 v[48:49], v49
	v_fma_f64 v[30:31], v[52:53], v[68:69], v[30:31]
	v_fma_f64 v[23:24], v[48:49], v[68:69], v[24:25]
	v_fma_f64 v[30:31], -v[48:49], v[70:71], v[30:31]
	v_cvt_f64_f32_e32 v[48:49], v50
	v_cvt_f64_f32_e32 v[50:51], v51
	v_fma_f64 v[23:24], v[52:53], v[70:71], v[23:24]
	v_fma_f64 v[28:29], v[48:49], v[68:69], v[28:29]
	;; [unrolled: 1-line block ×3, first 2 shown]
	v_fma_f64 v[28:29], -v[50:51], v[70:71], v[28:29]
	v_fma_f64 v[25:26], v[48:49], v[70:71], v[25:26]
	v_cvt_f64_f32_e32 v[48:49], v44
	v_cvt_f64_f32_e32 v[44:45], v45
	v_fma_f64 v[32:33], v[48:49], v[64:65], v[32:33]
	v_fma_f64 v[50:51], -v[44:45], v[66:67], v[32:33]
	v_fma_f64 v[32:33], v[44:45], v[64:65], v[34:35]
	v_cvt_f64_f32_e32 v[34:35], v47
	v_fma_f64 v[44:45], v[48:49], v[66:67], v[32:33]
	v_cvt_f64_f32_e32 v[32:33], v46
	v_fma_f64 v[38:39], v[32:33], v[64:65], v[38:39]
	v_fma_f64 v[46:47], -v[34:35], v[66:67], v[38:39]
	v_fma_f64 v[34:35], v[34:35], v[64:65], v[36:37]
	v_fma_f64 v[48:49], v[32:33], v[66:67], v[34:35]
	v_cvt_f64_f32_e32 v[32:33], v40
	v_cvt_f64_f32_e32 v[34:35], v41
	v_fma_f64 v[30:31], v[32:33], v[64:65], v[30:31]
	v_fma_f64 v[23:24], v[34:35], v[64:65], v[23:24]
	v_fma_f64 v[40:41], -v[34:35], v[66:67], v[30:31]
	v_fma_f64 v[52:53], v[32:33], v[66:67], v[23:24]
	v_cvt_f64_f32_e32 v[23:24], v42
	v_cvt_f64_f32_e32 v[30:31], v43
	v_fma_f64 v[27:28], v[23:24], v[64:65], v[28:29]
	v_fma_f64 v[25:26], v[30:31], v[64:65], v[25:26]
	v_fma_f64 v[42:43], -v[30:31], v[66:67], v[27:28]
	v_fma_f64 v[54:55], v[23:24], v[66:67], v[25:26]
	global_load_dwordx4 v[24:27], v[13:14], off offset:112
	global_load_dwordx4 v[28:31], v[13:14], off offset:96
	;; [unrolled: 1-line block ×4, first 2 shown]
	v_add_co_u32_e32 v13, vcc, s10, v13
	v_addc_co_u32_e32 v14, vcc, 0, v14, vcc
	v_add_co_u32_e32 v9, vcc, 64, v9
	v_addc_co_u32_e32 v10, vcc, 0, v10, vcc
	;; [unrolled: 2-line block ×4, first 2 shown]
	v_cmp_eq_u64_e32 vcc, 0, v[19:20]
	s_or_b64 s[8:9], vcc, s[8:9]
	s_waitcnt vmcnt(3)
	v_cvt_f64_f32_e32 v[23:24], v24
	s_waitcnt vmcnt(0)
	v_cvt_f64_f32_e32 v[64:65], v36
	v_cvt_f64_f32_e32 v[36:37], v37
	v_fma_f64 v[50:51], v[64:65], v[60:61], v[50:51]
	v_fma_f64 v[50:51], -v[36:37], v[62:63], v[50:51]
	v_fma_f64 v[36:37], v[36:37], v[60:61], v[44:45]
	v_cvt_f64_f32_e32 v[44:45], v38
	v_cvt_f64_f32_e32 v[38:39], v39
	v_fma_f64 v[46:47], v[44:45], v[60:61], v[46:47]
	v_fma_f64 v[36:37], v[64:65], v[62:63], v[36:37]
	v_fma_f64 v[46:47], -v[38:39], v[62:63], v[46:47]
	v_fma_f64 v[38:39], v[38:39], v[60:61], v[48:49]
	v_fma_f64 v[44:45], v[44:45], v[62:63], v[38:39]
	v_cvt_f64_f32_e32 v[38:39], v32
	v_cvt_f64_f32_e32 v[32:33], v33
	v_fma_f64 v[40:41], v[38:39], v[60:61], v[40:41]
	v_fma_f64 v[40:41], -v[32:33], v[62:63], v[40:41]
	v_fma_f64 v[32:33], v[32:33], v[60:61], v[52:53]
	v_fma_f64 v[48:49], v[38:39], v[62:63], v[32:33]
	v_cvt_f64_f32_e32 v[32:33], v34
	v_cvt_f64_f32_e32 v[34:35], v35
	;; [unrolled: 6-line block ×4, first 2 shown]
	v_fma_f64 v[36:37], v[28:29], v[56:57], v[46:47]
	v_fma_f64 v[38:39], -v[30:31], v[58:59], v[36:37]
	v_fma_f64 v[30:31], v[30:31], v[56:57], v[44:45]
	v_fma_f64 v[36:37], v[28:29], v[58:59], v[30:31]
	v_fma_f64 v[30:31], v[23:24], v[56:57], v[40:41]
	v_cvt_f64_f32_e32 v[28:29], v25
	v_cvt_f64_f32_e32 v[40:41], v26
	;; [unrolled: 1-line block ×3, first 2 shown]
	v_fma_f64 v[30:31], -v[28:29], v[58:59], v[30:31]
	v_fma_f64 v[28:29], v[28:29], v[56:57], v[48:49]
	v_fma_f64 v[24:25], v[23:24], v[58:59], v[28:29]
	;; [unrolled: 1-line block ×3, first 2 shown]
	v_fma_f64 v[28:29], -v[26:27], v[58:59], v[28:29]
	v_fma_f64 v[26:27], v[26:27], v[56:57], v[52:53]
	v_fma_f64 v[26:27], v[40:41], v[58:59], v[26:27]
	s_andn2_b64 exec, exec, s[8:9]
	s_cbranch_execnz .LBB174_27
; %bb.28:
	s_or_b64 exec, exec, s[8:9]
.LBB174_29:
	s_or_b64 exec, exec, s[0:1]
	s_mov_b64 s[0:1], 0xbf
	v_cmp_lt_u64_e32 vcc, s[0:1], v[15:16]
	s_and_saveexec_b64 s[8:9], vcc
	s_cbranch_execz .LBB174_33
; %bb.30:
	v_lshlrev_b64 v[15:16], 2, v[9:10]
	v_mov_b32_e32 v17, s13
	v_add_co_u32_e32 v15, vcc, s12, v15
	v_addc_co_u32_e32 v16, vcc, v17, v16, vcc
	v_add_co_u32_e32 v15, vcc, 0x200, v15
	v_addc_co_u32_e32 v16, vcc, 0, v16, vcc
	s_mov_b64 s[10:11], 0
	v_mov_b32_e32 v40, s7
	s_movk_i32 s7, 0x2000
	s_movk_i32 s12, 0x4000
	;; [unrolled: 1-line block ×3, first 2 shown]
.LBB174_31:                             ; =>This Inner Loop Header: Depth=1
	global_load_dword v17, v[15:16], off offset:-512
	s_waitcnt vmcnt(0)
	v_subrev_u32_e32 v17, s16, v17
	v_lshlrev_b32_e32 v22, 2, v17
	v_ashrrev_i32_e32 v23, 31, v22
	global_load_dwordx4 v[17:20], v[13:14], off offset:48
	global_load_dwordx4 v[41:44], v[13:14], off offset:32
	;; [unrolled: 1-line block ×3, first 2 shown]
	global_load_dwordx4 v[49:52], v[13:14], off
	v_lshlrev_b64 v[22:23], 4, v[22:23]
	v_add_co_u32_e32 v22, vcc, s6, v22
	v_addc_co_u32_e32 v23, vcc, v40, v23, vcc
	global_load_dwordx4 v[53:56], v[22:23], off offset:48
	global_load_dwordx4 v[57:60], v[22:23], off offset:32
	;; [unrolled: 1-line block ×3, first 2 shown]
	global_load_dwordx4 v[65:68], v[22:23], off
	s_waitcnt vmcnt(4)
	v_cvt_f64_f32_e32 v[69:70], v49
	v_cvt_f64_f32_e32 v[49:50], v50
	s_waitcnt vmcnt(0)
	v_fma_f64 v[22:23], v[69:70], v[65:66], v[32:33]
	v_fma_f64 v[32:33], v[49:50], v[65:66], v[34:35]
	v_cvt_f64_f32_e32 v[34:35], v51
	v_fma_f64 v[38:39], v[34:35], v[65:66], v[38:39]
	v_fma_f64 v[22:23], -v[49:50], v[67:68], v[22:23]
	v_cvt_f64_f32_e32 v[49:50], v52
	v_fma_f64 v[32:33], v[69:70], v[67:68], v[32:33]
	v_fma_f64 v[36:37], v[49:50], v[65:66], v[36:37]
	v_fma_f64 v[38:39], -v[49:50], v[67:68], v[38:39]
	v_fma_f64 v[34:35], v[34:35], v[67:68], v[36:37]
	v_cvt_f64_f32_e32 v[36:37], v45
	v_cvt_f64_f32_e32 v[45:46], v46
	v_fma_f64 v[30:31], v[36:37], v[65:66], v[30:31]
	v_fma_f64 v[24:25], v[45:46], v[65:66], v[24:25]
	v_fma_f64 v[30:31], -v[45:46], v[67:68], v[30:31]
	v_cvt_f64_f32_e32 v[45:46], v48
	v_fma_f64 v[24:25], v[36:37], v[67:68], v[24:25]
	v_cvt_f64_f32_e32 v[36:37], v47
	v_fma_f64 v[26:27], v[45:46], v[65:66], v[26:27]
	v_fma_f64 v[28:29], v[36:37], v[65:66], v[28:29]
	v_fma_f64 v[26:27], v[36:37], v[67:68], v[26:27]
	v_cvt_f64_f32_e32 v[36:37], v41
	v_cvt_f64_f32_e32 v[41:42], v42
	v_fma_f64 v[28:29], -v[45:46], v[67:68], v[28:29]
	v_fma_f64 v[22:23], v[36:37], v[61:62], v[22:23]
	v_fma_f64 v[45:46], -v[41:42], v[63:64], v[22:23]
	v_fma_f64 v[22:23], v[41:42], v[61:62], v[32:33]
	v_cvt_f64_f32_e32 v[32:33], v44
	v_fma_f64 v[36:37], v[36:37], v[63:64], v[22:23]
	v_cvt_f64_f32_e32 v[22:23], v43
	v_fma_f64 v[38:39], v[22:23], v[61:62], v[38:39]
	v_fma_f64 v[38:39], -v[32:33], v[63:64], v[38:39]
	v_fma_f64 v[32:33], v[32:33], v[61:62], v[34:35]
	v_fma_f64 v[34:35], v[22:23], v[63:64], v[32:33]
	v_cvt_f64_f32_e32 v[22:23], v17
	v_cvt_f64_f32_e32 v[17:18], v18
	v_fma_f64 v[30:31], v[22:23], v[61:62], v[30:31]
	v_fma_f64 v[41:42], -v[17:18], v[63:64], v[30:31]
	v_fma_f64 v[17:18], v[17:18], v[61:62], v[24:25]
	v_fma_f64 v[43:44], v[22:23], v[63:64], v[17:18]
	v_cvt_f64_f32_e32 v[17:18], v19
	v_cvt_f64_f32_e32 v[19:20], v20
	v_fma_f64 v[22:23], v[17:18], v[61:62], v[28:29]
	v_fma_f64 v[47:48], -v[19:20], v[63:64], v[22:23]
	v_fma_f64 v[19:20], v[19:20], v[61:62], v[26:27]
	v_fma_f64 v[49:50], v[17:18], v[63:64], v[19:20]
	global_load_dwordx4 v[17:20], v[13:14], off offset:112
	global_load_dwordx4 v[22:25], v[13:14], off offset:96
	;; [unrolled: 1-line block ×4, first 2 shown]
	s_waitcnt vmcnt(0)
	v_cvt_f64_f32_e32 v[51:52], v30
	v_cvt_f64_f32_e32 v[30:31], v31
	v_fma_f64 v[45:46], v[51:52], v[57:58], v[45:46]
	v_fma_f64 v[45:46], -v[30:31], v[59:60], v[45:46]
	v_fma_f64 v[30:31], v[30:31], v[57:58], v[36:37]
	v_cvt_f64_f32_e32 v[36:37], v32
	v_cvt_f64_f32_e32 v[32:33], v33
	v_fma_f64 v[38:39], v[36:37], v[57:58], v[38:39]
	v_fma_f64 v[30:31], v[51:52], v[59:60], v[30:31]
	v_fma_f64 v[38:39], -v[32:33], v[59:60], v[38:39]
	v_fma_f64 v[32:33], v[32:33], v[57:58], v[34:35]
	v_cvt_f64_f32_e32 v[34:35], v26
	v_cvt_f64_f32_e32 v[26:27], v27
	v_fma_f64 v[32:33], v[36:37], v[59:60], v[32:33]
	v_fma_f64 v[36:37], v[34:35], v[57:58], v[41:42]
	v_fma_f64 v[36:37], -v[26:27], v[59:60], v[36:37]
	v_fma_f64 v[26:27], v[26:27], v[57:58], v[43:44]
	v_fma_f64 v[26:27], v[34:35], v[59:60], v[26:27]
	v_cvt_f64_f32_e32 v[34:35], v28
	v_cvt_f64_f32_e32 v[28:29], v29
	v_fma_f64 v[41:42], v[34:35], v[57:58], v[47:48]
	v_fma_f64 v[41:42], -v[28:29], v[59:60], v[41:42]
	v_fma_f64 v[28:29], v[28:29], v[57:58], v[49:50]
	v_fma_f64 v[28:29], v[34:35], v[59:60], v[28:29]
	v_cvt_f64_f32_e32 v[34:35], v22
	v_cvt_f64_f32_e32 v[22:23], v23
	;; [unrolled: 6-line block ×5, first 2 shown]
	v_fma_f64 v[22:23], v[17:18], v[53:54], v[41:42]
	v_fma_f64 v[67:68], -v[19:20], v[55:56], v[22:23]
	v_fma_f64 v[19:20], v[19:20], v[53:54], v[28:29]
	v_fma_f64 v[53:54], v[17:18], v[55:56], v[19:20]
	global_load_dword v17, v[15:16], off offset:-256
	v_add_co_u32_e32 v55, vcc, s7, v13
	v_addc_co_u32_e32 v56, vcc, 0, v14, vcc
	s_waitcnt vmcnt(0)
	v_subrev_u32_e32 v17, s16, v17
	v_lshlrev_b32_e32 v34, 2, v17
	v_ashrrev_i32_e32 v35, 31, v34
	v_lshlrev_b64 v[34:35], 4, v[34:35]
	global_load_dwordx4 v[17:20], v[55:56], off
	global_load_dwordx4 v[22:25], v[55:56], off offset:48
	global_load_dwordx4 v[26:29], v[55:56], off offset:32
	;; [unrolled: 1-line block ×3, first 2 shown]
	v_add_co_u32_e32 v71, vcc, s6, v34
	v_addc_co_u32_e32 v72, vcc, v40, v35, vcc
	global_load_dwordx4 v[34:37], v[71:72], off offset:48
	global_load_dwordx4 v[41:44], v[71:72], off offset:32
	;; [unrolled: 1-line block ×3, first 2 shown]
	global_load_dwordx4 v[49:52], v[71:72], off
	s_waitcnt vmcnt(7)
	v_cvt_f64_f32_e32 v[69:70], v17
	v_cvt_f64_f32_e32 v[17:18], v18
	s_waitcnt vmcnt(0)
	v_fma_f64 v[57:58], v[69:70], v[49:50], v[57:58]
	v_fma_f64 v[57:58], -v[17:18], v[51:52], v[57:58]
	v_fma_f64 v[17:18], v[17:18], v[49:50], v[59:60]
	v_cvt_f64_f32_e32 v[59:60], v19
	v_cvt_f64_f32_e32 v[19:20], v20
	v_fma_f64 v[38:39], v[59:60], v[49:50], v[38:39]
	v_fma_f64 v[17:18], v[69:70], v[51:52], v[17:18]
	v_fma_f64 v[38:39], -v[19:20], v[51:52], v[38:39]
	v_fma_f64 v[19:20], v[19:20], v[49:50], v[61:62]
	v_fma_f64 v[19:20], v[59:60], v[51:52], v[19:20]
	v_cvt_f64_f32_e32 v[59:60], v30
	v_cvt_f64_f32_e32 v[30:31], v31
	v_fma_f64 v[61:62], v[59:60], v[49:50], v[63:64]
	v_fma_f64 v[61:62], -v[30:31], v[51:52], v[61:62]
	v_fma_f64 v[30:31], v[30:31], v[49:50], v[65:66]
	v_fma_f64 v[30:31], v[59:60], v[51:52], v[30:31]
	v_cvt_f64_f32_e32 v[59:60], v32
	v_cvt_f64_f32_e32 v[32:33], v33
	v_fma_f64 v[63:64], v[59:60], v[49:50], v[67:68]
	v_add_co_u32_e32 v67, vcc, s12, v13
	v_addc_co_u32_e32 v68, vcc, 0, v14, vcc
	v_fma_f64 v[63:64], -v[32:33], v[51:52], v[63:64]
	v_fma_f64 v[32:33], v[32:33], v[49:50], v[53:54]
	v_cvt_f64_f32_e32 v[49:50], v26
	v_cvt_f64_f32_e32 v[26:27], v27
	v_fma_f64 v[17:18], v[26:27], v[45:46], v[17:18]
	v_fma_f64 v[32:33], v[59:60], v[51:52], v[32:33]
	;; [unrolled: 1-line block ×4, first 2 shown]
	v_cvt_f64_f32_e32 v[17:18], v28
	v_fma_f64 v[51:52], -v[26:27], v[47:48], v[51:52]
	v_cvt_f64_f32_e32 v[26:27], v29
	v_fma_f64 v[28:29], v[17:18], v[45:46], v[38:39]
	v_fma_f64 v[19:20], v[26:27], v[45:46], v[19:20]
	v_fma_f64 v[38:39], -v[26:27], v[47:48], v[28:29]
	v_fma_f64 v[53:54], v[17:18], v[47:48], v[19:20]
	v_cvt_f64_f32_e32 v[17:18], v22
	v_cvt_f64_f32_e32 v[19:20], v23
	v_fma_f64 v[22:23], v[17:18], v[45:46], v[61:62]
	v_fma_f64 v[57:58], -v[19:20], v[47:48], v[22:23]
	v_fma_f64 v[19:20], v[19:20], v[45:46], v[30:31]
	v_fma_f64 v[59:60], v[17:18], v[47:48], v[19:20]
	v_cvt_f64_f32_e32 v[17:18], v24
	v_cvt_f64_f32_e32 v[19:20], v25
	v_fma_f64 v[22:23], v[17:18], v[45:46], v[63:64]
	v_fma_f64 v[61:62], -v[19:20], v[47:48], v[22:23]
	v_fma_f64 v[19:20], v[19:20], v[45:46], v[32:33]
	v_fma_f64 v[45:46], v[17:18], v[47:48], v[19:20]
	global_load_dwordx4 v[17:20], v[55:56], off offset:112
	global_load_dwordx4 v[22:25], v[55:56], off offset:96
	;; [unrolled: 1-line block ×4, first 2 shown]
	s_waitcnt vmcnt(0)
	v_cvt_f64_f32_e32 v[47:48], v30
	v_cvt_f64_f32_e32 v[30:31], v31
	v_fma_f64 v[51:52], v[47:48], v[41:42], v[51:52]
	v_fma_f64 v[51:52], -v[30:31], v[43:44], v[51:52]
	v_fma_f64 v[30:31], v[30:31], v[41:42], v[49:50]
	v_fma_f64 v[30:31], v[47:48], v[43:44], v[30:31]
	v_cvt_f64_f32_e32 v[47:48], v32
	v_cvt_f64_f32_e32 v[32:33], v33
	v_fma_f64 v[38:39], v[47:48], v[41:42], v[38:39]
	v_fma_f64 v[38:39], -v[32:33], v[43:44], v[38:39]
	v_fma_f64 v[32:33], v[32:33], v[41:42], v[53:54]
	v_fma_f64 v[32:33], v[47:48], v[43:44], v[32:33]
	;; [unrolled: 6-line block ×3, first 2 shown]
	v_cvt_f64_f32_e32 v[47:48], v28
	v_cvt_f64_f32_e32 v[28:29], v29
	v_fma_f64 v[53:54], v[47:48], v[41:42], v[61:62]
	v_fma_f64 v[53:54], -v[28:29], v[43:44], v[53:54]
	v_fma_f64 v[28:29], v[28:29], v[41:42], v[45:46]
	v_cvt_f64_f32_e32 v[41:42], v22
	v_cvt_f64_f32_e32 v[22:23], v23
	v_fma_f64 v[28:29], v[47:48], v[43:44], v[28:29]
	v_fma_f64 v[43:44], v[41:42], v[34:35], v[51:52]
	v_fma_f64 v[55:56], -v[22:23], v[36:37], v[43:44]
	v_fma_f64 v[22:23], v[22:23], v[34:35], v[30:31]
	v_fma_f64 v[57:58], v[41:42], v[36:37], v[22:23]
	v_cvt_f64_f32_e32 v[22:23], v24
	v_cvt_f64_f32_e32 v[24:25], v25
	v_fma_f64 v[30:31], v[22:23], v[34:35], v[38:39]
	v_fma_f64 v[38:39], -v[24:25], v[36:37], v[30:31]
	v_fma_f64 v[24:25], v[24:25], v[34:35], v[32:33]
	v_fma_f64 v[59:60], v[22:23], v[36:37], v[24:25]
	v_cvt_f64_f32_e32 v[22:23], v17
	v_cvt_f64_f32_e32 v[17:18], v18
	;; [unrolled: 6-line block ×3, first 2 shown]
	v_fma_f64 v[22:23], v[17:18], v[34:35], v[53:54]
	v_fma_f64 v[53:54], -v[19:20], v[36:37], v[22:23]
	v_fma_f64 v[19:20], v[19:20], v[34:35], v[28:29]
	v_fma_f64 v[65:66], v[17:18], v[36:37], v[19:20]
	global_load_dword v17, v[15:16], off
	s_waitcnt vmcnt(0)
	v_subrev_u32_e32 v17, s16, v17
	v_lshlrev_b32_e32 v34, 2, v17
	v_ashrrev_i32_e32 v35, 31, v34
	v_lshlrev_b64 v[34:35], 4, v[34:35]
	global_load_dwordx4 v[17:20], v[67:68], off
	global_load_dwordx4 v[22:25], v[67:68], off offset:48
	global_load_dwordx4 v[26:29], v[67:68], off offset:32
	;; [unrolled: 1-line block ×3, first 2 shown]
	v_add_co_u32_e32 v71, vcc, s6, v34
	v_addc_co_u32_e32 v72, vcc, v40, v35, vcc
	global_load_dwordx4 v[34:37], v[71:72], off offset:48
	global_load_dwordx4 v[41:44], v[71:72], off offset:32
	;; [unrolled: 1-line block ×3, first 2 shown]
	global_load_dwordx4 v[49:52], v[71:72], off
	s_waitcnt vmcnt(7)
	v_cvt_f64_f32_e32 v[69:70], v17
	v_cvt_f64_f32_e32 v[17:18], v18
	s_waitcnt vmcnt(0)
	v_fma_f64 v[55:56], v[69:70], v[49:50], v[55:56]
	v_fma_f64 v[55:56], -v[17:18], v[51:52], v[55:56]
	v_fma_f64 v[17:18], v[17:18], v[49:50], v[57:58]
	v_cvt_f64_f32_e32 v[57:58], v19
	v_cvt_f64_f32_e32 v[19:20], v20
	v_fma_f64 v[38:39], v[57:58], v[49:50], v[38:39]
	v_fma_f64 v[17:18], v[69:70], v[51:52], v[17:18]
	v_add_co_u32_e32 v69, vcc, s13, v13
	v_addc_co_u32_e32 v70, vcc, 0, v14, vcc
	v_fma_f64 v[38:39], -v[19:20], v[51:52], v[38:39]
	v_fma_f64 v[19:20], v[19:20], v[49:50], v[59:60]
	v_fma_f64 v[19:20], v[57:58], v[51:52], v[19:20]
	v_cvt_f64_f32_e32 v[57:58], v30
	v_cvt_f64_f32_e32 v[30:31], v31
	v_fma_f64 v[59:60], v[57:58], v[49:50], v[61:62]
	v_fma_f64 v[59:60], -v[30:31], v[51:52], v[59:60]
	v_fma_f64 v[30:31], v[30:31], v[49:50], v[63:64]
	v_fma_f64 v[30:31], v[57:58], v[51:52], v[30:31]
	v_cvt_f64_f32_e32 v[57:58], v32
	v_cvt_f64_f32_e32 v[32:33], v33
	v_fma_f64 v[53:54], v[57:58], v[49:50], v[53:54]
	v_fma_f64 v[53:54], -v[32:33], v[51:52], v[53:54]
	v_fma_f64 v[32:33], v[32:33], v[49:50], v[65:66]
	v_cvt_f64_f32_e32 v[49:50], v26
	v_cvt_f64_f32_e32 v[26:27], v27
	v_fma_f64 v[17:18], v[26:27], v[45:46], v[17:18]
	v_fma_f64 v[32:33], v[57:58], v[51:52], v[32:33]
	;; [unrolled: 1-line block ×4, first 2 shown]
	v_cvt_f64_f32_e32 v[17:18], v28
	v_fma_f64 v[51:52], -v[26:27], v[47:48], v[51:52]
	v_cvt_f64_f32_e32 v[26:27], v29
	v_fma_f64 v[28:29], v[17:18], v[45:46], v[38:39]
	v_fma_f64 v[19:20], v[26:27], v[45:46], v[19:20]
	v_fma_f64 v[38:39], -v[26:27], v[47:48], v[28:29]
	v_fma_f64 v[55:56], v[17:18], v[47:48], v[19:20]
	v_cvt_f64_f32_e32 v[17:18], v22
	v_cvt_f64_f32_e32 v[19:20], v23
	v_fma_f64 v[22:23], v[17:18], v[45:46], v[59:60]
	v_fma_f64 v[57:58], -v[19:20], v[47:48], v[22:23]
	v_fma_f64 v[19:20], v[19:20], v[45:46], v[30:31]
	v_fma_f64 v[59:60], v[17:18], v[47:48], v[19:20]
	v_cvt_f64_f32_e32 v[17:18], v24
	v_cvt_f64_f32_e32 v[19:20], v25
	v_fma_f64 v[22:23], v[17:18], v[45:46], v[53:54]
	v_fma_f64 v[53:54], -v[19:20], v[47:48], v[22:23]
	v_fma_f64 v[19:20], v[19:20], v[45:46], v[32:33]
	v_fma_f64 v[45:46], v[17:18], v[47:48], v[19:20]
	global_load_dwordx4 v[17:20], v[67:68], off offset:112
	global_load_dwordx4 v[22:25], v[67:68], off offset:96
	;; [unrolled: 1-line block ×4, first 2 shown]
	s_waitcnt vmcnt(0)
	v_cvt_f64_f32_e32 v[47:48], v30
	v_cvt_f64_f32_e32 v[30:31], v31
	v_fma_f64 v[51:52], v[47:48], v[41:42], v[51:52]
	v_fma_f64 v[51:52], -v[30:31], v[43:44], v[51:52]
	v_fma_f64 v[30:31], v[30:31], v[41:42], v[49:50]
	v_fma_f64 v[47:48], v[47:48], v[43:44], v[30:31]
	v_cvt_f64_f32_e32 v[30:31], v32
	v_cvt_f64_f32_e32 v[32:33], v33
	v_fma_f64 v[38:39], v[30:31], v[41:42], v[38:39]
	v_fma_f64 v[38:39], -v[32:33], v[43:44], v[38:39]
	v_fma_f64 v[32:33], v[32:33], v[41:42], v[55:56]
	v_fma_f64 v[49:50], v[30:31], v[43:44], v[32:33]
	;; [unrolled: 6-line block ×5, first 2 shown]
	v_cvt_f64_f32_e32 v[22:23], v24
	v_cvt_f64_f32_e32 v[24:25], v25
	v_fma_f64 v[26:27], v[22:23], v[34:35], v[38:39]
	v_cvt_f64_f32_e32 v[38:39], v19
	v_cvt_f64_f32_e32 v[19:20], v20
	v_fma_f64 v[26:27], -v[24:25], v[36:37], v[26:27]
	v_fma_f64 v[24:25], v[24:25], v[34:35], v[49:50]
	v_fma_f64 v[28:29], v[22:23], v[36:37], v[24:25]
	v_cvt_f64_f32_e32 v[24:25], v17
	v_cvt_f64_f32_e32 v[17:18], v18
	v_fma_f64 v[22:23], v[24:25], v[34:35], v[55:56]
	v_fma_f64 v[22:23], -v[17:18], v[36:37], v[22:23]
	v_fma_f64 v[17:18], v[17:18], v[34:35], v[57:58]
	v_fma_f64 v[24:25], v[24:25], v[36:37], v[17:18]
	;; [unrolled: 1-line block ×3, first 2 shown]
	v_fma_f64 v[17:18], -v[19:20], v[36:37], v[17:18]
	v_fma_f64 v[19:20], v[19:20], v[34:35], v[41:42]
	global_load_dword v34, v[15:16], off offset:256
	v_fma_f64 v[19:20], v[38:39], v[36:37], v[19:20]
	global_load_dwordx4 v[35:38], v[69:70], off
	global_load_dwordx4 v[41:44], v[69:70], off offset:48
	global_load_dwordx4 v[45:48], v[69:70], off offset:32
	;; [unrolled: 1-line block ×3, first 2 shown]
	s_waitcnt vmcnt(4)
	v_subrev_u32_e32 v34, s16, v34
	v_lshlrev_b32_e32 v34, 2, v34
	s_waitcnt vmcnt(3)
	v_cvt_f64_f32_e32 v[71:72], v35
	v_ashrrev_i32_e32 v35, 31, v34
	v_lshlrev_b64 v[34:35], 4, v[34:35]
	v_cvt_f64_f32_e32 v[73:74], v36
	v_add_co_u32_e32 v34, vcc, s6, v34
	v_addc_co_u32_e32 v35, vcc, v40, v35, vcc
	global_load_dwordx4 v[53:56], v[34:35], off offset:48
	global_load_dwordx4 v[57:60], v[34:35], off offset:32
	;; [unrolled: 1-line block ×3, first 2 shown]
	global_load_dwordx4 v[65:68], v[34:35], off
	v_cvt_f64_f32_e32 v[34:35], v37
	v_cvt_f64_f32_e32 v[36:37], v38
	v_add_co_u32_e32 v9, vcc, 0x100, v9
	v_addc_co_u32_e32 v10, vcc, 0, v10, vcc
	v_add_co_u32_e32 v15, vcc, 0x400, v15
	v_addc_co_u32_e32 v16, vcc, 0, v16, vcc
	v_cmp_ge_i64_e64 s[0:1], v[9:10], v[11:12]
	v_add_co_u32_e32 v13, vcc, 0x8000, v13
	v_addc_co_u32_e32 v14, vcc, 0, v14, vcc
	s_or_b64 s[10:11], s[0:1], s[10:11]
	s_waitcnt vmcnt(0)
	v_fma_f64 v[28:29], v[36:37], v[65:66], v[28:29]
	v_fma_f64 v[26:27], v[34:35], v[65:66], v[26:27]
	;; [unrolled: 1-line block ×5, first 2 shown]
	v_cvt_f64_f32_e32 v[34:35], v49
	v_fma_f64 v[26:27], -v[36:37], v[67:68], v[26:27]
	v_cvt_f64_f32_e32 v[36:37], v50
	v_fma_f64 v[30:31], -v[73:74], v[67:68], v[30:31]
	v_fma_f64 v[22:23], v[34:35], v[65:66], v[22:23]
	v_fma_f64 v[32:33], v[71:72], v[67:68], v[32:33]
	;; [unrolled: 1-line block ×3, first 2 shown]
	v_fma_f64 v[22:23], -v[36:37], v[67:68], v[22:23]
	v_cvt_f64_f32_e32 v[36:37], v52
	v_fma_f64 v[24:25], v[34:35], v[67:68], v[24:25]
	v_cvt_f64_f32_e32 v[34:35], v51
	v_fma_f64 v[19:20], v[36:37], v[65:66], v[19:20]
	v_fma_f64 v[17:18], v[34:35], v[65:66], v[17:18]
	;; [unrolled: 1-line block ×3, first 2 shown]
	v_cvt_f64_f32_e32 v[34:35], v45
	v_fma_f64 v[17:18], -v[36:37], v[67:68], v[17:18]
	v_cvt_f64_f32_e32 v[36:37], v46
	v_fma_f64 v[30:31], v[34:35], v[61:62], v[30:31]
	v_fma_f64 v[38:39], -v[36:37], v[63:64], v[30:31]
	v_fma_f64 v[30:31], v[36:37], v[61:62], v[32:33]
	v_cvt_f64_f32_e32 v[32:33], v48
	v_fma_f64 v[34:35], v[34:35], v[63:64], v[30:31]
	v_cvt_f64_f32_e32 v[30:31], v47
	v_fma_f64 v[26:27], v[30:31], v[61:62], v[26:27]
	v_fma_f64 v[36:37], -v[32:33], v[63:64], v[26:27]
	v_fma_f64 v[26:27], v[32:33], v[61:62], v[28:29]
	v_cvt_f64_f32_e32 v[28:29], v42
	v_fma_f64 v[45:46], v[30:31], v[63:64], v[26:27]
	;; [unrolled: 6-line block ×3, first 2 shown]
	v_cvt_f64_f32_e32 v[22:23], v43
	v_fma_f64 v[17:18], v[22:23], v[61:62], v[17:18]
	v_fma_f64 v[43:44], -v[24:25], v[63:64], v[17:18]
	v_fma_f64 v[17:18], v[24:25], v[61:62], v[19:20]
	v_fma_f64 v[49:50], v[22:23], v[63:64], v[17:18]
	global_load_dwordx4 v[17:20], v[69:70], off offset:112
	global_load_dwordx4 v[22:25], v[69:70], off offset:96
	;; [unrolled: 1-line block ×4, first 2 shown]
	s_waitcnt vmcnt(0)
	v_cvt_f64_f32_e32 v[51:52], v30
	v_cvt_f64_f32_e32 v[30:31], v31
	v_fma_f64 v[38:39], v[51:52], v[57:58], v[38:39]
	v_fma_f64 v[38:39], -v[30:31], v[59:60], v[38:39]
	v_fma_f64 v[30:31], v[30:31], v[57:58], v[34:35]
	v_cvt_f64_f32_e32 v[34:35], v32
	v_cvt_f64_f32_e32 v[32:33], v33
	v_fma_f64 v[36:37], v[34:35], v[57:58], v[36:37]
	v_fma_f64 v[30:31], v[51:52], v[59:60], v[30:31]
	v_fma_f64 v[36:37], -v[32:33], v[59:60], v[36:37]
	v_fma_f64 v[32:33], v[32:33], v[57:58], v[45:46]
	v_fma_f64 v[45:46], v[34:35], v[59:60], v[32:33]
	v_cvt_f64_f32_e32 v[32:33], v26
	v_cvt_f64_f32_e32 v[26:27], v27
	v_fma_f64 v[34:35], v[32:33], v[57:58], v[41:42]
	v_fma_f64 v[41:42], -v[26:27], v[59:60], v[34:35]
	v_fma_f64 v[26:27], v[26:27], v[57:58], v[47:48]
	v_fma_f64 v[26:27], v[32:33], v[59:60], v[26:27]
	v_cvt_f64_f32_e32 v[32:33], v28
	v_cvt_f64_f32_e32 v[28:29], v29
	;; [unrolled: 6-line block ×6, first 2 shown]
	v_fma_f64 v[22:23], v[17:18], v[53:54], v[43:44]
	v_fma_f64 v[28:29], -v[19:20], v[55:56], v[22:23]
	v_fma_f64 v[19:20], v[19:20], v[53:54], v[47:48]
	v_fma_f64 v[26:27], v[17:18], v[55:56], v[19:20]
	s_andn2_b64 exec, exec, s[10:11]
	s_cbranch_execnz .LBB174_31
; %bb.32:
	s_or_b64 exec, exec, s[10:11]
.LBB174_33:
	s_or_b64 exec, exec, s[8:9]
.LBB174_34:
	s_or_b64 exec, exec, s[2:3]
.LBB174_35:
	v_mov_b32_dpp v9, v32 row_shr:1 row_mask:0xf bank_mask:0xf
	v_mov_b32_dpp v10, v33 row_shr:1 row_mask:0xf bank_mask:0xf
	v_add_f64 v[9:10], v[32:33], v[9:10]
	v_mov_b32_dpp v11, v34 row_shr:1 row_mask:0xf bank_mask:0xf
	v_mov_b32_dpp v12, v35 row_shr:1 row_mask:0xf bank_mask:0xf
	v_add_f64 v[11:12], v[34:35], v[11:12]
	v_mov_b32_dpp v15, v36 row_shr:1 row_mask:0xf bank_mask:0xf
	v_cmp_eq_u32_e32 vcc, 63, v0
	v_mov_b32_dpp v13, v9 row_shr:2 row_mask:0xf bank_mask:0xf
	v_mov_b32_dpp v14, v10 row_shr:2 row_mask:0xf bank_mask:0xf
	v_add_f64 v[9:10], v[9:10], v[13:14]
	v_mov_b32_dpp v13, v11 row_shr:2 row_mask:0xf bank_mask:0xf
	v_mov_b32_dpp v14, v12 row_shr:2 row_mask:0xf bank_mask:0xf
	v_add_f64 v[11:12], v[11:12], v[13:14]
	;; [unrolled: 3-line block ×5, first 2 shown]
	v_mov_b32_dpp v16, v37 row_shr:1 row_mask:0xf bank_mask:0xf
	v_add_f64 v[15:16], v[36:37], v[15:16]
	v_mov_b32_dpp v17, v13 row_shr:2 row_mask:0xf bank_mask:0xf
	v_mov_b32_dpp v18, v14 row_shr:2 row_mask:0xf bank_mask:0xf
	v_mov_b32_dpp v19, v9 row_shr:8 row_mask:0xf bank_mask:0xc
	v_mov_b32_dpp v20, v10 row_shr:8 row_mask:0xf bank_mask:0xc
	v_add_f64 v[9:10], v[9:10], v[19:20]
	v_add_f64 v[13:14], v[13:14], v[17:18]
	v_mov_b32_dpp v19, v11 row_shr:8 row_mask:0xf bank_mask:0xc
	v_mov_b32_dpp v17, v15 row_shr:2 row_mask:0xf bank_mask:0xf
	;; [unrolled: 1-line block ×3, first 2 shown]
	v_add_f64 v[15:16], v[15:16], v[17:18]
	v_mov_b32_dpp v20, v12 row_shr:8 row_mask:0xf bank_mask:0xc
	v_add_f64 v[11:12], v[11:12], v[19:20]
	v_mov_b32_dpp v17, v9 row_bcast:15 row_mask:0xa bank_mask:0xf
	v_mov_b32_dpp v18, v10 row_bcast:15 row_mask:0xa bank_mask:0xf
	v_add_f64 v[9:10], v[9:10], v[17:18]
	v_mov_b32_dpp v19, v14 row_shr:4 row_mask:0xf bank_mask:0xe
	v_mov_b32_dpp v18, v13 row_shr:4 row_mask:0xf bank_mask:0xe
	v_add_f64 v[13:14], v[13:14], v[18:19]
	v_mov_b32_dpp v19, v16 row_shr:4 row_mask:0xf bank_mask:0xe
	v_mov_b32_dpp v18, v15 row_shr:4 row_mask:0xf bank_mask:0xe
	;; [unrolled: 3-line block ×3, first 2 shown]
	v_add_f64 v[19:20], v[30:31], v[18:19]
	v_mov_b32_dpp v17, v11 row_bcast:15 row_mask:0xa bank_mask:0xf
	v_mov_b32_dpp v22, v13 row_shr:8 row_mask:0xf bank_mask:0xc
	v_mov_b32_dpp v23, v14 row_shr:8 row_mask:0xf bank_mask:0xc
	v_add_f64 v[13:14], v[13:14], v[22:23]
	v_mov_b32_dpp v22, v15 row_shr:8 row_mask:0xf bank_mask:0xc
	v_mov_b32_dpp v23, v16 row_shr:8 row_mask:0xf bank_mask:0xc
	v_add_f64 v[15:16], v[15:16], v[22:23]
	;; [unrolled: 3-line block ×3, first 2 shown]
	v_mov_b32_dpp v18, v12 row_bcast:15 row_mask:0xa bank_mask:0xf
	v_add_f64 v[11:12], v[11:12], v[17:18]
	v_mov_b32_dpp v17, v13 row_bcast:15 row_mask:0xa bank_mask:0xf
	v_mov_b32_dpp v18, v14 row_bcast:15 row_mask:0xa bank_mask:0xf
	v_add_f64 v[13:14], v[13:14], v[17:18]
	v_mov_b32_dpp v17, v15 row_bcast:15 row_mask:0xa bank_mask:0xf
	v_mov_b32_dpp v18, v16 row_bcast:15 row_mask:0xa bank_mask:0xf
	v_add_f64 v[15:16], v[15:16], v[17:18]
	v_mov_b32_dpp v17, v19 row_shr:4 row_mask:0xf bank_mask:0xe
	v_mov_b32_dpp v18, v20 row_shr:4 row_mask:0xf bank_mask:0xe
	v_add_f64 v[32:33], v[19:20], v[17:18]
	v_mov_b32_dpp v36, v24 row_shr:1 row_mask:0xf bank_mask:0xf
	v_mov_b32_dpp v37, v25 row_shr:1 row_mask:0xf bank_mask:0xf
	;; [unrolled: 3-line block ×8, first 2 shown]
	v_add_f64 v[26:27], v[26:27], v[34:35]
	v_mov_b32_dpp v34, v32 row_bcast:15 row_mask:0xa bank_mask:0xf
	v_mov_b32_dpp v35, v24 row_shr:4 row_mask:0xf bank_mask:0xe
	v_mov_b32_dpp v36, v25 row_shr:4 row_mask:0xf bank_mask:0xe
	v_add_f64 v[24:25], v[24:25], v[35:36]
	v_mov_b32_dpp v35, v28 row_shr:4 row_mask:0xf bank_mask:0xe
	v_mov_b32_dpp v36, v29 row_shr:4 row_mask:0xf bank_mask:0xe
	v_add_f64 v[28:29], v[28:29], v[35:36]
	;; [unrolled: 3-line block ×3, first 2 shown]
	v_mov_b32_dpp v35, v33 row_bcast:15 row_mask:0xa bank_mask:0xf
	v_mov_b32_dpp v36, v24 row_shr:8 row_mask:0xf bank_mask:0xc
	v_mov_b32_dpp v37, v25 row_shr:8 row_mask:0xf bank_mask:0xc
	v_add_f64 v[36:37], v[24:25], v[36:37]
	v_mov_b32_dpp v24, v28 row_shr:8 row_mask:0xf bank_mask:0xc
	v_mov_b32_dpp v25, v29 row_shr:8 row_mask:0xf bank_mask:0xc
	v_add_f64 v[28:29], v[28:29], v[24:25]
	;; [unrolled: 3-line block ×3, first 2 shown]
	v_add_f64 v[24:25], v[32:33], v[34:35]
	v_mov_b32_dpp v26, v36 row_bcast:15 row_mask:0xa bank_mask:0xf
	v_mov_b32_dpp v27, v37 row_bcast:15 row_mask:0xa bank_mask:0xf
	v_add_f64 v[26:27], v[36:37], v[26:27]
	v_mov_b32_dpp v32, v28 row_bcast:15 row_mask:0xa bank_mask:0xf
	v_mov_b32_dpp v33, v29 row_bcast:15 row_mask:0xa bank_mask:0xf
	;; [unrolled: 3-line block ×4, first 2 shown]
	v_mov_b32_dpp v22, v11 row_bcast:31 row_mask:0xc bank_mask:0xf
	v_mov_b32_dpp v23, v12 row_bcast:31 row_mask:0xc bank_mask:0xf
	;; [unrolled: 1-line block ×14, first 2 shown]
	s_and_b64 exec, exec, vcc
	s_cbranch_execz .LBB174_8
; %bb.36:
	v_add_f64 v[11:12], v[11:12], v[22:23]
	v_add_f64 v[22:23], v[13:14], v[19:20]
	v_add_f64 v[13:14], v[15:16], v[17:18]
	v_add_f64 v[15:16], v[26:27], v[38:39]
	v_add_f64 v[17:18], v[32:33], v[34:35]
	v_add_f64 v[9:10], v[9:10], v[30:31]
	v_add_f64 v[24:25], v[24:25], v[40:41]
	v_add_f64 v[26:27], v[28:29], v[36:37]
	v_mul_f64 v[19:20], v[11:12], -v[7:8]
	v_mul_f64 v[11:12], v[5:6], v[11:12]
	v_mul_f64 v[28:29], v[13:14], -v[7:8]
	v_mul_f64 v[30:31], v[5:6], v[13:14]
	;; [unrolled: 2-line block ×4, first 2 shown]
	v_cmp_eq_f64_e32 vcc, 0, v[1:2]
	v_cmp_eq_f64_e64 s[0:1], 0, v[3:4]
	v_fma_f64 v[17:18], v[5:6], v[9:10], v[19:20]
	v_fma_f64 v[19:20], v[7:8], v[9:10], v[11:12]
	;; [unrolled: 1-line block ×8, first 2 shown]
	s_load_dwordx2 s[2:3], s[4:5], 0x60
	s_and_b64 s[0:1], vcc, s[0:1]
	v_lshlrev_b32_e32 v21, 2, v21
	s_and_saveexec_b64 s[4:5], s[0:1]
	s_xor_b64 s[0:1], exec, s[4:5]
	s_cbranch_execz .LBB174_38
; %bb.37:
	v_ashrrev_i32_e32 v22, 31, v21
	v_lshlrev_b64 v[0:1], 4, v[21:22]
	s_waitcnt lgkmcnt(0)
	v_mov_b32_e32 v2, s3
	v_add_co_u32_e32 v0, vcc, s2, v0
	v_addc_co_u32_e32 v1, vcc, v2, v1, vcc
	global_store_dwordx4 v[0:1], v[17:20], off
	global_store_dwordx4 v[0:1], v[13:16], off offset:16
	global_store_dwordx4 v[0:1], v[9:12], off offset:32
	;; [unrolled: 1-line block ×3, first 2 shown]
                                        ; implicit-def: $vgpr3_vgpr4
                                        ; implicit-def: $vgpr17_vgpr18
                                        ; implicit-def: $vgpr21
                                        ; implicit-def: $vgpr13_vgpr14
                                        ; implicit-def: $vgpr9_vgpr10
                                        ; implicit-def: $vgpr5_vgpr6
.LBB174_38:
	s_andn2_saveexec_b64 s[0:1], s[0:1]
	s_cbranch_execz .LBB174_8
; %bb.39:
	v_ashrrev_i32_e32 v22, 31, v21
	v_lshlrev_b64 v[21:22], 4, v[21:22]
	s_waitcnt lgkmcnt(0)
	v_mov_b32_e32 v0, s3
	v_add_co_u32_e32 v37, vcc, s2, v21
	v_addc_co_u32_e32 v38, vcc, v0, v22, vcc
	global_load_dwordx4 v[21:24], v[37:38], off
	global_load_dwordx4 v[25:28], v[37:38], off offset:16
	global_load_dwordx4 v[29:32], v[37:38], off offset:32
	;; [unrolled: 1-line block ×3, first 2 shown]
	s_waitcnt vmcnt(3)
	v_fma_f64 v[17:18], v[1:2], v[21:22], v[17:18]
	v_fma_f64 v[19:20], v[3:4], v[21:22], v[19:20]
	s_waitcnt vmcnt(2)
	v_fma_f64 v[13:14], v[1:2], v[25:26], v[13:14]
	v_fma_f64 v[15:16], v[3:4], v[25:26], v[15:16]
	;; [unrolled: 3-line block ×4, first 2 shown]
	v_fma_f64 v[5:6], -v[3:4], v[23:24], v[17:18]
	v_fma_f64 v[7:8], v[1:2], v[23:24], v[19:20]
	v_fma_f64 v[9:10], -v[3:4], v[27:28], v[13:14]
	v_fma_f64 v[11:12], v[1:2], v[27:28], v[15:16]
	v_fma_f64 v[13:14], -v[3:4], v[31:32], v[21:22]
	v_fma_f64 v[15:16], v[1:2], v[31:32], v[25:26]
	v_fma_f64 v[17:18], -v[3:4], v[35:36], v[29:30]
	v_fma_f64 v[19:20], v[1:2], v[35:36], v[33:34]
	global_store_dwordx4 v[37:38], v[5:8], off
	global_store_dwordx4 v[37:38], v[9:12], off offset:16
	global_store_dwordx4 v[37:38], v[13:16], off offset:32
	;; [unrolled: 1-line block ×3, first 2 shown]
	s_endpgm
	.section	.rodata,"a",@progbits
	.p2align	6, 0x0
	.amdhsa_kernel _ZN9rocsparseL18bsrxmvn_4x4_kernelILj128ELj64E21rocsparse_complex_numIdEliS1_IfES2_S2_EEvT3_20rocsparse_direction_NS_24const_host_device_scalarIT1_EES4_PKS4_PKT2_SD_SA_PKT4_PKT5_S8_PT6_21rocsparse_index_base_b
		.amdhsa_group_segment_fixed_size 0
		.amdhsa_private_segment_fixed_size 0
		.amdhsa_kernarg_size 112
		.amdhsa_user_sgpr_count 6
		.amdhsa_user_sgpr_private_segment_buffer 1
		.amdhsa_user_sgpr_dispatch_ptr 0
		.amdhsa_user_sgpr_queue_ptr 0
		.amdhsa_user_sgpr_kernarg_segment_ptr 1
		.amdhsa_user_sgpr_dispatch_id 0
		.amdhsa_user_sgpr_flat_scratch_init 0
		.amdhsa_user_sgpr_private_segment_size 0
		.amdhsa_uses_dynamic_stack 0
		.amdhsa_system_sgpr_private_segment_wavefront_offset 0
		.amdhsa_system_sgpr_workgroup_id_x 1
		.amdhsa_system_sgpr_workgroup_id_y 0
		.amdhsa_system_sgpr_workgroup_id_z 0
		.amdhsa_system_sgpr_workgroup_info 0
		.amdhsa_system_vgpr_workitem_id 0
		.amdhsa_next_free_vgpr 85
		.amdhsa_next_free_sgpr 20
		.amdhsa_reserve_vcc 1
		.amdhsa_reserve_flat_scratch 0
		.amdhsa_float_round_mode_32 0
		.amdhsa_float_round_mode_16_64 0
		.amdhsa_float_denorm_mode_32 3
		.amdhsa_float_denorm_mode_16_64 3
		.amdhsa_dx10_clamp 1
		.amdhsa_ieee_mode 1
		.amdhsa_fp16_overflow 0
		.amdhsa_exception_fp_ieee_invalid_op 0
		.amdhsa_exception_fp_denorm_src 0
		.amdhsa_exception_fp_ieee_div_zero 0
		.amdhsa_exception_fp_ieee_overflow 0
		.amdhsa_exception_fp_ieee_underflow 0
		.amdhsa_exception_fp_ieee_inexact 0
		.amdhsa_exception_int_div_zero 0
	.end_amdhsa_kernel
	.section	.text._ZN9rocsparseL18bsrxmvn_4x4_kernelILj128ELj64E21rocsparse_complex_numIdEliS1_IfES2_S2_EEvT3_20rocsparse_direction_NS_24const_host_device_scalarIT1_EES4_PKS4_PKT2_SD_SA_PKT4_PKT5_S8_PT6_21rocsparse_index_base_b,"axG",@progbits,_ZN9rocsparseL18bsrxmvn_4x4_kernelILj128ELj64E21rocsparse_complex_numIdEliS1_IfES2_S2_EEvT3_20rocsparse_direction_NS_24const_host_device_scalarIT1_EES4_PKS4_PKT2_SD_SA_PKT4_PKT5_S8_PT6_21rocsparse_index_base_b,comdat
.Lfunc_end174:
	.size	_ZN9rocsparseL18bsrxmvn_4x4_kernelILj128ELj64E21rocsparse_complex_numIdEliS1_IfES2_S2_EEvT3_20rocsparse_direction_NS_24const_host_device_scalarIT1_EES4_PKS4_PKT2_SD_SA_PKT4_PKT5_S8_PT6_21rocsparse_index_base_b, .Lfunc_end174-_ZN9rocsparseL18bsrxmvn_4x4_kernelILj128ELj64E21rocsparse_complex_numIdEliS1_IfES2_S2_EEvT3_20rocsparse_direction_NS_24const_host_device_scalarIT1_EES4_PKS4_PKT2_SD_SA_PKT4_PKT5_S8_PT6_21rocsparse_index_base_b
                                        ; -- End function
	.set _ZN9rocsparseL18bsrxmvn_4x4_kernelILj128ELj64E21rocsparse_complex_numIdEliS1_IfES2_S2_EEvT3_20rocsparse_direction_NS_24const_host_device_scalarIT1_EES4_PKS4_PKT2_SD_SA_PKT4_PKT5_S8_PT6_21rocsparse_index_base_b.num_vgpr, 85
	.set _ZN9rocsparseL18bsrxmvn_4x4_kernelILj128ELj64E21rocsparse_complex_numIdEliS1_IfES2_S2_EEvT3_20rocsparse_direction_NS_24const_host_device_scalarIT1_EES4_PKS4_PKT2_SD_SA_PKT4_PKT5_S8_PT6_21rocsparse_index_base_b.num_agpr, 0
	.set _ZN9rocsparseL18bsrxmvn_4x4_kernelILj128ELj64E21rocsparse_complex_numIdEliS1_IfES2_S2_EEvT3_20rocsparse_direction_NS_24const_host_device_scalarIT1_EES4_PKS4_PKT2_SD_SA_PKT4_PKT5_S8_PT6_21rocsparse_index_base_b.numbered_sgpr, 20
	.set _ZN9rocsparseL18bsrxmvn_4x4_kernelILj128ELj64E21rocsparse_complex_numIdEliS1_IfES2_S2_EEvT3_20rocsparse_direction_NS_24const_host_device_scalarIT1_EES4_PKS4_PKT2_SD_SA_PKT4_PKT5_S8_PT6_21rocsparse_index_base_b.num_named_barrier, 0
	.set _ZN9rocsparseL18bsrxmvn_4x4_kernelILj128ELj64E21rocsparse_complex_numIdEliS1_IfES2_S2_EEvT3_20rocsparse_direction_NS_24const_host_device_scalarIT1_EES4_PKS4_PKT2_SD_SA_PKT4_PKT5_S8_PT6_21rocsparse_index_base_b.private_seg_size, 0
	.set _ZN9rocsparseL18bsrxmvn_4x4_kernelILj128ELj64E21rocsparse_complex_numIdEliS1_IfES2_S2_EEvT3_20rocsparse_direction_NS_24const_host_device_scalarIT1_EES4_PKS4_PKT2_SD_SA_PKT4_PKT5_S8_PT6_21rocsparse_index_base_b.uses_vcc, 1
	.set _ZN9rocsparseL18bsrxmvn_4x4_kernelILj128ELj64E21rocsparse_complex_numIdEliS1_IfES2_S2_EEvT3_20rocsparse_direction_NS_24const_host_device_scalarIT1_EES4_PKS4_PKT2_SD_SA_PKT4_PKT5_S8_PT6_21rocsparse_index_base_b.uses_flat_scratch, 0
	.set _ZN9rocsparseL18bsrxmvn_4x4_kernelILj128ELj64E21rocsparse_complex_numIdEliS1_IfES2_S2_EEvT3_20rocsparse_direction_NS_24const_host_device_scalarIT1_EES4_PKS4_PKT2_SD_SA_PKT4_PKT5_S8_PT6_21rocsparse_index_base_b.has_dyn_sized_stack, 0
	.set _ZN9rocsparseL18bsrxmvn_4x4_kernelILj128ELj64E21rocsparse_complex_numIdEliS1_IfES2_S2_EEvT3_20rocsparse_direction_NS_24const_host_device_scalarIT1_EES4_PKS4_PKT2_SD_SA_PKT4_PKT5_S8_PT6_21rocsparse_index_base_b.has_recursion, 0
	.set _ZN9rocsparseL18bsrxmvn_4x4_kernelILj128ELj64E21rocsparse_complex_numIdEliS1_IfES2_S2_EEvT3_20rocsparse_direction_NS_24const_host_device_scalarIT1_EES4_PKS4_PKT2_SD_SA_PKT4_PKT5_S8_PT6_21rocsparse_index_base_b.has_indirect_call, 0
	.section	.AMDGPU.csdata,"",@progbits
; Kernel info:
; codeLenInByte = 11292
; TotalNumSgprs: 24
; NumVgprs: 85
; ScratchSize: 0
; MemoryBound: 0
; FloatMode: 240
; IeeeMode: 1
; LDSByteSize: 0 bytes/workgroup (compile time only)
; SGPRBlocks: 2
; VGPRBlocks: 21
; NumSGPRsForWavesPerEU: 24
; NumVGPRsForWavesPerEU: 85
; Occupancy: 2
; WaveLimiterHint : 1
; COMPUTE_PGM_RSRC2:SCRATCH_EN: 0
; COMPUTE_PGM_RSRC2:USER_SGPR: 6
; COMPUTE_PGM_RSRC2:TRAP_HANDLER: 0
; COMPUTE_PGM_RSRC2:TGID_X_EN: 1
; COMPUTE_PGM_RSRC2:TGID_Y_EN: 0
; COMPUTE_PGM_RSRC2:TGID_Z_EN: 0
; COMPUTE_PGM_RSRC2:TIDIG_COMP_CNT: 0
	.section	.text._ZN9rocsparseL18bsrxmvn_4x4_kernelILj128ELj4E21rocsparse_complex_numIdEllS1_IfES2_S2_EEvT3_20rocsparse_direction_NS_24const_host_device_scalarIT1_EES4_PKS4_PKT2_SD_SA_PKT4_PKT5_S8_PT6_21rocsparse_index_base_b,"axG",@progbits,_ZN9rocsparseL18bsrxmvn_4x4_kernelILj128ELj4E21rocsparse_complex_numIdEllS1_IfES2_S2_EEvT3_20rocsparse_direction_NS_24const_host_device_scalarIT1_EES4_PKS4_PKT2_SD_SA_PKT4_PKT5_S8_PT6_21rocsparse_index_base_b,comdat
	.globl	_ZN9rocsparseL18bsrxmvn_4x4_kernelILj128ELj4E21rocsparse_complex_numIdEllS1_IfES2_S2_EEvT3_20rocsparse_direction_NS_24const_host_device_scalarIT1_EES4_PKS4_PKT2_SD_SA_PKT4_PKT5_S8_PT6_21rocsparse_index_base_b ; -- Begin function _ZN9rocsparseL18bsrxmvn_4x4_kernelILj128ELj4E21rocsparse_complex_numIdEllS1_IfES2_S2_EEvT3_20rocsparse_direction_NS_24const_host_device_scalarIT1_EES4_PKS4_PKT2_SD_SA_PKT4_PKT5_S8_PT6_21rocsparse_index_base_b
	.p2align	8
	.type	_ZN9rocsparseL18bsrxmvn_4x4_kernelILj128ELj4E21rocsparse_complex_numIdEllS1_IfES2_S2_EEvT3_20rocsparse_direction_NS_24const_host_device_scalarIT1_EES4_PKS4_PKT2_SD_SA_PKT4_PKT5_S8_PT6_21rocsparse_index_base_b,@function
_ZN9rocsparseL18bsrxmvn_4x4_kernelILj128ELj4E21rocsparse_complex_numIdEllS1_IfES2_S2_EEvT3_20rocsparse_direction_NS_24const_host_device_scalarIT1_EES4_PKS4_PKT2_SD_SA_PKT4_PKT5_S8_PT6_21rocsparse_index_base_b: ; @_ZN9rocsparseL18bsrxmvn_4x4_kernelILj128ELj4E21rocsparse_complex_numIdEllS1_IfES2_S2_EEvT3_20rocsparse_direction_NS_24const_host_device_scalarIT1_EES4_PKS4_PKT2_SD_SA_PKT4_PKT5_S8_PT6_21rocsparse_index_base_b
; %bb.0:
	s_load_dwordx2 s[0:1], s[4:5], 0x10
	s_load_dwordx2 s[2:3], s[4:5], 0x70
	s_add_u32 s7, s4, 16
	s_addc_u32 s10, s5, 0
	s_add_u32 s11, s4, 0x58
	s_addc_u32 s12, s5, 0
	s_waitcnt lgkmcnt(0)
	s_bitcmp1_b32 s3, 0
	s_cselect_b32 s1, s10, s1
	s_cselect_b32 s0, s7, s0
	v_mov_b32_e32 v1, s0
	v_mov_b32_e32 v2, s1
	flat_load_dwordx4 v[5:8], v[1:2]
	s_load_dwordx2 s[8:9], s[4:5], 0x58
	s_waitcnt lgkmcnt(0)
	s_cselect_b32 s0, s12, s9
	s_cselect_b32 s1, s11, s8
	v_mov_b32_e32 v1, s1
	v_mov_b32_e32 v2, s0
	flat_load_dwordx4 v[1:4], v[1:2]
	s_waitcnt vmcnt(0)
	v_cmp_eq_f64_e32 vcc, 0, v[5:6]
	v_cmp_eq_f64_e64 s[0:1], 0, v[7:8]
	s_and_b64 s[10:11], vcc, s[0:1]
	s_mov_b64 s[0:1], -1
	s_and_saveexec_b64 s[8:9], s[10:11]
	s_cbranch_execz .LBB175_2
; %bb.1:
	s_waitcnt lgkmcnt(0)
	v_cmp_neq_f64_e32 vcc, 1.0, v[1:2]
	v_cmp_neq_f64_e64 s[0:1], 0, v[3:4]
	s_or_b64 s[0:1], vcc, s[0:1]
	s_orn2_b64 s[0:1], s[0:1], exec
.LBB175_2:
	s_or_b64 exec, exec, s[8:9]
	s_and_saveexec_b64 s[8:9], s[0:1]
	s_cbranch_execz .LBB175_8
; %bb.3:
	s_load_dwordx2 s[8:9], s[4:5], 0x28
	v_lshrrev_b32_e32 v9, 2, v0
	v_lshl_or_b32 v11, s6, 5, v9
	v_mov_b32_e32 v12, 0
	s_mov_b64 s[0:1], 0
	s_waitcnt lgkmcnt(0)
	s_cmp_lg_u64 s[8:9], 0
	s_cbranch_scc0 .LBB175_9
; %bb.4:
	s_load_dwordx2 s[6:7], s[4:5], 0x20
                                        ; implicit-def: $vgpr21_vgpr22
                                        ; implicit-def: $vgpr9_vgpr10
	s_waitcnt lgkmcnt(0)
	v_cmp_gt_i64_e32 vcc, s[6:7], v[11:12]
	s_and_saveexec_b64 s[6:7], vcc
	s_xor_b64 s[6:7], exec, s[6:7]
	s_cbranch_execz .LBB175_6
; %bb.5:
	v_lshlrev_b64 v[9:10], 3, v[11:12]
	v_mov_b32_e32 v13, s9
	v_add_co_u32_e32 v9, vcc, s8, v9
	v_addc_co_u32_e32 v10, vcc, v13, v10, vcc
	global_load_dwordx2 v[9:10], v[9:10], off
	s_mov_b32 s3, 0
	s_mov_b64 s[0:1], exec
	s_waitcnt vmcnt(0)
	v_subrev_co_u32_e32 v21, vcc, s2, v9
	v_subbrev_co_u32_e32 v22, vcc, 0, v10, vcc
	v_mov_b32_e32 v10, s3
	v_mov_b32_e32 v9, s2
.LBB175_6:
	s_or_b64 exec, exec, s[6:7]
.LBB175_7:
	s_and_b64 exec, exec, s[0:1]
	s_cbranch_execnz .LBB175_13
.LBB175_8:
	s_endpgm
.LBB175_9:
                                        ; implicit-def: $vgpr21_vgpr22
                                        ; implicit-def: $vgpr9_vgpr10
	s_cbranch_execz .LBB175_7
; %bb.10:
	s_load_dwordx2 s[6:7], s[4:5], 0x0
	s_waitcnt lgkmcnt(0)
	v_cmp_gt_i64_e32 vcc, s[6:7], v[11:12]
	s_and_saveexec_b64 s[6:7], vcc
; %bb.11:
	s_mov_b32 s3, 0
	s_or_b64 s[0:1], s[0:1], exec
; %bb.12:
	s_or_b64 exec, exec, s[6:7]
	v_mov_b32_e32 v10, s3
	v_mov_b32_e32 v22, v12
	;; [unrolled: 1-line block ×4, first 2 shown]
	s_and_b64 exec, exec, s[0:1]
	s_cbranch_execz .LBB175_8
.LBB175_13:
	s_load_dwordx8 s[8:15], s[4:5], 0x30
	v_lshlrev_b64 v[11:12], 3, v[21:22]
	v_and_b32_e32 v0, 3, v0
	s_waitcnt lgkmcnt(0)
	v_mov_b32_e32 v14, s9
	v_add_co_u32_e32 v13, vcc, s8, v11
	v_addc_co_u32_e32 v14, vcc, v14, v12, vcc
	global_load_dwordx2 v[17:18], v[13:14], off
	v_add_co_u32_e32 v13, vcc, 8, v13
	v_addc_co_u32_e32 v14, vcc, 0, v14, vcc
	v_mov_b32_e32 v15, s11
	v_add_co_u32_e32 v11, vcc, s10, v11
	s_cmp_eq_u64 s[10:11], 0
	v_addc_co_u32_e32 v12, vcc, v15, v12, vcc
	s_cselect_b64 vcc, -1, 0
	v_cndmask_b32_e32 v12, v12, v14, vcc
	v_cndmask_b32_e32 v11, v11, v13, vcc
	global_load_dwordx2 v[13:14], v[11:12], off
	s_load_dword s0, s[4:5], 0x8
	s_load_dwordx2 s[6:7], s[4:5], 0x50
	v_mov_b32_e32 v19, s15
	s_waitcnt lgkmcnt(0)
	s_cmp_eq_u32 s0, 1
	s_waitcnt vmcnt(1)
	v_sub_co_u32_e32 v11, vcc, v17, v9
	v_subb_co_u32_e32 v12, vcc, v18, v10, vcc
	v_add_co_u32_e32 v11, vcc, v11, v0
	v_addc_co_u32_e32 v12, vcc, 0, v12, vcc
	v_lshlrev_b64 v[15:16], 7, v[11:12]
	s_waitcnt vmcnt(0)
	v_sub_co_u32_e32 v13, vcc, v13, v9
	v_subb_co_u32_e32 v14, vcc, v14, v10, vcc
	v_cmp_lt_i64_e64 s[0:1], v[11:12], v[13:14]
	v_add_co_u32_e32 v15, vcc, s14, v15
	v_addc_co_u32_e32 v16, vcc, v19, v16, vcc
	s_cbranch_scc1 .LBB175_25
; %bb.14:
	v_mov_b32_e32 v31, 0
	v_mov_b32_e32 v27, 0
	v_mov_b32_e32 v39, 0
	v_mov_b32_e32 v41, 0
	v_mov_b32_e32 v29, 0
	v_mov_b32_e32 v33, 0
	v_mov_b32_e32 v37, 0
	v_mov_b32_e32 v35, 0
	v_mov_b32_e32 v32, 0
	v_mov_b32_e32 v28, 0
	v_mov_b32_e32 v40, 0
	v_mov_b32_e32 v42, 0
	v_mov_b32_e32 v30, 0
	v_mov_b32_e32 v34, 0
	v_mov_b32_e32 v38, 0
	v_mov_b32_e32 v36, 0
	s_and_saveexec_b64 s[8:9], s[0:1]
	s_cbranch_execz .LBB175_24
; %bb.15:
	v_or_b32_e32 v19, 4, v0
	v_sub_co_u32_e32 v19, vcc, v19, v9
	v_subb_co_u32_e32 v20, vcc, 0, v10, vcc
	v_add_co_u32_e32 v19, vcc, v19, v17
	v_addc_co_u32_e32 v20, vcc, v20, v18, vcc
	v_cmp_gt_i64_e32 vcc, v[19:20], v[13:14]
	v_not_b32_e32 v24, v17
	v_cndmask_b32_e32 v20, v14, v20, vcc
	v_cndmask_b32_e32 v19, v13, v19, vcc
	v_sub_co_u32_e32 v25, vcc, v9, v0
	v_subbrev_co_u32_e32 v26, vcc, 0, v10, vcc
	v_not_b32_e32 v23, v18
	v_add_co_u32_e32 v24, vcc, v25, v24
	v_addc_co_u32_e32 v23, vcc, v26, v23, vcc
	v_add_co_u32_e32 v25, vcc, v24, v19
	v_addc_co_u32_e32 v26, vcc, v23, v20, vcc
	v_and_b32_e32 v19, 12, v25
	v_mov_b32_e32 v20, 0
	v_cmp_ne_u64_e32 vcc, 12, v[19:20]
	v_mov_b32_e32 v35, 0
	v_mov_b32_e32 v37, 0
	;; [unrolled: 1-line block ×20, first 2 shown]
	s_and_saveexec_b64 s[10:11], vcc
	s_cbranch_execz .LBB175_19
; %bb.16:
	v_lshrrev_b32_e32 v19, 2, v25
	v_add_u32_e32 v19, 1, v19
	v_and_b32_e32 v23, 3, v19
	v_lshlrev_b64 v[19:20], 3, v[11:12]
	v_mov_b32_e32 v24, s13
	v_add_co_u32_e32 v43, vcc, s12, v19
	v_addc_co_u32_e32 v44, vcc, v24, v20, vcc
	v_sub_co_u32_e32 v45, vcc, 0, v23
	v_mov_b32_e32 v31, 0
	v_mov_b32_e32 v20, v12
	;; [unrolled: 1-line block ×10, first 2 shown]
	s_mov_b64 s[14:15], 0
	v_subb_co_u32_e64 v46, s[2:3], 0, 0, vcc
	v_mov_b32_e32 v32, 0
	s_movk_i32 s16, 0x200
	v_mov_b32_e32 v19, v11
	v_mov_b32_e32 v28, 0
	;; [unrolled: 1-line block ×9, first 2 shown]
.LBB175_17:                             ; =>This Inner Loop Header: Depth=1
	global_load_dwordx2 v[55:56], v[43:44], off
	global_load_dwordx4 v[47:50], v[23:24], off
	global_load_dwordx4 v[51:54], v[23:24], off offset:32
	v_mov_b32_e32 v57, s7
	v_add_co_u32_e64 v19, s[2:3], 4, v19
	v_addc_co_u32_e64 v20, s[2:3], 0, v20, s[2:3]
	v_add_co_u32_e64 v43, s[2:3], 32, v43
	v_addc_co_u32_e64 v44, s[2:3], 0, v44, s[2:3]
	;; [unrolled: 2-line block ×3, first 2 shown]
	v_cmp_eq_u64_e64 s[2:3], 0, v[45:46]
	s_or_b64 s[14:15], s[2:3], s[14:15]
	s_waitcnt vmcnt(2)
	v_sub_co_u32_e32 v55, vcc, v55, v9
	v_subb_co_u32_e32 v56, vcc, v56, v10, vcc
	v_lshlrev_b64 v[55:56], 6, v[55:56]
	s_waitcnt vmcnt(1)
	v_cvt_f64_f32_e32 v[59:60], v47
	v_add_co_u32_e32 v61, vcc, s6, v55
	v_addc_co_u32_e32 v62, vcc, v57, v56, vcc
	global_load_dwordx4 v[55:58], v[61:62], off
	v_cvt_f64_f32_e32 v[47:48], v48
	s_waitcnt vmcnt(0)
	v_fma_f64 v[27:28], v[59:60], v[55:56], v[27:28]
	v_fma_f64 v[31:32], v[47:48], v[55:56], v[31:32]
	v_fma_f64 v[47:48], -v[47:48], v[57:58], v[27:28]
	v_cvt_f64_f32_e32 v[27:28], v51
	v_cvt_f64_f32_e32 v[51:52], v52
	v_fma_f64 v[31:32], v[59:60], v[57:58], v[31:32]
	v_fma_f64 v[41:42], v[27:28], v[55:56], v[41:42]
	;; [unrolled: 1-line block ×3, first 2 shown]
	v_fma_f64 v[51:52], -v[51:52], v[57:58], v[41:42]
	v_fma_f64 v[59:60], v[27:28], v[57:58], v[39:40]
	global_load_dwordx4 v[39:42], v[23:24], off offset:64
	s_waitcnt vmcnt(0)
	v_cvt_f64_f32_e32 v[27:28], v39
	v_cvt_f64_f32_e32 v[39:40], v40
	v_fma_f64 v[33:34], v[27:28], v[55:56], v[33:34]
	v_fma_f64 v[29:30], v[39:40], v[55:56], v[29:30]
	v_fma_f64 v[39:40], -v[39:40], v[57:58], v[33:34]
	v_fma_f64 v[63:64], v[27:28], v[57:58], v[29:30]
	global_load_dwordx4 v[27:30], v[23:24], off offset:96
	s_waitcnt vmcnt(0)
	v_cvt_f64_f32_e32 v[33:34], v27
	v_cvt_f64_f32_e32 v[27:28], v28
	;; [unrolled: 1-line block ×4, first 2 shown]
	v_fma_f64 v[35:36], v[33:34], v[55:56], v[35:36]
	v_fma_f64 v[37:38], v[27:28], v[55:56], v[37:38]
	v_fma_f64 v[55:56], -v[27:28], v[57:58], v[35:36]
	global_load_dwordx4 v[27:30], v[61:62], off offset:16
	v_cvt_f64_f32_e32 v[35:36], v50
	v_fma_f64 v[57:58], v[33:34], v[57:58], v[37:38]
	v_cvt_f64_f32_e32 v[33:34], v49
	v_cvt_f64_f32_e32 v[49:50], v54
	;; [unrolled: 1-line block ×5, first 2 shown]
	s_waitcnt vmcnt(0)
	v_fma_f64 v[31:32], v[35:36], v[27:28], v[31:32]
	v_fma_f64 v[47:48], v[33:34], v[27:28], v[47:48]
	;; [unrolled: 1-line block ×5, first 2 shown]
	v_fma_f64 v[47:48], -v[35:36], v[29:30], v[47:48]
	v_fma_f64 v[35:36], v[53:54], v[27:28], v[39:40]
	v_fma_f64 v[39:40], v[65:66], v[27:28], v[55:56]
	;; [unrolled: 1-line block ×5, first 2 shown]
	v_fma_f64 v[49:50], -v[49:50], v[29:30], v[31:32]
	global_load_dwordx4 v[31:34], v[23:24], off offset:16
	v_fma_f64 v[59:60], -v[41:42], v[29:30], v[35:36]
	v_fma_f64 v[55:56], -v[67:68], v[29:30], v[39:40]
	v_fma_f64 v[53:54], v[53:54], v[29:30], v[37:38]
	v_fma_f64 v[57:58], v[65:66], v[29:30], v[27:28]
	global_load_dwordx4 v[27:30], v[61:62], off offset:32
	global_load_dwordx4 v[35:38], v[23:24], off offset:48
	s_waitcnt vmcnt(2)
	v_cvt_f64_f32_e32 v[39:40], v31
	v_cvt_f64_f32_e32 v[31:32], v32
	s_waitcnt vmcnt(1)
	v_fma_f64 v[41:42], v[39:40], v[27:28], v[47:48]
	v_fma_f64 v[47:48], v[31:32], v[27:28], v[69:70]
	v_fma_f64 v[31:32], -v[31:32], v[29:30], v[41:42]
	s_waitcnt vmcnt(0)
	v_cvt_f64_f32_e32 v[41:42], v35
	v_cvt_f64_f32_e32 v[35:36], v36
	v_fma_f64 v[63:64], v[39:40], v[29:30], v[47:48]
	v_fma_f64 v[39:40], v[41:42], v[27:28], v[49:50]
	;; [unrolled: 1-line block ×3, first 2 shown]
	v_fma_f64 v[51:52], -v[35:36], v[29:30], v[39:40]
	v_fma_f64 v[65:66], v[41:42], v[29:30], v[47:48]
	global_load_dwordx4 v[39:42], v[23:24], off offset:80
	s_waitcnt vmcnt(0)
	v_cvt_f64_f32_e32 v[35:36], v39
	v_cvt_f64_f32_e32 v[39:40], v40
	;; [unrolled: 1-line block ×3, first 2 shown]
	v_fma_f64 v[47:48], v[35:36], v[27:28], v[59:60]
	v_fma_f64 v[49:50], v[39:40], v[27:28], v[53:54]
	v_cvt_f64_f32_e32 v[59:60], v41
	v_fma_f64 v[39:40], -v[39:40], v[29:30], v[47:48]
	v_fma_f64 v[53:54], v[35:36], v[29:30], v[49:50]
	global_load_dwordx4 v[47:50], v[23:24], off offset:112
	v_add_co_u32_e32 v23, vcc, s16, v23
	v_addc_co_u32_e32 v24, vcc, 0, v24, vcc
	s_waitcnt vmcnt(0)
	v_cvt_f64_f32_e32 v[35:36], v47
	v_cvt_f64_f32_e32 v[47:48], v48
	;; [unrolled: 1-line block ×4, first 2 shown]
	v_fma_f64 v[55:56], v[35:36], v[27:28], v[55:56]
	v_fma_f64 v[27:28], v[47:48], v[27:28], v[57:58]
	v_cvt_f64_f32_e32 v[57:58], v38
	v_fma_f64 v[47:48], -v[47:48], v[29:30], v[55:56]
	v_fma_f64 v[29:30], v[35:36], v[29:30], v[27:28]
	v_cvt_f64_f32_e32 v[55:56], v33
	v_cvt_f64_f32_e32 v[27:28], v34
	;; [unrolled: 1-line block ×3, first 2 shown]
	global_load_dwordx4 v[35:38], v[61:62], off offset:48
	s_waitcnt vmcnt(0)
	v_fma_f64 v[31:32], v[55:56], v[35:36], v[31:32]
	v_fma_f64 v[41:42], v[27:28], v[35:36], v[63:64]
	;; [unrolled: 1-line block ×8, first 2 shown]
	v_fma_f64 v[27:28], -v[27:28], v[37:38], v[31:32]
	v_fma_f64 v[31:32], v[55:56], v[37:38], v[41:42]
	v_fma_f64 v[41:42], -v[57:58], v[37:38], v[51:52]
	v_fma_f64 v[39:40], v[33:34], v[37:38], v[61:62]
	;; [unrolled: 2-line block ×4, first 2 shown]
	s_andn2_b64 exec, exec, s[14:15]
	s_cbranch_execnz .LBB175_17
; %bb.18:
	s_or_b64 exec, exec, s[14:15]
.LBB175_19:
	s_or_b64 exec, exec, s[10:11]
	v_cmp_lt_u64_e32 vcc, 11, v[25:26]
	s_and_saveexec_b64 s[2:3], vcc
	s_cbranch_execz .LBB175_23
; %bb.20:
	v_lshlrev_b64 v[25:26], 3, v[19:20]
	v_mov_b32_e32 v43, s13
	v_add_co_u32_e32 v25, vcc, s12, v25
	v_addc_co_u32_e32 v26, vcc, v43, v26, vcc
	v_add_co_u32_e32 v25, vcc, 64, v25
	v_addc_co_u32_e32 v26, vcc, 0, v26, vcc
	s_mov_b64 s[10:11], 0
	v_mov_b32_e32 v45, s7
	s_movk_i32 s14, 0x800
.LBB175_21:                             ; =>This Inner Loop Header: Depth=1
	global_load_dwordx2 v[43:44], v[25:26], off offset:-64
	global_load_dwordx4 v[46:49], v[23:24], off offset:48
	global_load_dwordx4 v[50:53], v[23:24], off offset:32
	;; [unrolled: 1-line block ×3, first 2 shown]
	global_load_dwordx4 v[58:61], v[23:24], off
	s_waitcnt vmcnt(4)
	v_sub_co_u32_e32 v43, vcc, v43, v9
	v_subb_co_u32_e32 v44, vcc, v44, v10, vcc
	v_lshlrev_b64 v[43:44], 6, v[43:44]
	s_waitcnt vmcnt(0)
	v_cvt_f64_f32_e32 v[78:79], v58
	v_add_co_u32_e32 v43, vcc, s6, v43
	v_addc_co_u32_e32 v44, vcc, v45, v44, vcc
	global_load_dwordx4 v[62:65], v[43:44], off offset:48
	global_load_dwordx4 v[66:69], v[43:44], off offset:32
	;; [unrolled: 1-line block ×3, first 2 shown]
	global_load_dwordx4 v[74:77], v[43:44], off
	v_cvt_f64_f32_e32 v[58:59], v59
	v_cvt_f64_f32_e32 v[43:44], v60
	s_waitcnt vmcnt(0)
	v_fma_f64 v[27:28], v[78:79], v[74:75], v[27:28]
	v_fma_f64 v[31:32], v[58:59], v[74:75], v[31:32]
	v_fma_f64 v[27:28], -v[58:59], v[76:77], v[27:28]
	v_fma_f64 v[31:32], v[78:79], v[76:77], v[31:32]
	v_cvt_f64_f32_e32 v[58:59], v61
	v_fma_f64 v[27:28], v[43:44], v[70:71], v[27:28]
	v_fma_f64 v[31:32], v[58:59], v[70:71], v[31:32]
	v_fma_f64 v[27:28], -v[58:59], v[72:73], v[27:28]
	v_fma_f64 v[31:32], v[43:44], v[72:73], v[31:32]
	v_cvt_f64_f32_e32 v[43:44], v54
	v_cvt_f64_f32_e32 v[54:55], v55
	v_fma_f64 v[27:28], v[43:44], v[66:67], v[27:28]
	v_fma_f64 v[31:32], v[54:55], v[66:67], v[31:32]
	v_fma_f64 v[27:28], -v[54:55], v[68:69], v[27:28]
	v_fma_f64 v[31:32], v[43:44], v[68:69], v[31:32]
	v_cvt_f64_f32_e32 v[43:44], v56
	v_cvt_f64_f32_e32 v[54:55], v57
	v_fma_f64 v[27:28], v[43:44], v[62:63], v[27:28]
	v_fma_f64 v[78:79], -v[54:55], v[64:65], v[27:28]
	v_fma_f64 v[27:28], v[54:55], v[62:63], v[31:32]
	v_cvt_f64_f32_e32 v[31:32], v51
	v_fma_f64 v[43:44], v[43:44], v[64:65], v[27:28]
	v_cvt_f64_f32_e32 v[27:28], v50
	v_fma_f64 v[41:42], v[27:28], v[74:75], v[41:42]
	v_fma_f64 v[41:42], -v[31:32], v[76:77], v[41:42]
	v_fma_f64 v[31:32], v[31:32], v[74:75], v[39:40]
	v_cvt_f64_f32_e32 v[39:40], v53
	v_fma_f64 v[27:28], v[27:28], v[76:77], v[31:32]
	v_cvt_f64_f32_e32 v[31:32], v52
	v_fma_f64 v[41:42], v[31:32], v[70:71], v[41:42]
	v_fma_f64 v[27:28], v[39:40], v[70:71], v[27:28]
	v_fma_f64 v[41:42], -v[39:40], v[72:73], v[41:42]
	v_cvt_f64_f32_e32 v[39:40], v47
	v_fma_f64 v[27:28], v[31:32], v[72:73], v[27:28]
	v_cvt_f64_f32_e32 v[31:32], v46
	v_fma_f64 v[41:42], v[31:32], v[66:67], v[41:42]
	v_fma_f64 v[27:28], v[39:40], v[66:67], v[27:28]
	v_fma_f64 v[41:42], -v[39:40], v[68:69], v[41:42]
	;; [unrolled: 6-line block ×3, first 2 shown]
	global_load_dwordx4 v[39:42], v[23:24], off offset:112
	global_load_dwordx4 v[46:49], v[23:24], off offset:96
	global_load_dwordx4 v[50:53], v[23:24], off offset:80
	global_load_dwordx4 v[54:57], v[23:24], off offset:64
	v_fma_f64 v[82:83], v[31:32], v[64:65], v[27:28]
	s_waitcnt vmcnt(0)
	v_cvt_f64_f32_e32 v[31:32], v55
	v_cvt_f64_f32_e32 v[27:28], v54
	v_fma_f64 v[29:30], v[31:32], v[74:75], v[29:30]
	v_fma_f64 v[33:34], v[27:28], v[74:75], v[33:34]
	v_fma_f64 v[27:28], v[27:28], v[76:77], v[29:30]
	v_fma_f64 v[33:34], -v[31:32], v[76:77], v[33:34]
	v_cvt_f64_f32_e32 v[31:32], v57
	v_cvt_f64_f32_e32 v[29:30], v56
	v_fma_f64 v[27:28], v[31:32], v[70:71], v[27:28]
	v_fma_f64 v[33:34], v[29:30], v[70:71], v[33:34]
	v_fma_f64 v[27:28], v[29:30], v[72:73], v[27:28]
	v_fma_f64 v[33:34], -v[31:32], v[72:73], v[33:34]
	;; [unrolled: 6-line block ×3, first 2 shown]
	v_cvt_f64_f32_e32 v[31:32], v53
	v_cvt_f64_f32_e32 v[29:30], v52
	v_fma_f64 v[27:28], v[31:32], v[62:63], v[27:28]
	v_fma_f64 v[33:34], v[29:30], v[62:63], v[33:34]
	;; [unrolled: 1-line block ×3, first 2 shown]
	v_cvt_f64_f32_e32 v[27:28], v46
	v_fma_f64 v[84:85], -v[31:32], v[64:65], v[33:34]
	v_cvt_f64_f32_e32 v[29:30], v47
	v_cvt_f64_f32_e32 v[33:34], v49
	v_fma_f64 v[31:32], v[27:28], v[74:75], v[35:36]
	v_fma_f64 v[31:32], -v[29:30], v[76:77], v[31:32]
	v_fma_f64 v[29:30], v[29:30], v[74:75], v[37:38]
	v_fma_f64 v[27:28], v[27:28], v[76:77], v[29:30]
	v_cvt_f64_f32_e32 v[29:30], v48
	v_fma_f64 v[31:32], v[29:30], v[70:71], v[31:32]
	v_fma_f64 v[27:28], v[33:34], v[70:71], v[27:28]
	v_fma_f64 v[31:32], -v[33:34], v[72:73], v[31:32]
	v_cvt_f64_f32_e32 v[33:34], v40
	v_fma_f64 v[27:28], v[29:30], v[72:73], v[27:28]
	v_cvt_f64_f32_e32 v[29:30], v39
	v_fma_f64 v[31:32], v[29:30], v[66:67], v[31:32]
	v_fma_f64 v[27:28], v[33:34], v[66:67], v[27:28]
	v_fma_f64 v[31:32], -v[33:34], v[68:69], v[31:32]
	v_cvt_f64_f32_e32 v[33:34], v42
	v_fma_f64 v[27:28], v[29:30], v[68:69], v[27:28]
	v_cvt_f64_f32_e32 v[29:30], v41
	v_fma_f64 v[31:32], v[29:30], v[62:63], v[31:32]
	v_fma_f64 v[27:28], v[33:34], v[62:63], v[27:28]
	v_fma_f64 v[66:67], -v[33:34], v[64:65], v[31:32]
	v_fma_f64 v[62:63], v[29:30], v[64:65], v[27:28]
	global_load_dwordx2 v[27:28], v[25:26], off offset:-32
	s_waitcnt vmcnt(0)
	v_sub_co_u32_e32 v46, vcc, v27, v9
	v_subb_co_u32_e32 v47, vcc, v28, v10, vcc
	global_load_dwordx4 v[27:30], v[23:24], off offset:560
	global_load_dwordx4 v[31:34], v[23:24], off offset:544
	;; [unrolled: 1-line block ×4, first 2 shown]
	v_lshlrev_b64 v[46:47], 6, v[46:47]
	v_add_co_u32_e32 v68, vcc, s6, v46
	v_addc_co_u32_e32 v69, vcc, v45, v47, vcc
	global_load_dwordx4 v[46:49], v[68:69], off offset:48
	global_load_dwordx4 v[50:53], v[68:69], off offset:32
	;; [unrolled: 1-line block ×3, first 2 shown]
	global_load_dwordx4 v[58:61], v[68:69], off
	s_waitcnt vmcnt(4)
	v_cvt_f64_f32_e32 v[64:65], v39
	v_cvt_f64_f32_e32 v[39:40], v40
	s_waitcnt vmcnt(0)
	v_fma_f64 v[68:69], v[64:65], v[58:59], v[78:79]
	v_fma_f64 v[68:69], -v[39:40], v[60:61], v[68:69]
	v_fma_f64 v[39:40], v[39:40], v[58:59], v[43:44]
	v_cvt_f64_f32_e32 v[43:44], v41
	v_cvt_f64_f32_e32 v[41:42], v42
	v_fma_f64 v[39:40], v[64:65], v[60:61], v[39:40]
	v_fma_f64 v[64:65], v[43:44], v[54:55], v[68:69]
	;; [unrolled: 1-line block ×3, first 2 shown]
	v_fma_f64 v[64:65], -v[41:42], v[56:57], v[64:65]
	v_cvt_f64_f32_e32 v[41:42], v35
	v_cvt_f64_f32_e32 v[35:36], v36
	v_fma_f64 v[39:40], v[43:44], v[56:57], v[39:40]
	v_fma_f64 v[43:44], v[41:42], v[50:51], v[64:65]
	v_fma_f64 v[43:44], -v[35:36], v[52:53], v[43:44]
	v_fma_f64 v[35:36], v[35:36], v[50:51], v[39:40]
	v_cvt_f64_f32_e32 v[39:40], v37
	v_cvt_f64_f32_e32 v[37:38], v38
	v_fma_f64 v[35:36], v[41:42], v[52:53], v[35:36]
	v_fma_f64 v[41:42], v[39:40], v[46:47], v[43:44]
	;; [unrolled: 1-line block ×3, first 2 shown]
	v_fma_f64 v[64:65], -v[37:38], v[48:49], v[41:42]
	v_fma_f64 v[68:69], v[39:40], v[48:49], v[35:36]
	v_cvt_f64_f32_e32 v[35:36], v31
	v_cvt_f64_f32_e32 v[31:32], v32
	v_fma_f64 v[37:38], v[35:36], v[58:59], v[80:81]
	v_fma_f64 v[37:38], -v[31:32], v[60:61], v[37:38]
	v_fma_f64 v[31:32], v[31:32], v[58:59], v[82:83]
	v_fma_f64 v[31:32], v[35:36], v[60:61], v[31:32]
	v_cvt_f64_f32_e32 v[35:36], v33
	v_cvt_f64_f32_e32 v[33:34], v34
	v_fma_f64 v[37:38], v[35:36], v[54:55], v[37:38]
	v_fma_f64 v[31:32], v[33:34], v[54:55], v[31:32]
	v_fma_f64 v[37:38], -v[33:34], v[56:57], v[37:38]
	v_cvt_f64_f32_e32 v[33:34], v27
	v_cvt_f64_f32_e32 v[27:28], v28
	v_fma_f64 v[31:32], v[35:36], v[56:57], v[31:32]
	v_fma_f64 v[35:36], v[33:34], v[50:51], v[37:38]
	v_fma_f64 v[35:36], -v[27:28], v[52:53], v[35:36]
	v_fma_f64 v[27:28], v[27:28], v[50:51], v[31:32]
	v_cvt_f64_f32_e32 v[31:32], v29
	v_cvt_f64_f32_e32 v[29:30], v30
	v_fma_f64 v[27:28], v[33:34], v[52:53], v[27:28]
	v_fma_f64 v[33:34], v[31:32], v[46:47], v[35:36]
	;; [unrolled: 1-line block ×3, first 2 shown]
	v_fma_f64 v[70:71], -v[29:30], v[48:49], v[33:34]
	v_fma_f64 v[72:73], v[31:32], v[48:49], v[27:28]
	global_load_dwordx4 v[27:30], v[23:24], off offset:624
	global_load_dwordx4 v[31:34], v[23:24], off offset:608
	;; [unrolled: 1-line block ×4, first 2 shown]
	s_waitcnt vmcnt(0)
	v_cvt_f64_f32_e32 v[43:44], v39
	v_cvt_f64_f32_e32 v[39:40], v40
	v_fma_f64 v[74:75], v[43:44], v[58:59], v[84:85]
	v_fma_f64 v[74:75], -v[39:40], v[60:61], v[74:75]
	v_fma_f64 v[39:40], v[39:40], v[58:59], v[86:87]
	v_fma_f64 v[39:40], v[43:44], v[60:61], v[39:40]
	v_cvt_f64_f32_e32 v[43:44], v41
	v_cvt_f64_f32_e32 v[41:42], v42
	v_fma_f64 v[74:75], v[43:44], v[54:55], v[74:75]
	v_fma_f64 v[39:40], v[41:42], v[54:55], v[39:40]
	v_fma_f64 v[74:75], -v[41:42], v[56:57], v[74:75]
	v_cvt_f64_f32_e32 v[41:42], v35
	v_cvt_f64_f32_e32 v[35:36], v36
	v_fma_f64 v[39:40], v[43:44], v[56:57], v[39:40]
	v_fma_f64 v[43:44], v[41:42], v[50:51], v[74:75]
	v_fma_f64 v[43:44], -v[35:36], v[52:53], v[43:44]
	v_fma_f64 v[35:36], v[35:36], v[50:51], v[39:40]
	v_cvt_f64_f32_e32 v[39:40], v37
	v_cvt_f64_f32_e32 v[37:38], v38
	v_fma_f64 v[35:36], v[41:42], v[52:53], v[35:36]
	v_fma_f64 v[41:42], v[39:40], v[46:47], v[43:44]
	;; [unrolled: 1-line block ×3, first 2 shown]
	v_fma_f64 v[74:75], -v[37:38], v[48:49], v[41:42]
	v_fma_f64 v[76:77], v[39:40], v[48:49], v[35:36]
	v_cvt_f64_f32_e32 v[35:36], v31
	v_cvt_f64_f32_e32 v[31:32], v32
	v_fma_f64 v[37:38], v[35:36], v[58:59], v[66:67]
	v_fma_f64 v[37:38], -v[31:32], v[60:61], v[37:38]
	v_fma_f64 v[31:32], v[31:32], v[58:59], v[62:63]
	v_fma_f64 v[31:32], v[35:36], v[60:61], v[31:32]
	v_cvt_f64_f32_e32 v[35:36], v33
	v_cvt_f64_f32_e32 v[33:34], v34
	v_fma_f64 v[37:38], v[35:36], v[54:55], v[37:38]
	v_fma_f64 v[31:32], v[33:34], v[54:55], v[31:32]
	v_fma_f64 v[37:38], -v[33:34], v[56:57], v[37:38]
	v_cvt_f64_f32_e32 v[33:34], v27
	v_cvt_f64_f32_e32 v[27:28], v28
	v_fma_f64 v[31:32], v[35:36], v[56:57], v[31:32]
	v_fma_f64 v[35:36], v[33:34], v[50:51], v[37:38]
	v_fma_f64 v[35:36], -v[27:28], v[52:53], v[35:36]
	v_fma_f64 v[27:28], v[27:28], v[50:51], v[31:32]
	v_cvt_f64_f32_e32 v[31:32], v29
	v_cvt_f64_f32_e32 v[29:30], v30
	v_fma_f64 v[27:28], v[33:34], v[52:53], v[27:28]
	v_fma_f64 v[33:34], v[31:32], v[46:47], v[35:36]
	;; [unrolled: 1-line block ×3, first 2 shown]
	v_fma_f64 v[78:79], -v[29:30], v[48:49], v[33:34]
	v_fma_f64 v[80:81], v[31:32], v[48:49], v[27:28]
	global_load_dwordx2 v[27:28], v[25:26], off
	s_waitcnt vmcnt(0)
	v_sub_co_u32_e32 v31, vcc, v27, v9
	v_subb_co_u32_e32 v32, vcc, v28, v10, vcc
	global_load_dwordx4 v[33:36], v[23:24], off offset:1072
	global_load_dwordx4 v[37:40], v[23:24], off offset:1056
	;; [unrolled: 1-line block ×4, first 2 shown]
	v_lshlrev_b64 v[31:32], 6, v[31:32]
	v_add_co_u32_e32 v31, vcc, s6, v31
	v_addc_co_u32_e32 v32, vcc, v45, v32, vcc
	global_load_dwordx4 v[46:49], v[31:32], off offset:48
	global_load_dwordx4 v[50:53], v[31:32], off offset:32
	;; [unrolled: 1-line block ×3, first 2 shown]
	global_load_dwordx4 v[58:61], v[31:32], off
	s_waitcnt vmcnt(4)
	v_cvt_f64_f32_e32 v[62:63], v41
	v_cvt_f64_f32_e32 v[41:42], v42
	s_waitcnt vmcnt(0)
	v_fma_f64 v[31:32], v[62:63], v[58:59], v[64:65]
	v_fma_f64 v[31:32], -v[41:42], v[60:61], v[31:32]
	v_fma_f64 v[41:42], v[41:42], v[58:59], v[68:69]
	v_fma_f64 v[41:42], v[62:63], v[60:61], v[41:42]
	v_cvt_f64_f32_e32 v[62:63], v43
	v_cvt_f64_f32_e32 v[43:44], v44
	v_fma_f64 v[31:32], v[62:63], v[54:55], v[31:32]
	v_fma_f64 v[41:42], v[43:44], v[54:55], v[41:42]
	v_fma_f64 v[31:32], -v[43:44], v[56:57], v[31:32]
	v_cvt_f64_f32_e32 v[43:44], v27
	v_cvt_f64_f32_e32 v[27:28], v28
	v_fma_f64 v[41:42], v[62:63], v[56:57], v[41:42]
	v_fma_f64 v[31:32], v[43:44], v[50:51], v[31:32]
	v_fma_f64 v[31:32], -v[27:28], v[52:53], v[31:32]
	v_fma_f64 v[27:28], v[27:28], v[50:51], v[41:42]
	v_fma_f64 v[41:42], v[43:44], v[52:53], v[27:28]
	v_cvt_f64_f32_e32 v[43:44], v29
	v_cvt_f64_f32_e32 v[29:30], v30
	v_fma_f64 v[27:28], v[43:44], v[46:47], v[31:32]
	v_fma_f64 v[27:28], -v[29:30], v[48:49], v[27:28]
	v_fma_f64 v[29:30], v[29:30], v[46:47], v[41:42]
	v_fma_f64 v[31:32], v[43:44], v[48:49], v[29:30]
	v_cvt_f64_f32_e32 v[29:30], v37
	v_cvt_f64_f32_e32 v[37:38], v38
	v_fma_f64 v[41:42], v[29:30], v[58:59], v[70:71]
	v_fma_f64 v[41:42], -v[37:38], v[60:61], v[41:42]
	v_fma_f64 v[37:38], v[37:38], v[58:59], v[72:73]
	v_fma_f64 v[29:30], v[29:30], v[60:61], v[37:38]
	v_cvt_f64_f32_e32 v[37:38], v39
	v_cvt_f64_f32_e32 v[39:40], v40
	v_fma_f64 v[41:42], v[37:38], v[54:55], v[41:42]
	v_fma_f64 v[29:30], v[39:40], v[54:55], v[29:30]
	v_fma_f64 v[41:42], -v[39:40], v[56:57], v[41:42]
	v_fma_f64 v[29:30], v[37:38], v[56:57], v[29:30]
	v_cvt_f64_f32_e32 v[37:38], v33
	v_cvt_f64_f32_e32 v[33:34], v34
	v_fma_f64 v[39:40], v[37:38], v[50:51], v[41:42]
	v_fma_f64 v[29:30], v[33:34], v[50:51], v[29:30]
	v_fma_f64 v[39:40], -v[33:34], v[52:53], v[39:40]
	v_cvt_f64_f32_e32 v[33:34], v35
	v_cvt_f64_f32_e32 v[35:36], v36
	v_fma_f64 v[29:30], v[37:38], v[52:53], v[29:30]
	v_fma_f64 v[37:38], v[33:34], v[46:47], v[39:40]
	;; [unrolled: 1-line block ×3, first 2 shown]
	v_fma_f64 v[39:40], -v[35:36], v[48:49], v[37:38]
	global_load_dwordx4 v[35:38], v[23:24], off offset:1136
	global_load_dwordx4 v[62:65], v[23:24], off offset:1120
	;; [unrolled: 1-line block ×4, first 2 shown]
	v_fma_f64 v[41:42], v[33:34], v[48:49], v[29:30]
	s_waitcnt vmcnt(0)
	v_cvt_f64_f32_e32 v[29:30], v70
	v_cvt_f64_f32_e32 v[33:34], v71
	;; [unrolled: 1-line block ×3, first 2 shown]
	v_fma_f64 v[43:44], v[29:30], v[58:59], v[74:75]
	v_fma_f64 v[43:44], -v[33:34], v[60:61], v[43:44]
	v_fma_f64 v[33:34], v[33:34], v[58:59], v[76:77]
	v_fma_f64 v[29:30], v[29:30], v[60:61], v[33:34]
	v_cvt_f64_f32_e32 v[33:34], v72
	v_fma_f64 v[43:44], v[33:34], v[54:55], v[43:44]
	v_fma_f64 v[29:30], v[70:71], v[54:55], v[29:30]
	v_fma_f64 v[43:44], -v[70:71], v[56:57], v[43:44]
	v_fma_f64 v[29:30], v[33:34], v[56:57], v[29:30]
	v_cvt_f64_f32_e32 v[33:34], v66
	v_cvt_f64_f32_e32 v[66:67], v67
	v_fma_f64 v[43:44], v[33:34], v[50:51], v[43:44]
	v_fma_f64 v[29:30], v[66:67], v[50:51], v[29:30]
	v_fma_f64 v[43:44], -v[66:67], v[52:53], v[43:44]
	v_cvt_f64_f32_e32 v[66:67], v68
	v_cvt_f64_f32_e32 v[68:69], v69
	v_fma_f64 v[33:34], v[33:34], v[52:53], v[29:30]
	v_fma_f64 v[29:30], v[66:67], v[46:47], v[43:44]
	v_cvt_f64_f32_e32 v[43:44], v62
	v_cvt_f64_f32_e32 v[62:63], v63
	v_fma_f64 v[33:34], v[68:69], v[46:47], v[33:34]
	v_fma_f64 v[29:30], -v[68:69], v[48:49], v[29:30]
	v_fma_f64 v[33:34], v[66:67], v[48:49], v[33:34]
	v_fma_f64 v[66:67], v[43:44], v[58:59], v[78:79]
	;; [unrolled: 1-line block ×3, first 2 shown]
	v_fma_f64 v[66:67], -v[62:63], v[60:61], v[66:67]
	v_fma_f64 v[43:44], v[43:44], v[60:61], v[58:59]
	v_cvt_f64_f32_e32 v[58:59], v64
	v_cvt_f64_f32_e32 v[60:61], v65
	v_fma_f64 v[62:63], v[58:59], v[54:55], v[66:67]
	v_fma_f64 v[43:44], v[60:61], v[54:55], v[43:44]
	v_cvt_f64_f32_e32 v[54:55], v35
	v_cvt_f64_f32_e32 v[35:36], v36
	v_fma_f64 v[62:63], -v[60:61], v[56:57], v[62:63]
	v_fma_f64 v[43:44], v[58:59], v[56:57], v[43:44]
	v_fma_f64 v[56:57], v[54:55], v[50:51], v[62:63]
	v_fma_f64 v[56:57], -v[35:36], v[52:53], v[56:57]
	v_fma_f64 v[35:36], v[35:36], v[50:51], v[43:44]
	v_cvt_f64_f32_e32 v[50:51], v37
	v_cvt_f64_f32_e32 v[37:38], v38
	v_fma_f64 v[43:44], v[54:55], v[52:53], v[35:36]
	v_fma_f64 v[35:36], v[50:51], v[46:47], v[56:57]
	v_fma_f64 v[35:36], -v[37:38], v[48:49], v[35:36]
	v_fma_f64 v[37:38], v[37:38], v[46:47], v[43:44]
	global_load_dwordx2 v[43:44], v[25:26], off offset:32
	v_fma_f64 v[37:38], v[50:51], v[48:49], v[37:38]
	global_load_dwordx4 v[46:49], v[23:24], off offset:1584
	global_load_dwordx4 v[50:53], v[23:24], off offset:1568
	;; [unrolled: 1-line block ×4, first 2 shown]
	s_waitcnt vmcnt(4)
	v_sub_co_u32_e32 v43, vcc, v43, v9
	v_subb_co_u32_e32 v44, vcc, v44, v10, vcc
	v_lshlrev_b64 v[43:44], 6, v[43:44]
	v_add_co_u32_e32 v43, vcc, s6, v43
	v_addc_co_u32_e32 v44, vcc, v45, v44, vcc
	global_load_dwordx4 v[62:65], v[43:44], off offset:48
	global_load_dwordx4 v[66:69], v[43:44], off offset:32
	;; [unrolled: 1-line block ×3, first 2 shown]
	global_load_dwordx4 v[74:77], v[43:44], off
	s_waitcnt vmcnt(4)
	v_cvt_f64_f32_e32 v[78:79], v58
	v_cvt_f64_f32_e32 v[58:59], v59
	;; [unrolled: 1-line block ×3, first 2 shown]
	s_waitcnt vmcnt(0)
	v_fma_f64 v[31:32], v[58:59], v[74:75], v[31:32]
	v_fma_f64 v[27:28], v[78:79], v[74:75], v[27:28]
	;; [unrolled: 1-line block ×3, first 2 shown]
	v_fma_f64 v[27:28], -v[58:59], v[76:77], v[27:28]
	v_cvt_f64_f32_e32 v[58:59], v61
	v_fma_f64 v[31:32], v[58:59], v[70:71], v[31:32]
	v_fma_f64 v[27:28], v[43:44], v[70:71], v[27:28]
	;; [unrolled: 1-line block ×3, first 2 shown]
	v_fma_f64 v[27:28], -v[58:59], v[72:73], v[27:28]
	v_cvt_f64_f32_e32 v[43:44], v54
	v_cvt_f64_f32_e32 v[54:55], v55
	v_fma_f64 v[31:32], v[54:55], v[66:67], v[31:32]
	v_fma_f64 v[27:28], v[43:44], v[66:67], v[27:28]
	;; [unrolled: 1-line block ×3, first 2 shown]
	v_fma_f64 v[27:28], -v[54:55], v[68:69], v[27:28]
	v_cvt_f64_f32_e32 v[54:55], v57
	v_cvt_f64_f32_e32 v[43:44], v56
	v_fma_f64 v[31:32], v[54:55], v[62:63], v[31:32]
	v_fma_f64 v[27:28], v[43:44], v[62:63], v[27:28]
	;; [unrolled: 1-line block ×3, first 2 shown]
	v_cvt_f64_f32_e32 v[43:44], v50
	v_cvt_f64_f32_e32 v[50:51], v51
	v_fma_f64 v[27:28], -v[54:55], v[64:65], v[27:28]
	v_fma_f64 v[39:40], v[43:44], v[74:75], v[39:40]
	v_fma_f64 v[41:42], v[50:51], v[74:75], v[41:42]
	v_fma_f64 v[39:40], -v[50:51], v[76:77], v[39:40]
	v_fma_f64 v[41:42], v[43:44], v[76:77], v[41:42]
	v_cvt_f64_f32_e32 v[43:44], v52
	v_cvt_f64_f32_e32 v[50:51], v53
	v_fma_f64 v[39:40], v[43:44], v[70:71], v[39:40]
	v_fma_f64 v[41:42], v[50:51], v[70:71], v[41:42]
	v_fma_f64 v[39:40], -v[50:51], v[72:73], v[39:40]
	v_fma_f64 v[41:42], v[43:44], v[72:73], v[41:42]
	v_cvt_f64_f32_e32 v[43:44], v46
	v_cvt_f64_f32_e32 v[46:47], v47
	v_fma_f64 v[39:40], v[43:44], v[66:67], v[39:40]
	v_fma_f64 v[41:42], v[46:47], v[66:67], v[41:42]
	v_fma_f64 v[39:40], -v[46:47], v[68:69], v[39:40]
	v_cvt_f64_f32_e32 v[46:47], v48
	v_fma_f64 v[43:44], v[43:44], v[68:69], v[41:42]
	v_cvt_f64_f32_e32 v[48:49], v49
	v_fma_f64 v[39:40], v[46:47], v[62:63], v[39:40]
	v_fma_f64 v[41:42], -v[48:49], v[64:65], v[39:40]
	v_fma_f64 v[39:40], v[48:49], v[62:63], v[43:44]
	v_fma_f64 v[39:40], v[46:47], v[64:65], v[39:40]
	global_load_dwordx4 v[46:49], v[23:24], off offset:1648
	global_load_dwordx4 v[50:53], v[23:24], off offset:1632
	;; [unrolled: 1-line block ×4, first 2 shown]
	v_add_co_u32_e32 v23, vcc, s14, v23
	v_addc_co_u32_e32 v24, vcc, 0, v24, vcc
	v_add_co_u32_e32 v19, vcc, 16, v19
	v_addc_co_u32_e32 v20, vcc, 0, v20, vcc
	;; [unrolled: 2-line block ×3, first 2 shown]
	v_cmp_ge_i64_e32 vcc, v[19:20], v[13:14]
	s_or_b64 s[10:11], vcc, s[10:11]
	s_waitcnt vmcnt(0)
	v_cvt_f64_f32_e32 v[43:44], v58
	v_cvt_f64_f32_e32 v[58:59], v59
	v_fma_f64 v[29:30], v[43:44], v[74:75], v[29:30]
	v_fma_f64 v[33:34], v[58:59], v[74:75], v[33:34]
	v_fma_f64 v[29:30], -v[58:59], v[76:77], v[29:30]
	v_fma_f64 v[33:34], v[43:44], v[76:77], v[33:34]
	v_cvt_f64_f32_e32 v[43:44], v60
	v_cvt_f64_f32_e32 v[58:59], v61
	v_fma_f64 v[29:30], v[43:44], v[70:71], v[29:30]
	v_fma_f64 v[33:34], v[58:59], v[70:71], v[33:34]
	v_fma_f64 v[29:30], -v[58:59], v[72:73], v[29:30]
	v_fma_f64 v[33:34], v[43:44], v[72:73], v[33:34]
	v_cvt_f64_f32_e32 v[43:44], v54
	v_cvt_f64_f32_e32 v[54:55], v55
	v_fma_f64 v[29:30], v[43:44], v[66:67], v[29:30]
	v_fma_f64 v[33:34], v[54:55], v[66:67], v[33:34]
	v_fma_f64 v[29:30], -v[54:55], v[68:69], v[29:30]
	v_cvt_f64_f32_e32 v[54:55], v56
	v_fma_f64 v[43:44], v[43:44], v[68:69], v[33:34]
	v_cvt_f64_f32_e32 v[56:57], v57
	v_fma_f64 v[29:30], v[54:55], v[62:63], v[29:30]
	v_fma_f64 v[33:34], -v[56:57], v[64:65], v[29:30]
	v_fma_f64 v[29:30], v[56:57], v[62:63], v[43:44]
	v_cvt_f64_f32_e32 v[43:44], v50
	v_cvt_f64_f32_e32 v[50:51], v51
	v_fma_f64 v[35:36], v[43:44], v[74:75], v[35:36]
	v_fma_f64 v[37:38], v[50:51], v[74:75], v[37:38]
	;; [unrolled: 1-line block ×3, first 2 shown]
	v_fma_f64 v[35:36], -v[50:51], v[76:77], v[35:36]
	v_fma_f64 v[37:38], v[43:44], v[76:77], v[37:38]
	v_cvt_f64_f32_e32 v[43:44], v52
	v_cvt_f64_f32_e32 v[50:51], v53
	v_fma_f64 v[35:36], v[43:44], v[70:71], v[35:36]
	v_fma_f64 v[37:38], v[50:51], v[70:71], v[37:38]
	v_fma_f64 v[35:36], -v[50:51], v[72:73], v[35:36]
	v_fma_f64 v[37:38], v[43:44], v[72:73], v[37:38]
	v_cvt_f64_f32_e32 v[43:44], v46
	v_cvt_f64_f32_e32 v[46:47], v47
	v_fma_f64 v[35:36], v[43:44], v[66:67], v[35:36]
	v_fma_f64 v[37:38], v[46:47], v[66:67], v[37:38]
	;; [unrolled: 6-line block ×3, first 2 shown]
	v_fma_f64 v[35:36], -v[46:47], v[64:65], v[35:36]
	v_fma_f64 v[37:38], v[43:44], v[64:65], v[37:38]
	s_andn2_b64 exec, exec, s[10:11]
	s_cbranch_execnz .LBB175_21
; %bb.22:
	s_or_b64 exec, exec, s[10:11]
.LBB175_23:
	s_or_b64 exec, exec, s[2:3]
.LBB175_24:
	s_or_b64 exec, exec, s[8:9]
	s_cbranch_execz .LBB175_26
	s_branch .LBB175_37
.LBB175_25:
                                        ; implicit-def: $vgpr31_vgpr32
                                        ; implicit-def: $vgpr27_vgpr28
                                        ; implicit-def: $vgpr39_vgpr40
                                        ; implicit-def: $vgpr41_vgpr42
                                        ; implicit-def: $vgpr29_vgpr30
                                        ; implicit-def: $vgpr33_vgpr34
                                        ; implicit-def: $vgpr37_vgpr38
                                        ; implicit-def: $vgpr35_vgpr36
.LBB175_26:
	v_mov_b32_e32 v31, 0
	v_mov_b32_e32 v27, 0
	;; [unrolled: 1-line block ×16, first 2 shown]
	s_and_saveexec_b64 s[2:3], s[0:1]
	s_cbranch_execz .LBB175_36
; %bb.27:
	v_or_b32_e32 v19, 4, v0
	v_sub_co_u32_e32 v19, vcc, v19, v9
	v_subb_co_u32_e32 v20, vcc, 0, v10, vcc
	v_add_co_u32_e32 v19, vcc, v19, v17
	v_addc_co_u32_e32 v20, vcc, v20, v18, vcc
	v_cmp_gt_i64_e32 vcc, v[19:20], v[13:14]
	v_not_b32_e32 v17, v17
	v_cndmask_b32_e32 v20, v14, v20, vcc
	v_cndmask_b32_e32 v19, v13, v19, vcc
	v_sub_co_u32_e32 v23, vcc, v9, v0
	v_subbrev_co_u32_e32 v24, vcc, 0, v10, vcc
	v_not_b32_e32 v18, v18
	v_add_co_u32_e32 v17, vcc, v23, v17
	v_addc_co_u32_e32 v18, vcc, v24, v18, vcc
	v_add_co_u32_e32 v17, vcc, v17, v19
	v_addc_co_u32_e32 v18, vcc, v18, v20, vcc
	v_and_b32_e32 v19, 12, v17
	v_mov_b32_e32 v20, 0
	v_cmp_ne_u64_e32 vcc, 12, v[19:20]
	v_mov_b32_e32 v35, 0
	v_mov_b32_e32 v37, 0
	v_mov_b32_e32 v33, 0
	v_mov_b32_e32 v29, 0
	v_mov_b32_e32 v41, 0
	v_mov_b32_e32 v39, 0
	v_mov_b32_e32 v27, 0
	v_mov_b32_e32 v31, 0
	v_mov_b32_e32 v36, 0
	v_mov_b32_e32 v38, 0
	v_mov_b32_e32 v34, 0
	v_mov_b32_e32 v30, 0
	v_mov_b32_e32 v42, 0
	v_mov_b32_e32 v40, 0
	v_mov_b32_e32 v28, 0
	v_mov_b32_e32 v32, 0
	s_and_saveexec_b64 s[0:1], vcc
	s_cbranch_execz .LBB175_31
; %bb.28:
	v_lshrrev_b32_e32 v19, 2, v17
	v_add_u32_e32 v19, 1, v19
	v_and_b32_e32 v23, 3, v19
	v_lshlrev_b64 v[19:20], 3, v[11:12]
	v_mov_b32_e32 v24, s13
	v_add_co_u32_e32 v19, vcc, s12, v19
	v_addc_co_u32_e32 v20, vcc, v24, v20, vcc
	v_sub_co_u32_e32 v23, vcc, 0, v23
	v_subb_co_u32_e64 v24, s[10:11], 0, 0, vcc
	v_mov_b32_e32 v31, 0
	v_mov_b32_e32 v27, 0
	;; [unrolled: 1-line block ×8, first 2 shown]
	s_mov_b64 s[8:9], 0
	v_mov_b32_e32 v32, 0
	v_mov_b32_e32 v28, 0
	;; [unrolled: 1-line block ×8, first 2 shown]
	s_movk_i32 s10, 0x200
.LBB175_29:                             ; =>This Inner Loop Header: Depth=1
	global_load_dwordx2 v[25:26], v[19:20], off
	global_load_dwordx4 v[43:46], v[15:16], off offset:48
	global_load_dwordx4 v[47:50], v[15:16], off offset:32
	;; [unrolled: 1-line block ×3, first 2 shown]
	global_load_dwordx4 v[55:58], v[15:16], off
	v_mov_b32_e32 v59, s7
	s_waitcnt vmcnt(4)
	v_sub_co_u32_e32 v25, vcc, v25, v9
	v_subb_co_u32_e32 v26, vcc, v26, v10, vcc
	v_lshlrev_b64 v[25:26], 6, v[25:26]
	s_waitcnt vmcnt(0)
	v_cvt_f64_f32_e32 v[75:76], v55
	v_add_co_u32_e32 v25, vcc, s6, v25
	v_addc_co_u32_e32 v26, vcc, v59, v26, vcc
	global_load_dwordx4 v[59:62], v[25:26], off offset:48
	global_load_dwordx4 v[63:66], v[25:26], off offset:32
	global_load_dwordx4 v[67:70], v[25:26], off offset:16
	global_load_dwordx4 v[71:74], v[25:26], off
	v_cvt_f64_f32_e32 v[55:56], v56
	s_waitcnt vmcnt(0)
	v_fma_f64 v[25:26], v[75:76], v[71:72], v[27:28]
	v_fma_f64 v[27:28], v[55:56], v[71:72], v[31:32]
	v_cvt_f64_f32_e32 v[31:32], v57
	v_fma_f64 v[41:42], v[31:32], v[71:72], v[41:42]
	v_fma_f64 v[25:26], -v[55:56], v[73:74], v[25:26]
	v_cvt_f64_f32_e32 v[55:56], v58
	v_fma_f64 v[27:28], v[75:76], v[73:74], v[27:28]
	v_fma_f64 v[39:40], v[55:56], v[71:72], v[39:40]
	v_fma_f64 v[41:42], -v[55:56], v[73:74], v[41:42]
	v_fma_f64 v[31:32], v[31:32], v[73:74], v[39:40]
	v_cvt_f64_f32_e32 v[39:40], v51
	v_cvt_f64_f32_e32 v[51:52], v52
	v_fma_f64 v[33:34], v[39:40], v[71:72], v[33:34]
	v_fma_f64 v[29:30], v[51:52], v[71:72], v[29:30]
	v_fma_f64 v[33:34], -v[51:52], v[73:74], v[33:34]
	v_cvt_f64_f32_e32 v[51:52], v54
	v_fma_f64 v[29:30], v[39:40], v[73:74], v[29:30]
	v_cvt_f64_f32_e32 v[39:40], v53
	v_fma_f64 v[37:38], v[51:52], v[71:72], v[37:38]
	v_fma_f64 v[35:36], v[39:40], v[71:72], v[35:36]
	;; [unrolled: 1-line block ×3, first 2 shown]
	v_cvt_f64_f32_e32 v[39:40], v47
	v_cvt_f64_f32_e32 v[47:48], v48
	v_fma_f64 v[35:36], -v[51:52], v[73:74], v[35:36]
	v_fma_f64 v[25:26], v[39:40], v[67:68], v[25:26]
	v_fma_f64 v[27:28], v[47:48], v[67:68], v[27:28]
	v_fma_f64 v[25:26], -v[47:48], v[69:70], v[25:26]
	v_fma_f64 v[47:48], v[39:40], v[69:70], v[27:28]
	v_cvt_f64_f32_e32 v[27:28], v49
	v_cvt_f64_f32_e32 v[39:40], v50
	v_fma_f64 v[41:42], v[27:28], v[67:68], v[41:42]
	v_fma_f64 v[31:32], v[39:40], v[67:68], v[31:32]
	v_fma_f64 v[49:50], -v[39:40], v[69:70], v[41:42]
	v_cvt_f64_f32_e32 v[39:40], v44
	v_fma_f64 v[31:32], v[27:28], v[69:70], v[31:32]
	v_cvt_f64_f32_e32 v[27:28], v43
	v_fma_f64 v[29:30], v[39:40], v[67:68], v[29:30]
	v_fma_f64 v[33:34], v[27:28], v[67:68], v[33:34]
	;; [unrolled: 1-line block ×3, first 2 shown]
	v_cvt_f64_f32_e32 v[27:28], v45
	v_fma_f64 v[51:52], -v[39:40], v[69:70], v[33:34]
	v_cvt_f64_f32_e32 v[29:30], v46
	v_fma_f64 v[33:34], v[27:28], v[67:68], v[35:36]
	v_fma_f64 v[45:46], -v[29:30], v[69:70], v[33:34]
	v_fma_f64 v[29:30], v[29:30], v[67:68], v[37:38]
	v_fma_f64 v[55:56], v[27:28], v[69:70], v[29:30]
	global_load_dwordx4 v[33:36], v[15:16], off offset:112
	global_load_dwordx4 v[27:30], v[15:16], off offset:96
	;; [unrolled: 1-line block ×4, first 2 shown]
	v_add_co_u32_e32 v15, vcc, s10, v15
	v_addc_co_u32_e32 v16, vcc, 0, v16, vcc
	v_add_co_u32_e32 v11, vcc, 4, v11
	v_addc_co_u32_e32 v12, vcc, 0, v12, vcc
	;; [unrolled: 2-line block ×4, first 2 shown]
	v_cmp_eq_u64_e32 vcc, 0, v[23:24]
	s_or_b64 s[8:9], vcc, s[8:9]
	s_waitcnt vmcnt(0)
	v_cvt_f64_f32_e32 v[57:58], v41
	v_cvt_f64_f32_e32 v[41:42], v42
	v_fma_f64 v[25:26], v[57:58], v[63:64], v[25:26]
	v_fma_f64 v[25:26], -v[41:42], v[65:66], v[25:26]
	v_fma_f64 v[41:42], v[41:42], v[63:64], v[47:48]
	v_cvt_f64_f32_e32 v[47:48], v43
	v_cvt_f64_f32_e32 v[43:44], v44
	v_fma_f64 v[49:50], v[47:48], v[63:64], v[49:50]
	v_fma_f64 v[31:32], v[43:44], v[63:64], v[31:32]
	;; [unrolled: 1-line block ×3, first 2 shown]
	v_fma_f64 v[49:50], -v[43:44], v[65:66], v[49:50]
	v_fma_f64 v[43:44], v[47:48], v[65:66], v[31:32]
	v_cvt_f64_f32_e32 v[31:32], v37
	v_cvt_f64_f32_e32 v[37:38], v38
	v_fma_f64 v[47:48], v[31:32], v[63:64], v[51:52]
	v_fma_f64 v[47:48], -v[37:38], v[65:66], v[47:48]
	v_fma_f64 v[37:38], v[37:38], v[63:64], v[53:54]
	v_fma_f64 v[37:38], v[31:32], v[65:66], v[37:38]
	v_cvt_f64_f32_e32 v[31:32], v39
	v_cvt_f64_f32_e32 v[39:40], v40
	v_fma_f64 v[45:46], v[31:32], v[63:64], v[45:46]
	v_fma_f64 v[45:46], -v[39:40], v[65:66], v[45:46]
	v_fma_f64 v[39:40], v[39:40], v[63:64], v[55:56]
	;; [unrolled: 6-line block ×5, first 2 shown]
	v_cvt_f64_f32_e32 v[37:38], v36
	v_fma_f64 v[29:30], v[25:26], v[61:62], v[29:30]
	v_cvt_f64_f32_e32 v[25:26], v35
	v_fma_f64 v[35:36], v[25:26], v[59:60], v[45:46]
	v_fma_f64 v[35:36], -v[37:38], v[61:62], v[35:36]
	v_fma_f64 v[37:38], v[37:38], v[59:60], v[51:52]
	v_fma_f64 v[37:38], v[25:26], v[61:62], v[37:38]
	s_andn2_b64 exec, exec, s[8:9]
	s_cbranch_execnz .LBB175_29
; %bb.30:
	s_or_b64 exec, exec, s[8:9]
.LBB175_31:
	s_or_b64 exec, exec, s[0:1]
	v_cmp_lt_u64_e32 vcc, 11, v[17:18]
	s_and_saveexec_b64 s[0:1], vcc
	s_cbranch_execz .LBB175_35
; %bb.32:
	v_lshlrev_b64 v[17:18], 3, v[11:12]
	v_mov_b32_e32 v19, s13
	v_add_co_u32_e32 v17, vcc, s12, v17
	v_addc_co_u32_e32 v18, vcc, v19, v18, vcc
	v_add_co_u32_e32 v17, vcc, 64, v17
	v_addc_co_u32_e32 v18, vcc, 0, v18, vcc
	s_mov_b64 s[8:9], 0
	v_mov_b32_e32 v43, s7
	s_movk_i32 s7, 0x800
.LBB175_33:                             ; =>This Inner Loop Header: Depth=1
	global_load_dwordx2 v[19:20], v[17:18], off offset:-64
	global_load_dwordx4 v[23:26], v[15:16], off offset:48
	global_load_dwordx4 v[44:47], v[15:16], off offset:32
	;; [unrolled: 1-line block ×3, first 2 shown]
	global_load_dwordx4 v[52:55], v[15:16], off
	s_waitcnt vmcnt(4)
	v_sub_co_u32_e32 v19, vcc, v19, v9
	v_subb_co_u32_e32 v20, vcc, v20, v10, vcc
	v_lshlrev_b64 v[19:20], 6, v[19:20]
	s_waitcnt vmcnt(0)
	v_cvt_f64_f32_e32 v[72:73], v52
	v_add_co_u32_e32 v19, vcc, s6, v19
	v_addc_co_u32_e32 v20, vcc, v43, v20, vcc
	global_load_dwordx4 v[56:59], v[19:20], off offset:48
	global_load_dwordx4 v[60:63], v[19:20], off offset:32
	global_load_dwordx4 v[64:67], v[19:20], off offset:16
	global_load_dwordx4 v[68:71], v[19:20], off
	v_cvt_f64_f32_e32 v[52:53], v53
	s_waitcnt vmcnt(0)
	v_fma_f64 v[19:20], v[72:73], v[68:69], v[27:28]
	v_fma_f64 v[27:28], v[52:53], v[68:69], v[31:32]
	v_cvt_f64_f32_e32 v[31:32], v54
	v_fma_f64 v[41:42], v[31:32], v[68:69], v[41:42]
	v_fma_f64 v[19:20], -v[52:53], v[70:71], v[19:20]
	v_cvt_f64_f32_e32 v[52:53], v55
	v_fma_f64 v[27:28], v[72:73], v[70:71], v[27:28]
	v_fma_f64 v[39:40], v[52:53], v[68:69], v[39:40]
	v_fma_f64 v[41:42], -v[52:53], v[70:71], v[41:42]
	v_fma_f64 v[31:32], v[31:32], v[70:71], v[39:40]
	v_cvt_f64_f32_e32 v[39:40], v48
	v_cvt_f64_f32_e32 v[48:49], v49
	v_fma_f64 v[33:34], v[39:40], v[68:69], v[33:34]
	v_fma_f64 v[29:30], v[48:49], v[68:69], v[29:30]
	v_fma_f64 v[33:34], -v[48:49], v[70:71], v[33:34]
	v_cvt_f64_f32_e32 v[48:49], v51
	v_fma_f64 v[29:30], v[39:40], v[70:71], v[29:30]
	v_cvt_f64_f32_e32 v[39:40], v50
	v_fma_f64 v[37:38], v[48:49], v[68:69], v[37:38]
	v_fma_f64 v[35:36], v[39:40], v[68:69], v[35:36]
	;; [unrolled: 1-line block ×3, first 2 shown]
	v_cvt_f64_f32_e32 v[39:40], v44
	v_cvt_f64_f32_e32 v[44:45], v45
	v_fma_f64 v[35:36], -v[48:49], v[70:71], v[35:36]
	v_fma_f64 v[19:20], v[39:40], v[64:65], v[19:20]
	v_fma_f64 v[27:28], v[44:45], v[64:65], v[27:28]
	v_fma_f64 v[19:20], -v[44:45], v[66:67], v[19:20]
	v_fma_f64 v[39:40], v[39:40], v[66:67], v[27:28]
	v_cvt_f64_f32_e32 v[27:28], v46
	v_cvt_f64_f32_e32 v[44:45], v47
	v_fma_f64 v[41:42], v[27:28], v[64:65], v[41:42]
	v_fma_f64 v[31:32], v[44:45], v[64:65], v[31:32]
	v_fma_f64 v[41:42], -v[44:45], v[66:67], v[41:42]
	v_fma_f64 v[44:45], v[27:28], v[66:67], v[31:32]
	v_cvt_f64_f32_e32 v[27:28], v23
	v_cvt_f64_f32_e32 v[23:24], v24
	v_fma_f64 v[31:32], v[27:28], v[64:65], v[33:34]
	v_fma_f64 v[46:47], -v[23:24], v[66:67], v[31:32]
	v_fma_f64 v[23:24], v[23:24], v[64:65], v[29:30]
	v_fma_f64 v[48:49], v[27:28], v[66:67], v[23:24]
	v_cvt_f64_f32_e32 v[23:24], v25
	v_cvt_f64_f32_e32 v[25:26], v26
	v_fma_f64 v[27:28], v[23:24], v[64:65], v[35:36]
	v_fma_f64 v[50:51], -v[25:26], v[66:67], v[27:28]
	v_fma_f64 v[25:26], v[25:26], v[64:65], v[37:38]
	v_fma_f64 v[52:53], v[23:24], v[66:67], v[25:26]
	global_load_dwordx4 v[23:26], v[15:16], off offset:112
	global_load_dwordx4 v[27:30], v[15:16], off offset:96
	;; [unrolled: 1-line block ×4, first 2 shown]
	s_waitcnt vmcnt(0)
	v_cvt_f64_f32_e32 v[54:55], v35
	v_cvt_f64_f32_e32 v[35:36], v36
	v_fma_f64 v[19:20], v[54:55], v[60:61], v[19:20]
	v_fma_f64 v[19:20], -v[35:36], v[62:63], v[19:20]
	v_fma_f64 v[35:36], v[35:36], v[60:61], v[39:40]
	v_cvt_f64_f32_e32 v[39:40], v37
	v_cvt_f64_f32_e32 v[37:38], v38
	v_fma_f64 v[41:42], v[39:40], v[60:61], v[41:42]
	v_fma_f64 v[35:36], v[54:55], v[62:63], v[35:36]
	v_fma_f64 v[41:42], -v[37:38], v[62:63], v[41:42]
	v_fma_f64 v[37:38], v[37:38], v[60:61], v[44:45]
	v_fma_f64 v[37:38], v[39:40], v[62:63], v[37:38]
	v_cvt_f64_f32_e32 v[39:40], v31
	v_cvt_f64_f32_e32 v[31:32], v32
	v_fma_f64 v[44:45], v[39:40], v[60:61], v[46:47]
	v_fma_f64 v[44:45], -v[31:32], v[62:63], v[44:45]
	v_fma_f64 v[31:32], v[31:32], v[60:61], v[48:49]
	v_fma_f64 v[31:32], v[39:40], v[62:63], v[31:32]
	v_cvt_f64_f32_e32 v[39:40], v33
	v_cvt_f64_f32_e32 v[33:34], v34
	;; [unrolled: 6-line block ×6, first 2 shown]
	v_fma_f64 v[27:28], v[23:24], v[56:57], v[46:47]
	v_fma_f64 v[70:71], -v[25:26], v[58:59], v[27:28]
	v_fma_f64 v[25:26], v[25:26], v[56:57], v[33:34]
	v_fma_f64 v[56:57], v[23:24], v[58:59], v[25:26]
	global_load_dwordx2 v[23:24], v[17:18], off offset:-32
	s_waitcnt vmcnt(0)
	v_sub_co_u32_e32 v39, vcc, v23, v9
	v_subb_co_u32_e32 v40, vcc, v24, v10, vcc
	global_load_dwordx4 v[23:26], v[15:16], off offset:560
	global_load_dwordx4 v[27:30], v[15:16], off offset:544
	;; [unrolled: 1-line block ×4, first 2 shown]
	v_lshlrev_b64 v[39:40], 6, v[39:40]
	v_add_co_u32_e32 v72, vcc, s6, v39
	v_addc_co_u32_e32 v73, vcc, v43, v40, vcc
	global_load_dwordx4 v[39:42], v[72:73], off offset:48
	global_load_dwordx4 v[44:47], v[72:73], off offset:32
	;; [unrolled: 1-line block ×3, first 2 shown]
	global_load_dwordx4 v[52:55], v[72:73], off
	s_waitcnt vmcnt(4)
	v_cvt_f64_f32_e32 v[58:59], v35
	v_cvt_f64_f32_e32 v[35:36], v36
	s_waitcnt vmcnt(0)
	v_fma_f64 v[19:20], v[58:59], v[52:53], v[19:20]
	v_fma_f64 v[19:20], -v[35:36], v[54:55], v[19:20]
	v_fma_f64 v[35:36], v[35:36], v[52:53], v[60:61]
	v_fma_f64 v[35:36], v[58:59], v[54:55], v[35:36]
	v_cvt_f64_f32_e32 v[58:59], v37
	v_cvt_f64_f32_e32 v[37:38], v38
	v_fma_f64 v[60:61], v[58:59], v[52:53], v[62:63]
	v_fma_f64 v[60:61], -v[37:38], v[54:55], v[60:61]
	v_fma_f64 v[37:38], v[37:38], v[52:53], v[64:65]
	v_fma_f64 v[37:38], v[58:59], v[54:55], v[37:38]
	v_cvt_f64_f32_e32 v[58:59], v31
	v_cvt_f64_f32_e32 v[31:32], v32
	;; [unrolled: 6-line block ×3, first 2 shown]
	v_fma_f64 v[64:65], v[58:59], v[52:53], v[70:71]
	v_fma_f64 v[64:65], -v[33:34], v[54:55], v[64:65]
	v_fma_f64 v[33:34], v[33:34], v[52:53], v[56:57]
	v_cvt_f64_f32_e32 v[52:53], v27
	v_cvt_f64_f32_e32 v[27:28], v28
	v_fma_f64 v[19:20], v[52:53], v[48:49], v[19:20]
	v_fma_f64 v[33:34], v[58:59], v[54:55], v[33:34]
	v_fma_f64 v[19:20], -v[27:28], v[50:51], v[19:20]
	v_fma_f64 v[27:28], v[27:28], v[48:49], v[35:36]
	v_fma_f64 v[52:53], v[52:53], v[50:51], v[27:28]
	v_cvt_f64_f32_e32 v[27:28], v29
	v_cvt_f64_f32_e32 v[29:30], v30
	v_fma_f64 v[35:36], v[27:28], v[48:49], v[60:61]
	v_fma_f64 v[54:55], -v[29:30], v[50:51], v[35:36]
	v_fma_f64 v[29:30], v[29:30], v[48:49], v[37:38]
	v_fma_f64 v[56:57], v[27:28], v[50:51], v[29:30]
	v_cvt_f64_f32_e32 v[27:28], v23
	v_cvt_f64_f32_e32 v[23:24], v24
	;; [unrolled: 6-line block ×3, first 2 shown]
	v_fma_f64 v[27:28], v[23:24], v[48:49], v[64:65]
	v_fma_f64 v[62:63], -v[25:26], v[50:51], v[27:28]
	v_fma_f64 v[25:26], v[25:26], v[48:49], v[33:34]
	v_fma_f64 v[48:49], v[23:24], v[50:51], v[25:26]
	global_load_dwordx4 v[23:26], v[15:16], off offset:624
	global_load_dwordx4 v[27:30], v[15:16], off offset:608
	;; [unrolled: 1-line block ×4, first 2 shown]
	s_waitcnt vmcnt(0)
	v_cvt_f64_f32_e32 v[50:51], v35
	v_cvt_f64_f32_e32 v[35:36], v36
	v_fma_f64 v[19:20], v[50:51], v[44:45], v[19:20]
	v_fma_f64 v[19:20], -v[35:36], v[46:47], v[19:20]
	v_fma_f64 v[35:36], v[35:36], v[44:45], v[52:53]
	v_fma_f64 v[35:36], v[50:51], v[46:47], v[35:36]
	v_cvt_f64_f32_e32 v[50:51], v37
	v_cvt_f64_f32_e32 v[37:38], v38
	v_fma_f64 v[52:53], v[50:51], v[44:45], v[54:55]
	v_fma_f64 v[52:53], -v[37:38], v[46:47], v[52:53]
	v_fma_f64 v[37:38], v[37:38], v[44:45], v[56:57]
	v_fma_f64 v[37:38], v[50:51], v[46:47], v[37:38]
	;; [unrolled: 6-line block ×3, first 2 shown]
	v_cvt_f64_f32_e32 v[50:51], v33
	v_cvt_f64_f32_e32 v[33:34], v34
	v_fma_f64 v[56:57], v[50:51], v[44:45], v[62:63]
	v_fma_f64 v[56:57], -v[33:34], v[46:47], v[56:57]
	v_fma_f64 v[33:34], v[33:34], v[44:45], v[48:49]
	v_cvt_f64_f32_e32 v[44:45], v27
	v_cvt_f64_f32_e32 v[27:28], v28
	v_fma_f64 v[19:20], v[44:45], v[39:40], v[19:20]
	v_fma_f64 v[33:34], v[50:51], v[46:47], v[33:34]
	v_fma_f64 v[19:20], -v[27:28], v[41:42], v[19:20]
	v_fma_f64 v[27:28], v[27:28], v[39:40], v[35:36]
	v_fma_f64 v[58:59], v[44:45], v[41:42], v[27:28]
	v_cvt_f64_f32_e32 v[27:28], v29
	v_cvt_f64_f32_e32 v[29:30], v30
	v_fma_f64 v[35:36], v[27:28], v[39:40], v[52:53]
	v_fma_f64 v[60:61], -v[29:30], v[41:42], v[35:36]
	v_fma_f64 v[29:30], v[29:30], v[39:40], v[37:38]
	v_fma_f64 v[62:63], v[27:28], v[41:42], v[29:30]
	v_cvt_f64_f32_e32 v[27:28], v23
	v_cvt_f64_f32_e32 v[23:24], v24
	;; [unrolled: 6-line block ×3, first 2 shown]
	v_fma_f64 v[27:28], v[23:24], v[39:40], v[56:57]
	v_fma_f64 v[56:57], -v[25:26], v[41:42], v[27:28]
	v_fma_f64 v[25:26], v[25:26], v[39:40], v[33:34]
	v_fma_f64 v[68:69], v[23:24], v[41:42], v[25:26]
	global_load_dwordx2 v[23:24], v[17:18], off
	s_waitcnt vmcnt(0)
	v_sub_co_u32_e32 v39, vcc, v23, v9
	v_subb_co_u32_e32 v40, vcc, v24, v10, vcc
	global_load_dwordx4 v[23:26], v[15:16], off offset:1072
	global_load_dwordx4 v[27:30], v[15:16], off offset:1056
	;; [unrolled: 1-line block ×4, first 2 shown]
	v_lshlrev_b64 v[39:40], 6, v[39:40]
	v_add_co_u32_e32 v72, vcc, s6, v39
	v_addc_co_u32_e32 v73, vcc, v43, v40, vcc
	global_load_dwordx4 v[39:42], v[72:73], off offset:48
	global_load_dwordx4 v[44:47], v[72:73], off offset:32
	;; [unrolled: 1-line block ×3, first 2 shown]
	global_load_dwordx4 v[52:55], v[72:73], off
	s_waitcnt vmcnt(4)
	v_cvt_f64_f32_e32 v[70:71], v35
	v_cvt_f64_f32_e32 v[35:36], v36
	s_waitcnt vmcnt(0)
	v_fma_f64 v[19:20], v[70:71], v[52:53], v[19:20]
	v_fma_f64 v[19:20], -v[35:36], v[54:55], v[19:20]
	v_fma_f64 v[35:36], v[35:36], v[52:53], v[58:59]
	v_cvt_f64_f32_e32 v[58:59], v37
	v_cvt_f64_f32_e32 v[37:38], v38
	v_fma_f64 v[60:61], v[58:59], v[52:53], v[60:61]
	v_fma_f64 v[35:36], v[70:71], v[54:55], v[35:36]
	v_fma_f64 v[60:61], -v[37:38], v[54:55], v[60:61]
	v_fma_f64 v[37:38], v[37:38], v[52:53], v[62:63]
	v_fma_f64 v[37:38], v[58:59], v[54:55], v[37:38]
	v_cvt_f64_f32_e32 v[58:59], v31
	v_cvt_f64_f32_e32 v[31:32], v32
	v_fma_f64 v[62:63], v[58:59], v[52:53], v[64:65]
	v_fma_f64 v[62:63], -v[31:32], v[54:55], v[62:63]
	v_fma_f64 v[31:32], v[31:32], v[52:53], v[66:67]
	v_fma_f64 v[31:32], v[58:59], v[54:55], v[31:32]
	v_cvt_f64_f32_e32 v[58:59], v33
	v_cvt_f64_f32_e32 v[33:34], v34
	v_fma_f64 v[56:57], v[58:59], v[52:53], v[56:57]
	v_fma_f64 v[56:57], -v[33:34], v[54:55], v[56:57]
	v_fma_f64 v[33:34], v[33:34], v[52:53], v[68:69]
	v_cvt_f64_f32_e32 v[52:53], v27
	v_cvt_f64_f32_e32 v[27:28], v28
	v_fma_f64 v[19:20], v[52:53], v[48:49], v[19:20]
	v_fma_f64 v[33:34], v[58:59], v[54:55], v[33:34]
	v_fma_f64 v[19:20], -v[27:28], v[50:51], v[19:20]
	v_fma_f64 v[27:28], v[27:28], v[48:49], v[35:36]
	v_fma_f64 v[35:36], v[52:53], v[50:51], v[27:28]
	v_cvt_f64_f32_e32 v[27:28], v29
	v_cvt_f64_f32_e32 v[29:30], v30
	v_fma_f64 v[52:53], v[27:28], v[48:49], v[60:61]
	v_fma_f64 v[52:53], -v[29:30], v[50:51], v[52:53]
	v_fma_f64 v[29:30], v[29:30], v[48:49], v[37:38]
	v_fma_f64 v[37:38], v[27:28], v[50:51], v[29:30]
	v_cvt_f64_f32_e32 v[27:28], v23
	v_cvt_f64_f32_e32 v[23:24], v24
	;; [unrolled: 6-line block ×3, first 2 shown]
	v_fma_f64 v[27:28], v[23:24], v[48:49], v[56:57]
	v_fma_f64 v[56:57], -v[25:26], v[50:51], v[27:28]
	v_fma_f64 v[25:26], v[25:26], v[48:49], v[33:34]
	v_fma_f64 v[60:61], v[23:24], v[50:51], v[25:26]
	global_load_dwordx4 v[48:51], v[15:16], off offset:1136
	global_load_dwordx4 v[23:26], v[15:16], off offset:1120
	;; [unrolled: 1-line block ×4, first 2 shown]
	s_waitcnt vmcnt(0)
	v_cvt_f64_f32_e32 v[62:63], v31
	v_cvt_f64_f32_e32 v[31:32], v32
	v_fma_f64 v[19:20], v[62:63], v[44:45], v[19:20]
	v_fma_f64 v[19:20], -v[31:32], v[46:47], v[19:20]
	v_fma_f64 v[31:32], v[31:32], v[44:45], v[35:36]
	v_cvt_f64_f32_e32 v[35:36], v33
	v_cvt_f64_f32_e32 v[33:34], v34
	v_fma_f64 v[52:53], v[35:36], v[44:45], v[52:53]
	v_fma_f64 v[31:32], v[62:63], v[46:47], v[31:32]
	v_fma_f64 v[52:53], -v[33:34], v[46:47], v[52:53]
	v_fma_f64 v[33:34], v[33:34], v[44:45], v[37:38]
	v_fma_f64 v[37:38], v[35:36], v[46:47], v[33:34]
	v_cvt_f64_f32_e32 v[33:34], v27
	v_cvt_f64_f32_e32 v[27:28], v28
	v_fma_f64 v[35:36], v[33:34], v[44:45], v[54:55]
	v_fma_f64 v[54:55], -v[27:28], v[46:47], v[35:36]
	v_fma_f64 v[27:28], v[27:28], v[44:45], v[58:59]
	v_fma_f64 v[27:28], v[33:34], v[46:47], v[27:28]
	v_cvt_f64_f32_e32 v[33:34], v29
	v_cvt_f64_f32_e32 v[29:30], v30
	;; [unrolled: 6-line block ×3, first 2 shown]
	v_fma_f64 v[19:20], v[29:30], v[39:40], v[19:20]
	v_fma_f64 v[33:34], -v[23:24], v[41:42], v[19:20]
	v_fma_f64 v[19:20], v[23:24], v[39:40], v[31:32]
	v_cvt_f64_f32_e32 v[23:24], v26
	v_fma_f64 v[35:36], v[29:30], v[41:42], v[19:20]
	v_cvt_f64_f32_e32 v[19:20], v25
	v_fma_f64 v[25:26], v[19:20], v[39:40], v[52:53]
	v_fma_f64 v[29:30], -v[23:24], v[41:42], v[25:26]
	v_fma_f64 v[23:24], v[23:24], v[39:40], v[37:38]
	v_cvt_f64_f32_e32 v[37:38], v51
	v_fma_f64 v[31:32], v[19:20], v[41:42], v[23:24]
	v_cvt_f64_f32_e32 v[19:20], v48
	v_cvt_f64_f32_e32 v[23:24], v49
	v_fma_f64 v[25:26], v[19:20], v[39:40], v[54:55]
	v_fma_f64 v[25:26], -v[23:24], v[41:42], v[25:26]
	v_fma_f64 v[23:24], v[23:24], v[39:40], v[27:28]
	v_fma_f64 v[27:28], v[19:20], v[41:42], v[23:24]
	v_cvt_f64_f32_e32 v[23:24], v50
	v_fma_f64 v[19:20], v[23:24], v[39:40], v[56:57]
	v_fma_f64 v[19:20], -v[37:38], v[41:42], v[19:20]
	v_fma_f64 v[37:38], v[37:38], v[39:40], v[44:45]
	v_fma_f64 v[23:24], v[23:24], v[41:42], v[37:38]
	global_load_dwordx2 v[37:38], v[17:18], off offset:32
	s_waitcnt vmcnt(0)
	v_sub_co_u32_e32 v41, vcc, v37, v9
	v_subb_co_u32_e32 v42, vcc, v38, v10, vcc
	global_load_dwordx4 v[37:40], v[15:16], off offset:1584
	global_load_dwordx4 v[44:47], v[15:16], off offset:1568
	;; [unrolled: 1-line block ×4, first 2 shown]
	v_lshlrev_b64 v[41:42], 6, v[41:42]
	v_add_co_u32_e32 v41, vcc, s6, v41
	v_addc_co_u32_e32 v42, vcc, v43, v42, vcc
	global_load_dwordx4 v[56:59], v[41:42], off offset:48
	global_load_dwordx4 v[60:63], v[41:42], off offset:32
	;; [unrolled: 1-line block ×3, first 2 shown]
	global_load_dwordx4 v[68:71], v[41:42], off
	s_waitcnt vmcnt(4)
	v_cvt_f64_f32_e32 v[72:73], v52
	v_cvt_f64_f32_e32 v[52:53], v53
	;; [unrolled: 1-line block ×3, first 2 shown]
	s_waitcnt vmcnt(0)
	v_fma_f64 v[33:34], v[72:73], v[68:69], v[33:34]
	v_fma_f64 v[35:36], v[52:53], v[68:69], v[35:36]
	;; [unrolled: 1-line block ×3, first 2 shown]
	v_fma_f64 v[33:34], -v[52:53], v[70:71], v[33:34]
	v_cvt_f64_f32_e32 v[52:53], v55
	v_fma_f64 v[35:36], v[72:73], v[70:71], v[35:36]
	v_fma_f64 v[31:32], v[52:53], v[68:69], v[31:32]
	v_fma_f64 v[29:30], -v[52:53], v[70:71], v[29:30]
	v_fma_f64 v[31:32], v[41:42], v[70:71], v[31:32]
	v_cvt_f64_f32_e32 v[41:42], v48
	v_cvt_f64_f32_e32 v[48:49], v49
	v_fma_f64 v[25:26], v[41:42], v[68:69], v[25:26]
	v_fma_f64 v[27:28], v[48:49], v[68:69], v[27:28]
	v_fma_f64 v[25:26], -v[48:49], v[70:71], v[25:26]
	v_cvt_f64_f32_e32 v[48:49], v51
	v_fma_f64 v[27:28], v[41:42], v[70:71], v[27:28]
	v_cvt_f64_f32_e32 v[41:42], v50
	v_fma_f64 v[23:24], v[48:49], v[68:69], v[23:24]
	v_fma_f64 v[19:20], v[41:42], v[68:69], v[19:20]
	;; [unrolled: 1-line block ×3, first 2 shown]
	v_cvt_f64_f32_e32 v[41:42], v44
	v_cvt_f64_f32_e32 v[44:45], v45
	v_fma_f64 v[19:20], -v[48:49], v[70:71], v[19:20]
	v_fma_f64 v[33:34], v[41:42], v[64:65], v[33:34]
	v_fma_f64 v[48:49], -v[44:45], v[66:67], v[33:34]
	v_fma_f64 v[33:34], v[44:45], v[64:65], v[35:36]
	v_cvt_f64_f32_e32 v[35:36], v47
	v_fma_f64 v[41:42], v[41:42], v[66:67], v[33:34]
	v_cvt_f64_f32_e32 v[33:34], v46
	v_fma_f64 v[29:30], v[33:34], v[64:65], v[29:30]
	v_fma_f64 v[44:45], -v[35:36], v[66:67], v[29:30]
	v_fma_f64 v[29:30], v[35:36], v[64:65], v[31:32]
	v_cvt_f64_f32_e32 v[31:32], v38
	v_fma_f64 v[46:47], v[33:34], v[66:67], v[29:30]
	v_cvt_f64_f32_e32 v[29:30], v37
	v_fma_f64 v[25:26], v[29:30], v[64:65], v[25:26]
	v_fma_f64 v[50:51], -v[31:32], v[66:67], v[25:26]
	v_fma_f64 v[25:26], v[31:32], v[64:65], v[27:28]
	v_cvt_f64_f32_e32 v[27:28], v40
	v_fma_f64 v[23:24], v[27:28], v[64:65], v[23:24]
	v_fma_f64 v[52:53], v[29:30], v[66:67], v[25:26]
	v_cvt_f64_f32_e32 v[25:26], v39
	v_fma_f64 v[19:20], v[25:26], v[64:65], v[19:20]
	v_fma_f64 v[39:40], v[25:26], v[66:67], v[23:24]
	v_fma_f64 v[19:20], -v[27:28], v[66:67], v[19:20]
	global_load_dwordx4 v[23:26], v[15:16], off offset:1648
	global_load_dwordx4 v[27:30], v[15:16], off offset:1632
	;; [unrolled: 1-line block ×4, first 2 shown]
	v_add_co_u32_e32 v15, vcc, s7, v15
	v_addc_co_u32_e32 v16, vcc, 0, v16, vcc
	v_add_co_u32_e32 v11, vcc, 16, v11
	v_addc_co_u32_e32 v12, vcc, 0, v12, vcc
	;; [unrolled: 2-line block ×3, first 2 shown]
	v_cmp_ge_i64_e32 vcc, v[11:12], v[13:14]
	s_or_b64 s[8:9], vcc, s[8:9]
	s_waitcnt vmcnt(0)
	v_cvt_f64_f32_e32 v[54:55], v35
	v_cvt_f64_f32_e32 v[35:36], v36
	v_fma_f64 v[48:49], v[54:55], v[60:61], v[48:49]
	v_fma_f64 v[48:49], -v[35:36], v[62:63], v[48:49]
	v_fma_f64 v[35:36], v[35:36], v[60:61], v[41:42]
	v_cvt_f64_f32_e32 v[41:42], v37
	v_cvt_f64_f32_e32 v[37:38], v38
	v_fma_f64 v[44:45], v[41:42], v[60:61], v[44:45]
	v_fma_f64 v[35:36], v[54:55], v[62:63], v[35:36]
	v_fma_f64 v[44:45], -v[37:38], v[62:63], v[44:45]
	v_fma_f64 v[37:38], v[37:38], v[60:61], v[46:47]
	v_fma_f64 v[37:38], v[41:42], v[62:63], v[37:38]
	v_cvt_f64_f32_e32 v[41:42], v31
	v_cvt_f64_f32_e32 v[31:32], v32
	v_fma_f64 v[46:47], v[41:42], v[60:61], v[50:51]
	v_fma_f64 v[46:47], -v[31:32], v[62:63], v[46:47]
	v_fma_f64 v[31:32], v[31:32], v[60:61], v[52:53]
	v_fma_f64 v[50:51], v[41:42], v[62:63], v[31:32]
	v_cvt_f64_f32_e32 v[31:32], v33
	v_cvt_f64_f32_e32 v[33:34], v34
	;; [unrolled: 6-line block ×6, first 2 shown]
	v_fma_f64 v[19:20], v[23:24], v[56:57], v[19:20]
	v_fma_f64 v[35:36], -v[25:26], v[58:59], v[19:20]
	v_fma_f64 v[19:20], v[25:26], v[56:57], v[52:53]
	v_fma_f64 v[37:38], v[23:24], v[58:59], v[19:20]
	s_andn2_b64 exec, exec, s[8:9]
	s_cbranch_execnz .LBB175_33
; %bb.34:
	s_or_b64 exec, exec, s[8:9]
.LBB175_35:
	s_or_b64 exec, exec, s[0:1]
.LBB175_36:
	s_or_b64 exec, exec, s[2:3]
.LBB175_37:
	v_mov_b32_dpp v11, v31 row_shr:1 row_mask:0xf bank_mask:0xf
	v_mov_b32_dpp v12, v32 row_shr:1 row_mask:0xf bank_mask:0xf
	v_add_f64 v[11:12], v[31:32], v[11:12]
	v_mov_b32_dpp v25, v33 row_shr:1 row_mask:0xf bank_mask:0xf
	v_mov_b32_dpp v26, v34 row_shr:1 row_mask:0xf bank_mask:0xf
	;; [unrolled: 1-line block ×10, first 2 shown]
	v_add_f64 v[25:26], v[33:34], v[25:26]
	v_add_f64 v[29:30], v[29:30], v[31:32]
	v_mov_b32_dpp v31, v35 row_shr:1 row_mask:0xf bank_mask:0xf
	v_mov_b32_dpp v32, v36 row_shr:1 row_mask:0xf bank_mask:0xf
	;; [unrolled: 1-line block ×4, first 2 shown]
	v_add_f64 v[9:10], v[27:28], v[9:10]
	v_add_f64 v[13:14], v[41:42], v[13:14]
	;; [unrolled: 1-line block ×5, first 2 shown]
	v_mov_b32_dpp v23, v11 row_shr:2 row_mask:0xf bank_mask:0xf
	v_mov_b32_dpp v24, v12 row_shr:2 row_mask:0xf bank_mask:0xf
	;; [unrolled: 1-line block ×16, first 2 shown]
	v_cmp_eq_u32_e32 vcc, 3, v0
	s_and_b64 exec, exec, vcc
	s_cbranch_execz .LBB175_8
; %bb.38:
	v_add_f64 v[11:12], v[11:12], v[23:24]
	v_add_f64 v[23:24], v[13:14], v[19:20]
	;; [unrolled: 1-line block ×8, first 2 shown]
	v_mul_f64 v[19:20], v[11:12], -v[7:8]
	v_mul_f64 v[11:12], v[5:6], v[11:12]
	v_mul_f64 v[29:30], v[13:14], -v[7:8]
	v_mul_f64 v[31:32], v[5:6], v[13:14]
	;; [unrolled: 2-line block ×4, first 2 shown]
	v_cmp_eq_f64_e32 vcc, 0, v[1:2]
	v_cmp_eq_f64_e64 s[0:1], 0, v[3:4]
	v_fma_f64 v[17:18], v[5:6], v[9:10], v[19:20]
	v_fma_f64 v[19:20], v[7:8], v[9:10], v[11:12]
	v_fma_f64 v[13:14], v[5:6], v[23:24], v[29:30]
	v_fma_f64 v[15:16], v[7:8], v[23:24], v[31:32]
	v_fma_f64 v[9:10], v[5:6], v[25:26], v[33:34]
	v_fma_f64 v[11:12], v[7:8], v[25:26], v[35:36]
	v_fma_f64 v[5:6], v[5:6], v[27:28], v[37:38]
	v_fma_f64 v[7:8], v[7:8], v[27:28], v[39:40]
	s_load_dwordx2 s[2:3], s[4:5], 0x68
	v_lshlrev_b64 v[21:22], 6, v[21:22]
	s_and_b64 s[0:1], vcc, s[0:1]
	s_and_saveexec_b64 s[4:5], s[0:1]
	s_xor_b64 s[0:1], exec, s[4:5]
	s_cbranch_execz .LBB175_40
; %bb.39:
	s_waitcnt lgkmcnt(0)
	v_mov_b32_e32 v1, s3
	v_add_co_u32_e32 v0, vcc, s2, v21
	v_addc_co_u32_e32 v1, vcc, v1, v22, vcc
	global_store_dwordx4 v[0:1], v[17:20], off
	global_store_dwordx4 v[0:1], v[13:16], off offset:16
	global_store_dwordx4 v[0:1], v[9:12], off offset:32
	;; [unrolled: 1-line block ×3, first 2 shown]
                                        ; implicit-def: $vgpr3_vgpr4
                                        ; implicit-def: $vgpr17_vgpr18
                                        ; implicit-def: $vgpr21_vgpr22
                                        ; implicit-def: $vgpr13_vgpr14
                                        ; implicit-def: $vgpr9_vgpr10
                                        ; implicit-def: $vgpr5_vgpr6
.LBB175_40:
	s_andn2_saveexec_b64 s[0:1], s[0:1]
	s_cbranch_execz .LBB175_8
; %bb.41:
	s_waitcnt lgkmcnt(0)
	v_mov_b32_e32 v0, s3
	v_add_co_u32_e32 v37, vcc, s2, v21
	v_addc_co_u32_e32 v38, vcc, v0, v22, vcc
	global_load_dwordx4 v[21:24], v[37:38], off
	global_load_dwordx4 v[25:28], v[37:38], off offset:16
	global_load_dwordx4 v[29:32], v[37:38], off offset:32
	;; [unrolled: 1-line block ×3, first 2 shown]
	s_waitcnt vmcnt(3)
	v_fma_f64 v[17:18], v[1:2], v[21:22], v[17:18]
	v_fma_f64 v[19:20], v[3:4], v[21:22], v[19:20]
	s_waitcnt vmcnt(2)
	v_fma_f64 v[13:14], v[1:2], v[25:26], v[13:14]
	v_fma_f64 v[15:16], v[3:4], v[25:26], v[15:16]
	s_waitcnt vmcnt(1)
	v_fma_f64 v[21:22], v[1:2], v[29:30], v[9:10]
	v_fma_f64 v[25:26], v[3:4], v[29:30], v[11:12]
	s_waitcnt vmcnt(0)
	v_fma_f64 v[29:30], v[1:2], v[33:34], v[5:6]
	v_fma_f64 v[33:34], v[3:4], v[33:34], v[7:8]
	v_fma_f64 v[5:6], -v[3:4], v[23:24], v[17:18]
	v_fma_f64 v[7:8], v[1:2], v[23:24], v[19:20]
	v_fma_f64 v[9:10], -v[3:4], v[27:28], v[13:14]
	v_fma_f64 v[11:12], v[1:2], v[27:28], v[15:16]
	v_fma_f64 v[13:14], -v[3:4], v[31:32], v[21:22]
	v_fma_f64 v[15:16], v[1:2], v[31:32], v[25:26]
	v_fma_f64 v[17:18], -v[3:4], v[35:36], v[29:30]
	v_fma_f64 v[19:20], v[1:2], v[35:36], v[33:34]
	global_store_dwordx4 v[37:38], v[5:8], off
	global_store_dwordx4 v[37:38], v[9:12], off offset:16
	global_store_dwordx4 v[37:38], v[13:16], off offset:32
	;; [unrolled: 1-line block ×3, first 2 shown]
	s_endpgm
	.section	.rodata,"a",@progbits
	.p2align	6, 0x0
	.amdhsa_kernel _ZN9rocsparseL18bsrxmvn_4x4_kernelILj128ELj4E21rocsparse_complex_numIdEllS1_IfES2_S2_EEvT3_20rocsparse_direction_NS_24const_host_device_scalarIT1_EES4_PKS4_PKT2_SD_SA_PKT4_PKT5_S8_PT6_21rocsparse_index_base_b
		.amdhsa_group_segment_fixed_size 0
		.amdhsa_private_segment_fixed_size 0
		.amdhsa_kernarg_size 120
		.amdhsa_user_sgpr_count 6
		.amdhsa_user_sgpr_private_segment_buffer 1
		.amdhsa_user_sgpr_dispatch_ptr 0
		.amdhsa_user_sgpr_queue_ptr 0
		.amdhsa_user_sgpr_kernarg_segment_ptr 1
		.amdhsa_user_sgpr_dispatch_id 0
		.amdhsa_user_sgpr_flat_scratch_init 0
		.amdhsa_user_sgpr_private_segment_size 0
		.amdhsa_uses_dynamic_stack 0
		.amdhsa_system_sgpr_private_segment_wavefront_offset 0
		.amdhsa_system_sgpr_workgroup_id_x 1
		.amdhsa_system_sgpr_workgroup_id_y 0
		.amdhsa_system_sgpr_workgroup_id_z 0
		.amdhsa_system_sgpr_workgroup_info 0
		.amdhsa_system_vgpr_workitem_id 0
		.amdhsa_next_free_vgpr 88
		.amdhsa_next_free_sgpr 17
		.amdhsa_reserve_vcc 1
		.amdhsa_reserve_flat_scratch 0
		.amdhsa_float_round_mode_32 0
		.amdhsa_float_round_mode_16_64 0
		.amdhsa_float_denorm_mode_32 3
		.amdhsa_float_denorm_mode_16_64 3
		.amdhsa_dx10_clamp 1
		.amdhsa_ieee_mode 1
		.amdhsa_fp16_overflow 0
		.amdhsa_exception_fp_ieee_invalid_op 0
		.amdhsa_exception_fp_denorm_src 0
		.amdhsa_exception_fp_ieee_div_zero 0
		.amdhsa_exception_fp_ieee_overflow 0
		.amdhsa_exception_fp_ieee_underflow 0
		.amdhsa_exception_fp_ieee_inexact 0
		.amdhsa_exception_int_div_zero 0
	.end_amdhsa_kernel
	.section	.text._ZN9rocsparseL18bsrxmvn_4x4_kernelILj128ELj4E21rocsparse_complex_numIdEllS1_IfES2_S2_EEvT3_20rocsparse_direction_NS_24const_host_device_scalarIT1_EES4_PKS4_PKT2_SD_SA_PKT4_PKT5_S8_PT6_21rocsparse_index_base_b,"axG",@progbits,_ZN9rocsparseL18bsrxmvn_4x4_kernelILj128ELj4E21rocsparse_complex_numIdEllS1_IfES2_S2_EEvT3_20rocsparse_direction_NS_24const_host_device_scalarIT1_EES4_PKS4_PKT2_SD_SA_PKT4_PKT5_S8_PT6_21rocsparse_index_base_b,comdat
.Lfunc_end175:
	.size	_ZN9rocsparseL18bsrxmvn_4x4_kernelILj128ELj4E21rocsparse_complex_numIdEllS1_IfES2_S2_EEvT3_20rocsparse_direction_NS_24const_host_device_scalarIT1_EES4_PKS4_PKT2_SD_SA_PKT4_PKT5_S8_PT6_21rocsparse_index_base_b, .Lfunc_end175-_ZN9rocsparseL18bsrxmvn_4x4_kernelILj128ELj4E21rocsparse_complex_numIdEllS1_IfES2_S2_EEvT3_20rocsparse_direction_NS_24const_host_device_scalarIT1_EES4_PKS4_PKT2_SD_SA_PKT4_PKT5_S8_PT6_21rocsparse_index_base_b
                                        ; -- End function
	.set _ZN9rocsparseL18bsrxmvn_4x4_kernelILj128ELj4E21rocsparse_complex_numIdEllS1_IfES2_S2_EEvT3_20rocsparse_direction_NS_24const_host_device_scalarIT1_EES4_PKS4_PKT2_SD_SA_PKT4_PKT5_S8_PT6_21rocsparse_index_base_b.num_vgpr, 88
	.set _ZN9rocsparseL18bsrxmvn_4x4_kernelILj128ELj4E21rocsparse_complex_numIdEllS1_IfES2_S2_EEvT3_20rocsparse_direction_NS_24const_host_device_scalarIT1_EES4_PKS4_PKT2_SD_SA_PKT4_PKT5_S8_PT6_21rocsparse_index_base_b.num_agpr, 0
	.set _ZN9rocsparseL18bsrxmvn_4x4_kernelILj128ELj4E21rocsparse_complex_numIdEllS1_IfES2_S2_EEvT3_20rocsparse_direction_NS_24const_host_device_scalarIT1_EES4_PKS4_PKT2_SD_SA_PKT4_PKT5_S8_PT6_21rocsparse_index_base_b.numbered_sgpr, 17
	.set _ZN9rocsparseL18bsrxmvn_4x4_kernelILj128ELj4E21rocsparse_complex_numIdEllS1_IfES2_S2_EEvT3_20rocsparse_direction_NS_24const_host_device_scalarIT1_EES4_PKS4_PKT2_SD_SA_PKT4_PKT5_S8_PT6_21rocsparse_index_base_b.num_named_barrier, 0
	.set _ZN9rocsparseL18bsrxmvn_4x4_kernelILj128ELj4E21rocsparse_complex_numIdEllS1_IfES2_S2_EEvT3_20rocsparse_direction_NS_24const_host_device_scalarIT1_EES4_PKS4_PKT2_SD_SA_PKT4_PKT5_S8_PT6_21rocsparse_index_base_b.private_seg_size, 0
	.set _ZN9rocsparseL18bsrxmvn_4x4_kernelILj128ELj4E21rocsparse_complex_numIdEllS1_IfES2_S2_EEvT3_20rocsparse_direction_NS_24const_host_device_scalarIT1_EES4_PKS4_PKT2_SD_SA_PKT4_PKT5_S8_PT6_21rocsparse_index_base_b.uses_vcc, 1
	.set _ZN9rocsparseL18bsrxmvn_4x4_kernelILj128ELj4E21rocsparse_complex_numIdEllS1_IfES2_S2_EEvT3_20rocsparse_direction_NS_24const_host_device_scalarIT1_EES4_PKS4_PKT2_SD_SA_PKT4_PKT5_S8_PT6_21rocsparse_index_base_b.uses_flat_scratch, 0
	.set _ZN9rocsparseL18bsrxmvn_4x4_kernelILj128ELj4E21rocsparse_complex_numIdEllS1_IfES2_S2_EEvT3_20rocsparse_direction_NS_24const_host_device_scalarIT1_EES4_PKS4_PKT2_SD_SA_PKT4_PKT5_S8_PT6_21rocsparse_index_base_b.has_dyn_sized_stack, 0
	.set _ZN9rocsparseL18bsrxmvn_4x4_kernelILj128ELj4E21rocsparse_complex_numIdEllS1_IfES2_S2_EEvT3_20rocsparse_direction_NS_24const_host_device_scalarIT1_EES4_PKS4_PKT2_SD_SA_PKT4_PKT5_S8_PT6_21rocsparse_index_base_b.has_recursion, 0
	.set _ZN9rocsparseL18bsrxmvn_4x4_kernelILj128ELj4E21rocsparse_complex_numIdEllS1_IfES2_S2_EEvT3_20rocsparse_direction_NS_24const_host_device_scalarIT1_EES4_PKS4_PKT2_SD_SA_PKT4_PKT5_S8_PT6_21rocsparse_index_base_b.has_indirect_call, 0
	.section	.AMDGPU.csdata,"",@progbits
; Kernel info:
; codeLenInByte = 10348
; TotalNumSgprs: 21
; NumVgprs: 88
; ScratchSize: 0
; MemoryBound: 0
; FloatMode: 240
; IeeeMode: 1
; LDSByteSize: 0 bytes/workgroup (compile time only)
; SGPRBlocks: 2
; VGPRBlocks: 21
; NumSGPRsForWavesPerEU: 21
; NumVGPRsForWavesPerEU: 88
; Occupancy: 2
; WaveLimiterHint : 1
; COMPUTE_PGM_RSRC2:SCRATCH_EN: 0
; COMPUTE_PGM_RSRC2:USER_SGPR: 6
; COMPUTE_PGM_RSRC2:TRAP_HANDLER: 0
; COMPUTE_PGM_RSRC2:TGID_X_EN: 1
; COMPUTE_PGM_RSRC2:TGID_Y_EN: 0
; COMPUTE_PGM_RSRC2:TGID_Z_EN: 0
; COMPUTE_PGM_RSRC2:TIDIG_COMP_CNT: 0
	.section	.text._ZN9rocsparseL18bsrxmvn_4x4_kernelILj128ELj8E21rocsparse_complex_numIdEllS1_IfES2_S2_EEvT3_20rocsparse_direction_NS_24const_host_device_scalarIT1_EES4_PKS4_PKT2_SD_SA_PKT4_PKT5_S8_PT6_21rocsparse_index_base_b,"axG",@progbits,_ZN9rocsparseL18bsrxmvn_4x4_kernelILj128ELj8E21rocsparse_complex_numIdEllS1_IfES2_S2_EEvT3_20rocsparse_direction_NS_24const_host_device_scalarIT1_EES4_PKS4_PKT2_SD_SA_PKT4_PKT5_S8_PT6_21rocsparse_index_base_b,comdat
	.globl	_ZN9rocsparseL18bsrxmvn_4x4_kernelILj128ELj8E21rocsparse_complex_numIdEllS1_IfES2_S2_EEvT3_20rocsparse_direction_NS_24const_host_device_scalarIT1_EES4_PKS4_PKT2_SD_SA_PKT4_PKT5_S8_PT6_21rocsparse_index_base_b ; -- Begin function _ZN9rocsparseL18bsrxmvn_4x4_kernelILj128ELj8E21rocsparse_complex_numIdEllS1_IfES2_S2_EEvT3_20rocsparse_direction_NS_24const_host_device_scalarIT1_EES4_PKS4_PKT2_SD_SA_PKT4_PKT5_S8_PT6_21rocsparse_index_base_b
	.p2align	8
	.type	_ZN9rocsparseL18bsrxmvn_4x4_kernelILj128ELj8E21rocsparse_complex_numIdEllS1_IfES2_S2_EEvT3_20rocsparse_direction_NS_24const_host_device_scalarIT1_EES4_PKS4_PKT2_SD_SA_PKT4_PKT5_S8_PT6_21rocsparse_index_base_b,@function
_ZN9rocsparseL18bsrxmvn_4x4_kernelILj128ELj8E21rocsparse_complex_numIdEllS1_IfES2_S2_EEvT3_20rocsparse_direction_NS_24const_host_device_scalarIT1_EES4_PKS4_PKT2_SD_SA_PKT4_PKT5_S8_PT6_21rocsparse_index_base_b: ; @_ZN9rocsparseL18bsrxmvn_4x4_kernelILj128ELj8E21rocsparse_complex_numIdEllS1_IfES2_S2_EEvT3_20rocsparse_direction_NS_24const_host_device_scalarIT1_EES4_PKS4_PKT2_SD_SA_PKT4_PKT5_S8_PT6_21rocsparse_index_base_b
; %bb.0:
	s_load_dwordx2 s[0:1], s[4:5], 0x10
	s_load_dwordx2 s[2:3], s[4:5], 0x70
	s_add_u32 s7, s4, 16
	s_addc_u32 s10, s5, 0
	s_add_u32 s11, s4, 0x58
	s_addc_u32 s12, s5, 0
	s_waitcnt lgkmcnt(0)
	s_bitcmp1_b32 s3, 0
	s_cselect_b32 s1, s10, s1
	s_cselect_b32 s0, s7, s0
	v_mov_b32_e32 v1, s0
	v_mov_b32_e32 v2, s1
	flat_load_dwordx4 v[5:8], v[1:2]
	s_load_dwordx2 s[8:9], s[4:5], 0x58
	s_waitcnt lgkmcnt(0)
	s_cselect_b32 s0, s12, s9
	s_cselect_b32 s1, s11, s8
	v_mov_b32_e32 v1, s1
	v_mov_b32_e32 v2, s0
	flat_load_dwordx4 v[1:4], v[1:2]
	s_waitcnt vmcnt(0)
	v_cmp_eq_f64_e32 vcc, 0, v[5:6]
	v_cmp_eq_f64_e64 s[0:1], 0, v[7:8]
	s_and_b64 s[10:11], vcc, s[0:1]
	s_mov_b64 s[0:1], -1
	s_and_saveexec_b64 s[8:9], s[10:11]
	s_cbranch_execz .LBB176_2
; %bb.1:
	s_waitcnt lgkmcnt(0)
	v_cmp_neq_f64_e32 vcc, 1.0, v[1:2]
	v_cmp_neq_f64_e64 s[0:1], 0, v[3:4]
	s_or_b64 s[0:1], vcc, s[0:1]
	s_orn2_b64 s[0:1], s[0:1], exec
.LBB176_2:
	s_or_b64 exec, exec, s[8:9]
	s_and_saveexec_b64 s[8:9], s[0:1]
	s_cbranch_execz .LBB176_8
; %bb.3:
	s_load_dwordx2 s[8:9], s[4:5], 0x28
	v_lshrrev_b32_e32 v9, 3, v0
	v_lshl_or_b32 v11, s6, 4, v9
	v_mov_b32_e32 v12, 0
	s_mov_b64 s[0:1], 0
	s_waitcnt lgkmcnt(0)
	s_cmp_lg_u64 s[8:9], 0
	s_cbranch_scc0 .LBB176_9
; %bb.4:
	s_load_dwordx2 s[6:7], s[4:5], 0x20
                                        ; implicit-def: $vgpr21_vgpr22
                                        ; implicit-def: $vgpr9_vgpr10
	s_waitcnt lgkmcnt(0)
	v_cmp_gt_i64_e32 vcc, s[6:7], v[11:12]
	s_and_saveexec_b64 s[6:7], vcc
	s_xor_b64 s[6:7], exec, s[6:7]
	s_cbranch_execz .LBB176_6
; %bb.5:
	v_lshlrev_b64 v[9:10], 3, v[11:12]
	v_mov_b32_e32 v13, s9
	v_add_co_u32_e32 v9, vcc, s8, v9
	v_addc_co_u32_e32 v10, vcc, v13, v10, vcc
	global_load_dwordx2 v[9:10], v[9:10], off
	s_mov_b32 s3, 0
	s_mov_b64 s[0:1], exec
	s_waitcnt vmcnt(0)
	v_subrev_co_u32_e32 v21, vcc, s2, v9
	v_subbrev_co_u32_e32 v22, vcc, 0, v10, vcc
	v_mov_b32_e32 v10, s3
	v_mov_b32_e32 v9, s2
.LBB176_6:
	s_or_b64 exec, exec, s[6:7]
.LBB176_7:
	s_and_b64 exec, exec, s[0:1]
	s_cbranch_execnz .LBB176_13
.LBB176_8:
	s_endpgm
.LBB176_9:
                                        ; implicit-def: $vgpr21_vgpr22
                                        ; implicit-def: $vgpr9_vgpr10
	s_cbranch_execz .LBB176_7
; %bb.10:
	s_load_dwordx2 s[6:7], s[4:5], 0x0
	s_waitcnt lgkmcnt(0)
	v_cmp_gt_i64_e32 vcc, s[6:7], v[11:12]
	s_and_saveexec_b64 s[6:7], vcc
; %bb.11:
	s_mov_b32 s3, 0
	s_or_b64 s[0:1], s[0:1], exec
; %bb.12:
	s_or_b64 exec, exec, s[6:7]
	v_mov_b32_e32 v10, s3
	v_mov_b32_e32 v22, v12
	;; [unrolled: 1-line block ×4, first 2 shown]
	s_and_b64 exec, exec, s[0:1]
	s_cbranch_execz .LBB176_8
.LBB176_13:
	s_load_dwordx8 s[8:15], s[4:5], 0x30
	v_lshlrev_b64 v[11:12], 3, v[21:22]
	v_and_b32_e32 v0, 7, v0
	s_waitcnt lgkmcnt(0)
	v_mov_b32_e32 v14, s9
	v_add_co_u32_e32 v13, vcc, s8, v11
	v_addc_co_u32_e32 v14, vcc, v14, v12, vcc
	global_load_dwordx2 v[17:18], v[13:14], off
	v_add_co_u32_e32 v13, vcc, 8, v13
	v_addc_co_u32_e32 v14, vcc, 0, v14, vcc
	v_mov_b32_e32 v15, s11
	v_add_co_u32_e32 v11, vcc, s10, v11
	s_cmp_eq_u64 s[10:11], 0
	v_addc_co_u32_e32 v12, vcc, v15, v12, vcc
	s_cselect_b64 vcc, -1, 0
	v_cndmask_b32_e32 v12, v12, v14, vcc
	v_cndmask_b32_e32 v11, v11, v13, vcc
	global_load_dwordx2 v[13:14], v[11:12], off
	s_load_dword s0, s[4:5], 0x8
	s_load_dwordx2 s[6:7], s[4:5], 0x50
	v_mov_b32_e32 v19, s15
	s_waitcnt lgkmcnt(0)
	s_cmp_eq_u32 s0, 1
	s_waitcnt vmcnt(1)
	v_sub_co_u32_e32 v11, vcc, v17, v9
	v_subb_co_u32_e32 v12, vcc, v18, v10, vcc
	v_add_co_u32_e32 v11, vcc, v11, v0
	v_addc_co_u32_e32 v12, vcc, 0, v12, vcc
	v_lshlrev_b64 v[15:16], 7, v[11:12]
	s_waitcnt vmcnt(0)
	v_sub_co_u32_e32 v13, vcc, v13, v9
	v_subb_co_u32_e32 v14, vcc, v14, v10, vcc
	v_cmp_lt_i64_e64 s[0:1], v[11:12], v[13:14]
	v_add_co_u32_e32 v15, vcc, s14, v15
	v_addc_co_u32_e32 v16, vcc, v19, v16, vcc
	s_cbranch_scc1 .LBB176_25
; %bb.14:
	v_mov_b32_e32 v33, 0
	v_mov_b32_e32 v27, 0
	;; [unrolled: 1-line block ×16, first 2 shown]
	s_and_saveexec_b64 s[8:9], s[0:1]
	s_cbranch_execz .LBB176_24
; %bb.15:
	v_or_b32_e32 v19, 8, v0
	v_sub_co_u32_e32 v19, vcc, v19, v9
	v_subb_co_u32_e32 v20, vcc, 0, v10, vcc
	v_add_co_u32_e32 v19, vcc, v19, v17
	v_addc_co_u32_e32 v20, vcc, v20, v18, vcc
	v_cmp_gt_i64_e32 vcc, v[19:20], v[13:14]
	v_not_b32_e32 v24, v17
	v_cndmask_b32_e32 v20, v14, v20, vcc
	v_cndmask_b32_e32 v19, v13, v19, vcc
	v_sub_co_u32_e32 v25, vcc, v9, v0
	v_subbrev_co_u32_e32 v26, vcc, 0, v10, vcc
	v_not_b32_e32 v23, v18
	v_add_co_u32_e32 v24, vcc, v25, v24
	v_addc_co_u32_e32 v23, vcc, v26, v23, vcc
	v_add_co_u32_e32 v25, vcc, v24, v19
	v_addc_co_u32_e32 v26, vcc, v23, v20, vcc
	v_and_b32_e32 v19, 24, v25
	v_mov_b32_e32 v20, 0
	v_cmp_ne_u64_e32 vcc, 24, v[19:20]
	v_mov_b32_e32 v35, 0
	v_mov_b32_e32 v37, 0
	;; [unrolled: 1-line block ×20, first 2 shown]
	s_and_saveexec_b64 s[10:11], vcc
	s_cbranch_execz .LBB176_19
; %bb.16:
	v_lshrrev_b32_e32 v19, 3, v25
	v_add_u32_e32 v19, 1, v19
	v_and_b32_e32 v23, 3, v19
	v_lshlrev_b64 v[19:20], 3, v[11:12]
	v_mov_b32_e32 v24, s13
	v_add_co_u32_e32 v43, vcc, s12, v19
	v_addc_co_u32_e32 v44, vcc, v24, v20, vcc
	v_sub_co_u32_e32 v45, vcc, 0, v23
	v_mov_b32_e32 v33, 0
	v_mov_b32_e32 v20, v12
	;; [unrolled: 1-line block ×10, first 2 shown]
	s_mov_b64 s[14:15], 0
	v_subb_co_u32_e64 v46, s[2:3], 0, 0, vcc
	v_mov_b32_e32 v34, 0
	s_movk_i32 s16, 0x400
	v_mov_b32_e32 v19, v11
	v_mov_b32_e32 v28, 0
	v_mov_b32_e32 v40, 0
	v_mov_b32_e32 v42, 0
	v_mov_b32_e32 v30, 0
	v_mov_b32_e32 v32, 0
	v_mov_b32_e32 v38, 0
	v_mov_b32_e32 v36, 0
	v_mov_b32_e32 v23, v15
.LBB176_17:                             ; =>This Inner Loop Header: Depth=1
	global_load_dwordx2 v[55:56], v[43:44], off
	global_load_dwordx4 v[47:50], v[23:24], off
	global_load_dwordx4 v[51:54], v[23:24], off offset:32
	v_mov_b32_e32 v57, s7
	v_add_co_u32_e64 v19, s[2:3], 8, v19
	v_addc_co_u32_e64 v20, s[2:3], 0, v20, s[2:3]
	v_add_co_u32_e64 v43, s[2:3], 64, v43
	v_addc_co_u32_e64 v44, s[2:3], 0, v44, s[2:3]
	;; [unrolled: 2-line block ×3, first 2 shown]
	v_cmp_eq_u64_e64 s[2:3], 0, v[45:46]
	s_or_b64 s[14:15], s[2:3], s[14:15]
	s_waitcnt vmcnt(2)
	v_sub_co_u32_e32 v55, vcc, v55, v9
	v_subb_co_u32_e32 v56, vcc, v56, v10, vcc
	v_lshlrev_b64 v[55:56], 6, v[55:56]
	s_waitcnt vmcnt(1)
	v_cvt_f64_f32_e32 v[59:60], v47
	v_add_co_u32_e32 v61, vcc, s6, v55
	v_addc_co_u32_e32 v62, vcc, v57, v56, vcc
	global_load_dwordx4 v[55:58], v[61:62], off
	v_cvt_f64_f32_e32 v[47:48], v48
	s_waitcnt vmcnt(0)
	v_fma_f64 v[27:28], v[59:60], v[55:56], v[27:28]
	v_fma_f64 v[33:34], v[47:48], v[55:56], v[33:34]
	v_fma_f64 v[47:48], -v[47:48], v[57:58], v[27:28]
	v_cvt_f64_f32_e32 v[27:28], v51
	v_cvt_f64_f32_e32 v[51:52], v52
	v_fma_f64 v[33:34], v[59:60], v[57:58], v[33:34]
	v_fma_f64 v[41:42], v[27:28], v[55:56], v[41:42]
	;; [unrolled: 1-line block ×3, first 2 shown]
	v_fma_f64 v[51:52], -v[51:52], v[57:58], v[41:42]
	v_fma_f64 v[59:60], v[27:28], v[57:58], v[39:40]
	global_load_dwordx4 v[39:42], v[23:24], off offset:64
	s_waitcnt vmcnt(0)
	v_cvt_f64_f32_e32 v[27:28], v39
	v_cvt_f64_f32_e32 v[39:40], v40
	v_fma_f64 v[31:32], v[27:28], v[55:56], v[31:32]
	v_fma_f64 v[29:30], v[39:40], v[55:56], v[29:30]
	v_fma_f64 v[39:40], -v[39:40], v[57:58], v[31:32]
	v_fma_f64 v[63:64], v[27:28], v[57:58], v[29:30]
	global_load_dwordx4 v[27:30], v[23:24], off offset:96
	s_waitcnt vmcnt(0)
	v_cvt_f64_f32_e32 v[31:32], v27
	v_cvt_f64_f32_e32 v[27:28], v28
	;; [unrolled: 1-line block ×4, first 2 shown]
	v_fma_f64 v[35:36], v[31:32], v[55:56], v[35:36]
	v_fma_f64 v[37:38], v[27:28], v[55:56], v[37:38]
	v_fma_f64 v[55:56], -v[27:28], v[57:58], v[35:36]
	global_load_dwordx4 v[27:30], v[61:62], off offset:16
	v_cvt_f64_f32_e32 v[35:36], v50
	v_fma_f64 v[57:58], v[31:32], v[57:58], v[37:38]
	v_cvt_f64_f32_e32 v[31:32], v49
	v_cvt_f64_f32_e32 v[49:50], v54
	;; [unrolled: 1-line block ×5, first 2 shown]
	s_waitcnt vmcnt(0)
	v_fma_f64 v[33:34], v[35:36], v[27:28], v[33:34]
	v_fma_f64 v[47:48], v[31:32], v[27:28], v[47:48]
	;; [unrolled: 1-line block ×5, first 2 shown]
	v_fma_f64 v[47:48], -v[35:36], v[29:30], v[47:48]
	v_fma_f64 v[35:36], v[53:54], v[27:28], v[39:40]
	v_fma_f64 v[39:40], v[65:66], v[27:28], v[55:56]
	;; [unrolled: 1-line block ×5, first 2 shown]
	v_fma_f64 v[49:50], -v[49:50], v[29:30], v[31:32]
	global_load_dwordx4 v[31:34], v[23:24], off offset:16
	v_fma_f64 v[59:60], -v[41:42], v[29:30], v[35:36]
	v_fma_f64 v[55:56], -v[67:68], v[29:30], v[39:40]
	v_fma_f64 v[53:54], v[53:54], v[29:30], v[37:38]
	v_fma_f64 v[57:58], v[65:66], v[29:30], v[27:28]
	global_load_dwordx4 v[27:30], v[61:62], off offset:32
	global_load_dwordx4 v[35:38], v[23:24], off offset:48
	s_waitcnt vmcnt(2)
	v_cvt_f64_f32_e32 v[39:40], v31
	v_cvt_f64_f32_e32 v[31:32], v32
	s_waitcnt vmcnt(1)
	v_fma_f64 v[41:42], v[39:40], v[27:28], v[47:48]
	v_fma_f64 v[47:48], v[31:32], v[27:28], v[69:70]
	v_fma_f64 v[31:32], -v[31:32], v[29:30], v[41:42]
	s_waitcnt vmcnt(0)
	v_cvt_f64_f32_e32 v[41:42], v35
	v_cvt_f64_f32_e32 v[35:36], v36
	v_fma_f64 v[63:64], v[39:40], v[29:30], v[47:48]
	v_fma_f64 v[39:40], v[41:42], v[27:28], v[49:50]
	;; [unrolled: 1-line block ×3, first 2 shown]
	v_fma_f64 v[51:52], -v[35:36], v[29:30], v[39:40]
	v_fma_f64 v[65:66], v[41:42], v[29:30], v[47:48]
	global_load_dwordx4 v[39:42], v[23:24], off offset:80
	s_waitcnt vmcnt(0)
	v_cvt_f64_f32_e32 v[35:36], v39
	v_cvt_f64_f32_e32 v[39:40], v40
	;; [unrolled: 1-line block ×4, first 2 shown]
	v_fma_f64 v[47:48], v[35:36], v[27:28], v[59:60]
	v_fma_f64 v[49:50], v[39:40], v[27:28], v[53:54]
	v_cvt_f64_f32_e32 v[59:60], v38
	v_fma_f64 v[39:40], -v[39:40], v[29:30], v[47:48]
	v_fma_f64 v[53:54], v[35:36], v[29:30], v[49:50]
	global_load_dwordx4 v[47:50], v[23:24], off offset:112
	v_add_co_u32_e32 v23, vcc, s16, v23
	v_addc_co_u32_e32 v24, vcc, 0, v24, vcc
	s_waitcnt vmcnt(0)
	v_cvt_f64_f32_e32 v[35:36], v47
	v_cvt_f64_f32_e32 v[47:48], v48
	;; [unrolled: 1-line block ×4, first 2 shown]
	v_fma_f64 v[55:56], v[35:36], v[27:28], v[55:56]
	v_fma_f64 v[27:28], v[47:48], v[27:28], v[57:58]
	v_cvt_f64_f32_e32 v[57:58], v37
	v_fma_f64 v[47:48], -v[47:48], v[29:30], v[55:56]
	v_fma_f64 v[29:30], v[35:36], v[29:30], v[27:28]
	global_load_dwordx4 v[35:38], v[61:62], off offset:48
	v_cvt_f64_f32_e32 v[55:56], v33
	v_cvt_f64_f32_e32 v[27:28], v34
	s_waitcnt vmcnt(0)
	v_fma_f64 v[31:32], v[55:56], v[35:36], v[31:32]
	v_fma_f64 v[33:34], v[27:28], v[35:36], v[63:64]
	;; [unrolled: 1-line block ×6, first 2 shown]
	v_fma_f64 v[27:28], -v[27:28], v[37:38], v[31:32]
	v_fma_f64 v[31:32], v[57:58], v[35:36], v[51:52]
	v_fma_f64 v[51:52], v[59:60], v[35:36], v[65:66]
	;; [unrolled: 1-line block ×4, first 2 shown]
	v_fma_f64 v[35:36], -v[49:50], v[37:38], v[47:48]
	v_fma_f64 v[41:42], -v[59:60], v[37:38], v[31:32]
	v_fma_f64 v[39:40], v[57:58], v[37:38], v[51:52]
	v_fma_f64 v[31:32], -v[69:70], v[37:38], v[61:62]
	v_fma_f64 v[37:38], v[71:72], v[37:38], v[63:64]
	s_andn2_b64 exec, exec, s[14:15]
	s_cbranch_execnz .LBB176_17
; %bb.18:
	s_or_b64 exec, exec, s[14:15]
.LBB176_19:
	s_or_b64 exec, exec, s[10:11]
	v_cmp_lt_u64_e32 vcc, 23, v[25:26]
	s_and_saveexec_b64 s[2:3], vcc
	s_cbranch_execz .LBB176_23
; %bb.20:
	v_lshlrev_b64 v[25:26], 3, v[19:20]
	v_mov_b32_e32 v43, s13
	v_add_co_u32_e32 v25, vcc, s12, v25
	v_addc_co_u32_e32 v26, vcc, v43, v26, vcc
	v_add_co_u32_e32 v25, vcc, 0x80, v25
	v_addc_co_u32_e32 v26, vcc, 0, v26, vcc
	s_mov_b64 s[10:11], 0
	v_mov_b32_e32 v45, s7
	s_movk_i32 s14, 0x1000
.LBB176_21:                             ; =>This Inner Loop Header: Depth=1
	global_load_dwordx2 v[43:44], v[25:26], off offset:-128
	global_load_dwordx4 v[46:49], v[23:24], off offset:48
	global_load_dwordx4 v[50:53], v[23:24], off offset:32
	;; [unrolled: 1-line block ×3, first 2 shown]
	global_load_dwordx4 v[58:61], v[23:24], off
	s_waitcnt vmcnt(4)
	v_sub_co_u32_e32 v43, vcc, v43, v9
	v_subb_co_u32_e32 v44, vcc, v44, v10, vcc
	v_lshlrev_b64 v[43:44], 6, v[43:44]
	s_waitcnt vmcnt(0)
	v_cvt_f64_f32_e32 v[78:79], v58
	v_add_co_u32_e32 v43, vcc, s6, v43
	v_addc_co_u32_e32 v44, vcc, v45, v44, vcc
	global_load_dwordx4 v[62:65], v[43:44], off offset:48
	global_load_dwordx4 v[66:69], v[43:44], off offset:32
	;; [unrolled: 1-line block ×3, first 2 shown]
	global_load_dwordx4 v[74:77], v[43:44], off
	v_cvt_f64_f32_e32 v[58:59], v59
	v_cvt_f64_f32_e32 v[43:44], v60
	s_waitcnt vmcnt(0)
	v_fma_f64 v[27:28], v[78:79], v[74:75], v[27:28]
	v_fma_f64 v[33:34], v[58:59], v[74:75], v[33:34]
	v_fma_f64 v[27:28], -v[58:59], v[76:77], v[27:28]
	v_fma_f64 v[33:34], v[78:79], v[76:77], v[33:34]
	v_cvt_f64_f32_e32 v[58:59], v61
	v_fma_f64 v[27:28], v[43:44], v[70:71], v[27:28]
	v_fma_f64 v[33:34], v[58:59], v[70:71], v[33:34]
	v_fma_f64 v[27:28], -v[58:59], v[72:73], v[27:28]
	v_fma_f64 v[33:34], v[43:44], v[72:73], v[33:34]
	v_cvt_f64_f32_e32 v[43:44], v54
	v_cvt_f64_f32_e32 v[54:55], v55
	v_fma_f64 v[27:28], v[43:44], v[66:67], v[27:28]
	v_fma_f64 v[33:34], v[54:55], v[66:67], v[33:34]
	v_fma_f64 v[27:28], -v[54:55], v[68:69], v[27:28]
	v_fma_f64 v[33:34], v[43:44], v[68:69], v[33:34]
	v_cvt_f64_f32_e32 v[43:44], v56
	v_cvt_f64_f32_e32 v[54:55], v57
	v_fma_f64 v[27:28], v[43:44], v[62:63], v[27:28]
	v_fma_f64 v[78:79], -v[54:55], v[64:65], v[27:28]
	v_fma_f64 v[27:28], v[54:55], v[62:63], v[33:34]
	v_cvt_f64_f32_e32 v[33:34], v51
	v_fma_f64 v[43:44], v[43:44], v[64:65], v[27:28]
	v_cvt_f64_f32_e32 v[27:28], v50
	v_fma_f64 v[41:42], v[27:28], v[74:75], v[41:42]
	v_fma_f64 v[41:42], -v[33:34], v[76:77], v[41:42]
	v_fma_f64 v[33:34], v[33:34], v[74:75], v[39:40]
	v_cvt_f64_f32_e32 v[39:40], v53
	v_fma_f64 v[27:28], v[27:28], v[76:77], v[33:34]
	v_cvt_f64_f32_e32 v[33:34], v52
	v_fma_f64 v[41:42], v[33:34], v[70:71], v[41:42]
	v_fma_f64 v[27:28], v[39:40], v[70:71], v[27:28]
	v_fma_f64 v[41:42], -v[39:40], v[72:73], v[41:42]
	v_cvt_f64_f32_e32 v[39:40], v47
	v_fma_f64 v[27:28], v[33:34], v[72:73], v[27:28]
	v_cvt_f64_f32_e32 v[33:34], v46
	v_fma_f64 v[41:42], v[33:34], v[66:67], v[41:42]
	v_fma_f64 v[27:28], v[39:40], v[66:67], v[27:28]
	v_fma_f64 v[41:42], -v[39:40], v[68:69], v[41:42]
	;; [unrolled: 6-line block ×3, first 2 shown]
	global_load_dwordx4 v[39:42], v[23:24], off offset:112
	global_load_dwordx4 v[46:49], v[23:24], off offset:96
	;; [unrolled: 1-line block ×4, first 2 shown]
	v_fma_f64 v[82:83], v[33:34], v[64:65], v[27:28]
	s_waitcnt vmcnt(0)
	v_cvt_f64_f32_e32 v[33:34], v55
	v_cvt_f64_f32_e32 v[27:28], v54
	v_fma_f64 v[29:30], v[33:34], v[74:75], v[29:30]
	v_fma_f64 v[31:32], v[27:28], v[74:75], v[31:32]
	v_fma_f64 v[27:28], v[27:28], v[76:77], v[29:30]
	v_fma_f64 v[31:32], -v[33:34], v[76:77], v[31:32]
	v_cvt_f64_f32_e32 v[33:34], v57
	v_cvt_f64_f32_e32 v[29:30], v56
	v_fma_f64 v[27:28], v[33:34], v[70:71], v[27:28]
	v_fma_f64 v[31:32], v[29:30], v[70:71], v[31:32]
	v_fma_f64 v[27:28], v[29:30], v[72:73], v[27:28]
	v_fma_f64 v[31:32], -v[33:34], v[72:73], v[31:32]
	v_cvt_f64_f32_e32 v[33:34], v51
	v_cvt_f64_f32_e32 v[29:30], v50
	v_fma_f64 v[27:28], v[33:34], v[66:67], v[27:28]
	v_fma_f64 v[31:32], v[29:30], v[66:67], v[31:32]
	v_fma_f64 v[27:28], v[29:30], v[68:69], v[27:28]
	v_fma_f64 v[31:32], -v[33:34], v[68:69], v[31:32]
	v_cvt_f64_f32_e32 v[33:34], v53
	v_cvt_f64_f32_e32 v[29:30], v52
	v_fma_f64 v[27:28], v[33:34], v[62:63], v[27:28]
	v_fma_f64 v[31:32], v[29:30], v[62:63], v[31:32]
	;; [unrolled: 1-line block ×3, first 2 shown]
	v_cvt_f64_f32_e32 v[27:28], v46
	v_fma_f64 v[84:85], -v[33:34], v[64:65], v[31:32]
	v_cvt_f64_f32_e32 v[29:30], v47
	v_cvt_f64_f32_e32 v[33:34], v49
	v_fma_f64 v[31:32], v[27:28], v[74:75], v[35:36]
	v_fma_f64 v[31:32], -v[29:30], v[76:77], v[31:32]
	v_fma_f64 v[29:30], v[29:30], v[74:75], v[37:38]
	v_fma_f64 v[27:28], v[27:28], v[76:77], v[29:30]
	v_cvt_f64_f32_e32 v[29:30], v48
	v_fma_f64 v[31:32], v[29:30], v[70:71], v[31:32]
	v_fma_f64 v[27:28], v[33:34], v[70:71], v[27:28]
	v_fma_f64 v[31:32], -v[33:34], v[72:73], v[31:32]
	v_cvt_f64_f32_e32 v[33:34], v40
	v_fma_f64 v[27:28], v[29:30], v[72:73], v[27:28]
	v_cvt_f64_f32_e32 v[29:30], v39
	v_fma_f64 v[31:32], v[29:30], v[66:67], v[31:32]
	v_fma_f64 v[27:28], v[33:34], v[66:67], v[27:28]
	v_fma_f64 v[31:32], -v[33:34], v[68:69], v[31:32]
	v_cvt_f64_f32_e32 v[33:34], v42
	v_fma_f64 v[27:28], v[29:30], v[68:69], v[27:28]
	v_cvt_f64_f32_e32 v[29:30], v41
	v_fma_f64 v[31:32], v[29:30], v[62:63], v[31:32]
	v_fma_f64 v[27:28], v[33:34], v[62:63], v[27:28]
	v_fma_f64 v[66:67], -v[33:34], v[64:65], v[31:32]
	v_fma_f64 v[62:63], v[29:30], v[64:65], v[27:28]
	global_load_dwordx2 v[27:28], v[25:26], off offset:-64
	s_waitcnt vmcnt(0)
	v_sub_co_u32_e32 v46, vcc, v27, v9
	v_subb_co_u32_e32 v47, vcc, v28, v10, vcc
	global_load_dwordx4 v[27:30], v[23:24], off offset:1072
	global_load_dwordx4 v[31:34], v[23:24], off offset:1056
	;; [unrolled: 1-line block ×4, first 2 shown]
	v_lshlrev_b64 v[46:47], 6, v[46:47]
	v_add_co_u32_e32 v68, vcc, s6, v46
	v_addc_co_u32_e32 v69, vcc, v45, v47, vcc
	global_load_dwordx4 v[46:49], v[68:69], off offset:48
	global_load_dwordx4 v[50:53], v[68:69], off offset:32
	;; [unrolled: 1-line block ×3, first 2 shown]
	global_load_dwordx4 v[58:61], v[68:69], off
	s_waitcnt vmcnt(4)
	v_cvt_f64_f32_e32 v[64:65], v39
	v_cvt_f64_f32_e32 v[39:40], v40
	s_waitcnt vmcnt(0)
	v_fma_f64 v[68:69], v[64:65], v[58:59], v[78:79]
	v_fma_f64 v[68:69], -v[39:40], v[60:61], v[68:69]
	v_fma_f64 v[39:40], v[39:40], v[58:59], v[43:44]
	v_cvt_f64_f32_e32 v[43:44], v41
	v_cvt_f64_f32_e32 v[41:42], v42
	v_fma_f64 v[39:40], v[64:65], v[60:61], v[39:40]
	v_fma_f64 v[64:65], v[43:44], v[54:55], v[68:69]
	;; [unrolled: 1-line block ×3, first 2 shown]
	v_fma_f64 v[64:65], -v[41:42], v[56:57], v[64:65]
	v_cvt_f64_f32_e32 v[41:42], v35
	v_cvt_f64_f32_e32 v[35:36], v36
	v_fma_f64 v[39:40], v[43:44], v[56:57], v[39:40]
	v_fma_f64 v[43:44], v[41:42], v[50:51], v[64:65]
	v_fma_f64 v[43:44], -v[35:36], v[52:53], v[43:44]
	v_fma_f64 v[35:36], v[35:36], v[50:51], v[39:40]
	v_cvt_f64_f32_e32 v[39:40], v37
	v_cvt_f64_f32_e32 v[37:38], v38
	v_fma_f64 v[35:36], v[41:42], v[52:53], v[35:36]
	v_fma_f64 v[41:42], v[39:40], v[46:47], v[43:44]
	;; [unrolled: 1-line block ×3, first 2 shown]
	v_fma_f64 v[43:44], -v[37:38], v[48:49], v[41:42]
	v_fma_f64 v[68:69], v[39:40], v[48:49], v[35:36]
	v_cvt_f64_f32_e32 v[35:36], v31
	v_cvt_f64_f32_e32 v[31:32], v32
	v_fma_f64 v[37:38], v[35:36], v[58:59], v[80:81]
	v_fma_f64 v[37:38], -v[31:32], v[60:61], v[37:38]
	v_fma_f64 v[31:32], v[31:32], v[58:59], v[82:83]
	v_fma_f64 v[31:32], v[35:36], v[60:61], v[31:32]
	v_cvt_f64_f32_e32 v[35:36], v33
	v_cvt_f64_f32_e32 v[33:34], v34
	v_fma_f64 v[37:38], v[35:36], v[54:55], v[37:38]
	v_fma_f64 v[31:32], v[33:34], v[54:55], v[31:32]
	v_fma_f64 v[37:38], -v[33:34], v[56:57], v[37:38]
	v_cvt_f64_f32_e32 v[33:34], v27
	v_cvt_f64_f32_e32 v[27:28], v28
	v_fma_f64 v[31:32], v[35:36], v[56:57], v[31:32]
	v_fma_f64 v[35:36], v[33:34], v[50:51], v[37:38]
	v_fma_f64 v[35:36], -v[27:28], v[52:53], v[35:36]
	v_fma_f64 v[27:28], v[27:28], v[50:51], v[31:32]
	v_cvt_f64_f32_e32 v[31:32], v29
	v_cvt_f64_f32_e32 v[29:30], v30
	v_fma_f64 v[27:28], v[33:34], v[52:53], v[27:28]
	v_fma_f64 v[33:34], v[31:32], v[46:47], v[35:36]
	;; [unrolled: 1-line block ×3, first 2 shown]
	v_fma_f64 v[70:71], -v[29:30], v[48:49], v[33:34]
	v_fma_f64 v[72:73], v[31:32], v[48:49], v[27:28]
	global_load_dwordx4 v[27:30], v[23:24], off offset:1136
	global_load_dwordx4 v[31:34], v[23:24], off offset:1120
	;; [unrolled: 1-line block ×4, first 2 shown]
	s_waitcnt vmcnt(0)
	v_cvt_f64_f32_e32 v[64:65], v39
	v_cvt_f64_f32_e32 v[39:40], v40
	v_fma_f64 v[74:75], v[64:65], v[58:59], v[84:85]
	v_fma_f64 v[74:75], -v[39:40], v[60:61], v[74:75]
	v_fma_f64 v[39:40], v[39:40], v[58:59], v[86:87]
	v_fma_f64 v[39:40], v[64:65], v[60:61], v[39:40]
	v_cvt_f64_f32_e32 v[64:65], v41
	v_cvt_f64_f32_e32 v[41:42], v42
	v_fma_f64 v[74:75], v[64:65], v[54:55], v[74:75]
	v_fma_f64 v[39:40], v[41:42], v[54:55], v[39:40]
	v_fma_f64 v[74:75], -v[41:42], v[56:57], v[74:75]
	v_cvt_f64_f32_e32 v[41:42], v35
	v_cvt_f64_f32_e32 v[35:36], v36
	v_fma_f64 v[39:40], v[64:65], v[56:57], v[39:40]
	v_fma_f64 v[64:65], v[41:42], v[50:51], v[74:75]
	v_fma_f64 v[64:65], -v[35:36], v[52:53], v[64:65]
	v_fma_f64 v[35:36], v[35:36], v[50:51], v[39:40]
	v_cvt_f64_f32_e32 v[39:40], v37
	v_cvt_f64_f32_e32 v[37:38], v38
	v_fma_f64 v[35:36], v[41:42], v[52:53], v[35:36]
	v_fma_f64 v[41:42], v[39:40], v[46:47], v[64:65]
	;; [unrolled: 1-line block ×3, first 2 shown]
	v_fma_f64 v[74:75], -v[37:38], v[48:49], v[41:42]
	v_fma_f64 v[76:77], v[39:40], v[48:49], v[35:36]
	v_cvt_f64_f32_e32 v[35:36], v31
	v_cvt_f64_f32_e32 v[31:32], v32
	v_fma_f64 v[37:38], v[35:36], v[58:59], v[66:67]
	v_fma_f64 v[37:38], -v[31:32], v[60:61], v[37:38]
	v_fma_f64 v[31:32], v[31:32], v[58:59], v[62:63]
	v_fma_f64 v[31:32], v[35:36], v[60:61], v[31:32]
	v_cvt_f64_f32_e32 v[35:36], v33
	v_cvt_f64_f32_e32 v[33:34], v34
	v_fma_f64 v[37:38], v[35:36], v[54:55], v[37:38]
	v_fma_f64 v[31:32], v[33:34], v[54:55], v[31:32]
	v_fma_f64 v[37:38], -v[33:34], v[56:57], v[37:38]
	v_cvt_f64_f32_e32 v[33:34], v27
	v_cvt_f64_f32_e32 v[27:28], v28
	v_fma_f64 v[31:32], v[35:36], v[56:57], v[31:32]
	v_fma_f64 v[35:36], v[33:34], v[50:51], v[37:38]
	v_fma_f64 v[35:36], -v[27:28], v[52:53], v[35:36]
	v_fma_f64 v[27:28], v[27:28], v[50:51], v[31:32]
	v_cvt_f64_f32_e32 v[31:32], v29
	v_cvt_f64_f32_e32 v[29:30], v30
	v_fma_f64 v[27:28], v[33:34], v[52:53], v[27:28]
	v_fma_f64 v[33:34], v[31:32], v[46:47], v[35:36]
	;; [unrolled: 1-line block ×3, first 2 shown]
	v_fma_f64 v[78:79], -v[29:30], v[48:49], v[33:34]
	v_fma_f64 v[80:81], v[31:32], v[48:49], v[27:28]
	global_load_dwordx2 v[27:28], v[25:26], off
	global_load_dwordx4 v[29:32], v[23:24], off offset:2096
	global_load_dwordx4 v[35:38], v[23:24], off offset:2080
	;; [unrolled: 1-line block ×4, first 2 shown]
	s_waitcnt vmcnt(4)
	v_sub_co_u32_e32 v27, vcc, v27, v9
	v_subb_co_u32_e32 v28, vcc, v28, v10, vcc
	v_lshlrev_b64 v[27:28], 6, v[27:28]
	s_waitcnt vmcnt(0)
	v_cvt_f64_f32_e32 v[33:34], v46
	v_add_co_u32_e32 v27, vcc, s6, v27
	v_addc_co_u32_e32 v28, vcc, v45, v28, vcc
	global_load_dwordx4 v[50:53], v[27:28], off offset:48
	global_load_dwordx4 v[54:57], v[27:28], off offset:32
	global_load_dwordx4 v[58:61], v[27:28], off offset:16
	global_load_dwordx4 v[62:65], v[27:28], off
	v_cvt_f64_f32_e32 v[46:47], v47
	s_waitcnt vmcnt(0)
	v_fma_f64 v[27:28], v[33:34], v[62:63], v[43:44]
	v_fma_f64 v[43:44], v[46:47], v[62:63], v[68:69]
	v_fma_f64 v[27:28], -v[46:47], v[64:65], v[27:28]
	v_fma_f64 v[33:34], v[33:34], v[64:65], v[43:44]
	v_cvt_f64_f32_e32 v[46:47], v49
	v_cvt_f64_f32_e32 v[43:44], v48
	v_fma_f64 v[27:28], v[43:44], v[58:59], v[27:28]
	v_fma_f64 v[33:34], v[46:47], v[58:59], v[33:34]
	v_fma_f64 v[27:28], -v[46:47], v[60:61], v[27:28]
	v_fma_f64 v[33:34], v[43:44], v[60:61], v[33:34]
	v_cvt_f64_f32_e32 v[43:44], v39
	v_cvt_f64_f32_e32 v[39:40], v40
	v_fma_f64 v[27:28], v[43:44], v[54:55], v[27:28]
	v_fma_f64 v[33:34], v[39:40], v[54:55], v[33:34]
	v_fma_f64 v[27:28], -v[39:40], v[56:57], v[27:28]
	v_fma_f64 v[33:34], v[43:44], v[56:57], v[33:34]
	v_cvt_f64_f32_e32 v[39:40], v41
	v_cvt_f64_f32_e32 v[41:42], v42
	v_fma_f64 v[27:28], v[39:40], v[50:51], v[27:28]
	v_fma_f64 v[33:34], v[41:42], v[50:51], v[33:34]
	v_fma_f64 v[27:28], -v[41:42], v[52:53], v[27:28]
	v_fma_f64 v[33:34], v[39:40], v[52:53], v[33:34]
	v_cvt_f64_f32_e32 v[39:40], v35
	v_cvt_f64_f32_e32 v[35:36], v36
	v_fma_f64 v[41:42], v[39:40], v[62:63], v[70:71]
	v_fma_f64 v[41:42], -v[35:36], v[64:65], v[41:42]
	v_fma_f64 v[35:36], v[35:36], v[62:63], v[72:73]
	v_fma_f64 v[35:36], v[39:40], v[64:65], v[35:36]
	v_cvt_f64_f32_e32 v[39:40], v37
	v_cvt_f64_f32_e32 v[37:38], v38
	v_fma_f64 v[41:42], v[39:40], v[58:59], v[41:42]
	v_fma_f64 v[35:36], v[37:38], v[58:59], v[35:36]
	v_fma_f64 v[41:42], -v[37:38], v[60:61], v[41:42]
	v_cvt_f64_f32_e32 v[37:38], v29
	v_cvt_f64_f32_e32 v[29:30], v30
	v_fma_f64 v[35:36], v[39:40], v[60:61], v[35:36]
	v_fma_f64 v[39:40], v[37:38], v[54:55], v[41:42]
	v_fma_f64 v[39:40], -v[29:30], v[56:57], v[39:40]
	v_fma_f64 v[29:30], v[29:30], v[54:55], v[35:36]
	v_cvt_f64_f32_e32 v[35:36], v31
	v_cvt_f64_f32_e32 v[31:32], v32
	v_fma_f64 v[29:30], v[37:38], v[56:57], v[29:30]
	v_fma_f64 v[37:38], v[35:36], v[50:51], v[39:40]
	;; [unrolled: 1-line block ×3, first 2 shown]
	v_fma_f64 v[39:40], -v[31:32], v[52:53], v[37:38]
	v_fma_f64 v[41:42], v[35:36], v[52:53], v[29:30]
	global_load_dwordx4 v[35:38], v[23:24], off offset:2160
	global_load_dwordx4 v[46:49], v[23:24], off offset:2144
	;; [unrolled: 1-line block ×4, first 2 shown]
	s_waitcnt vmcnt(0)
	v_cvt_f64_f32_e32 v[43:44], v66
	v_cvt_f64_f32_e32 v[66:67], v67
	v_fma_f64 v[70:71], v[43:44], v[62:63], v[74:75]
	v_fma_f64 v[70:71], -v[66:67], v[64:65], v[70:71]
	v_fma_f64 v[66:67], v[66:67], v[62:63], v[76:77]
	v_fma_f64 v[43:44], v[43:44], v[64:65], v[66:67]
	v_cvt_f64_f32_e32 v[66:67], v68
	v_cvt_f64_f32_e32 v[68:69], v69
	v_fma_f64 v[70:71], v[66:67], v[58:59], v[70:71]
	v_fma_f64 v[43:44], v[68:69], v[58:59], v[43:44]
	v_fma_f64 v[70:71], -v[68:69], v[60:61], v[70:71]
	v_fma_f64 v[43:44], v[66:67], v[60:61], v[43:44]
	v_cvt_f64_f32_e32 v[66:67], v29
	v_cvt_f64_f32_e32 v[29:30], v30
	v_fma_f64 v[68:69], v[66:67], v[54:55], v[70:71]
	v_fma_f64 v[68:69], -v[29:30], v[56:57], v[68:69]
	v_fma_f64 v[29:30], v[29:30], v[54:55], v[43:44]
	v_fma_f64 v[43:44], v[66:67], v[56:57], v[29:30]
	v_cvt_f64_f32_e32 v[66:67], v31
	v_cvt_f64_f32_e32 v[31:32], v32
	v_fma_f64 v[29:30], v[66:67], v[50:51], v[68:69]
	v_fma_f64 v[29:30], -v[31:32], v[52:53], v[29:30]
	v_fma_f64 v[31:32], v[31:32], v[50:51], v[43:44]
	v_cvt_f64_f32_e32 v[43:44], v46
	v_cvt_f64_f32_e32 v[46:47], v47
	v_fma_f64 v[31:32], v[66:67], v[52:53], v[31:32]
	v_fma_f64 v[66:67], v[43:44], v[62:63], v[78:79]
	v_fma_f64 v[66:67], -v[46:47], v[64:65], v[66:67]
	v_fma_f64 v[46:47], v[46:47], v[62:63], v[80:81]
	v_fma_f64 v[43:44], v[43:44], v[64:65], v[46:47]
	v_cvt_f64_f32_e32 v[46:47], v48
	v_cvt_f64_f32_e32 v[48:49], v49
	v_fma_f64 v[62:63], v[46:47], v[58:59], v[66:67]
	v_fma_f64 v[43:44], v[48:49], v[58:59], v[43:44]
	v_fma_f64 v[62:63], -v[48:49], v[60:61], v[62:63]
	v_fma_f64 v[43:44], v[46:47], v[60:61], v[43:44]
	v_cvt_f64_f32_e32 v[46:47], v35
	v_cvt_f64_f32_e32 v[35:36], v36
	v_fma_f64 v[48:49], v[46:47], v[54:55], v[62:63]
	v_fma_f64 v[48:49], -v[35:36], v[56:57], v[48:49]
	v_fma_f64 v[35:36], v[35:36], v[54:55], v[43:44]
	v_fma_f64 v[43:44], v[46:47], v[56:57], v[35:36]
	v_cvt_f64_f32_e32 v[46:47], v37
	v_cvt_f64_f32_e32 v[37:38], v38
	v_fma_f64 v[35:36], v[46:47], v[50:51], v[48:49]
	v_fma_f64 v[35:36], -v[37:38], v[52:53], v[35:36]
	v_fma_f64 v[37:38], v[37:38], v[50:51], v[43:44]
	global_load_dwordx2 v[43:44], v[25:26], off offset:64
	v_fma_f64 v[37:38], v[46:47], v[52:53], v[37:38]
	global_load_dwordx4 v[46:49], v[23:24], off offset:3120
	global_load_dwordx4 v[50:53], v[23:24], off offset:3104
	;; [unrolled: 1-line block ×4, first 2 shown]
	s_waitcnt vmcnt(4)
	v_sub_co_u32_e32 v43, vcc, v43, v9
	v_subb_co_u32_e32 v44, vcc, v44, v10, vcc
	v_lshlrev_b64 v[43:44], 6, v[43:44]
	v_add_co_u32_e32 v43, vcc, s6, v43
	v_addc_co_u32_e32 v44, vcc, v45, v44, vcc
	global_load_dwordx4 v[62:65], v[43:44], off offset:48
	global_load_dwordx4 v[66:69], v[43:44], off offset:32
	;; [unrolled: 1-line block ×3, first 2 shown]
	global_load_dwordx4 v[74:77], v[43:44], off
	s_waitcnt vmcnt(4)
	v_cvt_f64_f32_e32 v[78:79], v58
	v_cvt_f64_f32_e32 v[58:59], v59
	;; [unrolled: 1-line block ×3, first 2 shown]
	s_waitcnt vmcnt(0)
	v_fma_f64 v[33:34], v[58:59], v[74:75], v[33:34]
	v_fma_f64 v[27:28], v[78:79], v[74:75], v[27:28]
	;; [unrolled: 1-line block ×3, first 2 shown]
	v_fma_f64 v[27:28], -v[58:59], v[76:77], v[27:28]
	v_cvt_f64_f32_e32 v[58:59], v61
	v_fma_f64 v[33:34], v[58:59], v[70:71], v[33:34]
	v_fma_f64 v[27:28], v[43:44], v[70:71], v[27:28]
	;; [unrolled: 1-line block ×3, first 2 shown]
	v_fma_f64 v[27:28], -v[58:59], v[72:73], v[27:28]
	v_cvt_f64_f32_e32 v[43:44], v54
	v_cvt_f64_f32_e32 v[54:55], v55
	v_fma_f64 v[33:34], v[54:55], v[66:67], v[33:34]
	v_fma_f64 v[27:28], v[43:44], v[66:67], v[27:28]
	;; [unrolled: 1-line block ×3, first 2 shown]
	v_fma_f64 v[27:28], -v[54:55], v[68:69], v[27:28]
	v_cvt_f64_f32_e32 v[54:55], v57
	v_cvt_f64_f32_e32 v[43:44], v56
	v_fma_f64 v[33:34], v[54:55], v[62:63], v[33:34]
	v_fma_f64 v[27:28], v[43:44], v[62:63], v[27:28]
	;; [unrolled: 1-line block ×3, first 2 shown]
	v_cvt_f64_f32_e32 v[43:44], v50
	v_cvt_f64_f32_e32 v[50:51], v51
	v_fma_f64 v[27:28], -v[54:55], v[64:65], v[27:28]
	v_fma_f64 v[39:40], v[43:44], v[74:75], v[39:40]
	v_fma_f64 v[41:42], v[50:51], v[74:75], v[41:42]
	v_fma_f64 v[39:40], -v[50:51], v[76:77], v[39:40]
	v_fma_f64 v[41:42], v[43:44], v[76:77], v[41:42]
	v_cvt_f64_f32_e32 v[43:44], v52
	v_cvt_f64_f32_e32 v[50:51], v53
	v_fma_f64 v[39:40], v[43:44], v[70:71], v[39:40]
	v_fma_f64 v[41:42], v[50:51], v[70:71], v[41:42]
	v_fma_f64 v[39:40], -v[50:51], v[72:73], v[39:40]
	v_fma_f64 v[41:42], v[43:44], v[72:73], v[41:42]
	v_cvt_f64_f32_e32 v[43:44], v46
	v_cvt_f64_f32_e32 v[46:47], v47
	v_fma_f64 v[39:40], v[43:44], v[66:67], v[39:40]
	v_fma_f64 v[41:42], v[46:47], v[66:67], v[41:42]
	v_fma_f64 v[39:40], -v[46:47], v[68:69], v[39:40]
	v_cvt_f64_f32_e32 v[46:47], v48
	v_fma_f64 v[43:44], v[43:44], v[68:69], v[41:42]
	v_cvt_f64_f32_e32 v[48:49], v49
	v_fma_f64 v[39:40], v[46:47], v[62:63], v[39:40]
	v_fma_f64 v[41:42], -v[48:49], v[64:65], v[39:40]
	v_fma_f64 v[39:40], v[48:49], v[62:63], v[43:44]
	v_fma_f64 v[39:40], v[46:47], v[64:65], v[39:40]
	global_load_dwordx4 v[46:49], v[23:24], off offset:3184
	global_load_dwordx4 v[50:53], v[23:24], off offset:3168
	;; [unrolled: 1-line block ×4, first 2 shown]
	v_add_co_u32_e32 v23, vcc, s14, v23
	v_addc_co_u32_e32 v24, vcc, 0, v24, vcc
	v_add_co_u32_e32 v19, vcc, 32, v19
	v_addc_co_u32_e32 v20, vcc, 0, v20, vcc
	;; [unrolled: 2-line block ×3, first 2 shown]
	v_cmp_ge_i64_e32 vcc, v[19:20], v[13:14]
	s_or_b64 s[10:11], vcc, s[10:11]
	s_waitcnt vmcnt(0)
	v_cvt_f64_f32_e32 v[43:44], v58
	v_cvt_f64_f32_e32 v[58:59], v59
	v_fma_f64 v[29:30], v[43:44], v[74:75], v[29:30]
	v_fma_f64 v[31:32], v[58:59], v[74:75], v[31:32]
	v_fma_f64 v[29:30], -v[58:59], v[76:77], v[29:30]
	v_fma_f64 v[31:32], v[43:44], v[76:77], v[31:32]
	v_cvt_f64_f32_e32 v[43:44], v60
	v_cvt_f64_f32_e32 v[58:59], v61
	v_fma_f64 v[29:30], v[43:44], v[70:71], v[29:30]
	v_fma_f64 v[31:32], v[58:59], v[70:71], v[31:32]
	v_fma_f64 v[29:30], -v[58:59], v[72:73], v[29:30]
	v_fma_f64 v[31:32], v[43:44], v[72:73], v[31:32]
	v_cvt_f64_f32_e32 v[43:44], v54
	v_cvt_f64_f32_e32 v[54:55], v55
	v_fma_f64 v[29:30], v[43:44], v[66:67], v[29:30]
	v_fma_f64 v[31:32], v[54:55], v[66:67], v[31:32]
	v_fma_f64 v[29:30], -v[54:55], v[68:69], v[29:30]
	v_cvt_f64_f32_e32 v[54:55], v56
	v_fma_f64 v[43:44], v[43:44], v[68:69], v[31:32]
	v_cvt_f64_f32_e32 v[56:57], v57
	v_fma_f64 v[29:30], v[54:55], v[62:63], v[29:30]
	v_fma_f64 v[31:32], -v[56:57], v[64:65], v[29:30]
	v_fma_f64 v[29:30], v[56:57], v[62:63], v[43:44]
	v_cvt_f64_f32_e32 v[43:44], v50
	v_cvt_f64_f32_e32 v[50:51], v51
	v_fma_f64 v[35:36], v[43:44], v[74:75], v[35:36]
	v_fma_f64 v[37:38], v[50:51], v[74:75], v[37:38]
	;; [unrolled: 1-line block ×3, first 2 shown]
	v_fma_f64 v[35:36], -v[50:51], v[76:77], v[35:36]
	v_fma_f64 v[37:38], v[43:44], v[76:77], v[37:38]
	v_cvt_f64_f32_e32 v[43:44], v52
	v_cvt_f64_f32_e32 v[50:51], v53
	v_fma_f64 v[35:36], v[43:44], v[70:71], v[35:36]
	v_fma_f64 v[37:38], v[50:51], v[70:71], v[37:38]
	v_fma_f64 v[35:36], -v[50:51], v[72:73], v[35:36]
	v_fma_f64 v[37:38], v[43:44], v[72:73], v[37:38]
	v_cvt_f64_f32_e32 v[43:44], v46
	v_cvt_f64_f32_e32 v[46:47], v47
	v_fma_f64 v[35:36], v[43:44], v[66:67], v[35:36]
	v_fma_f64 v[37:38], v[46:47], v[66:67], v[37:38]
	v_fma_f64 v[35:36], -v[46:47], v[68:69], v[35:36]
	v_fma_f64 v[37:38], v[43:44], v[68:69], v[37:38]
	v_cvt_f64_f32_e32 v[43:44], v48
	v_cvt_f64_f32_e32 v[46:47], v49
	v_fma_f64 v[35:36], v[43:44], v[62:63], v[35:36]
	v_fma_f64 v[37:38], v[46:47], v[62:63], v[37:38]
	v_fma_f64 v[35:36], -v[46:47], v[64:65], v[35:36]
	v_fma_f64 v[37:38], v[43:44], v[64:65], v[37:38]
	s_andn2_b64 exec, exec, s[10:11]
	s_cbranch_execnz .LBB176_21
; %bb.22:
	s_or_b64 exec, exec, s[10:11]
.LBB176_23:
	s_or_b64 exec, exec, s[2:3]
.LBB176_24:
	s_or_b64 exec, exec, s[8:9]
	s_cbranch_execz .LBB176_26
	s_branch .LBB176_37
.LBB176_25:
                                        ; implicit-def: $vgpr33_vgpr34
                                        ; implicit-def: $vgpr27_vgpr28
                                        ; implicit-def: $vgpr39_vgpr40
                                        ; implicit-def: $vgpr41_vgpr42
                                        ; implicit-def: $vgpr29_vgpr30
                                        ; implicit-def: $vgpr31_vgpr32
                                        ; implicit-def: $vgpr37_vgpr38
                                        ; implicit-def: $vgpr35_vgpr36
.LBB176_26:
	v_mov_b32_e32 v33, 0
	v_mov_b32_e32 v27, 0
	;; [unrolled: 1-line block ×16, first 2 shown]
	s_and_saveexec_b64 s[2:3], s[0:1]
	s_cbranch_execz .LBB176_36
; %bb.27:
	v_or_b32_e32 v19, 8, v0
	v_sub_co_u32_e32 v19, vcc, v19, v9
	v_subb_co_u32_e32 v20, vcc, 0, v10, vcc
	v_add_co_u32_e32 v19, vcc, v19, v17
	v_addc_co_u32_e32 v20, vcc, v20, v18, vcc
	v_cmp_gt_i64_e32 vcc, v[19:20], v[13:14]
	v_not_b32_e32 v17, v17
	v_cndmask_b32_e32 v20, v14, v20, vcc
	v_cndmask_b32_e32 v19, v13, v19, vcc
	v_sub_co_u32_e32 v23, vcc, v9, v0
	v_subbrev_co_u32_e32 v24, vcc, 0, v10, vcc
	v_not_b32_e32 v18, v18
	v_add_co_u32_e32 v17, vcc, v23, v17
	v_addc_co_u32_e32 v18, vcc, v24, v18, vcc
	v_add_co_u32_e32 v17, vcc, v17, v19
	v_addc_co_u32_e32 v18, vcc, v18, v20, vcc
	v_and_b32_e32 v19, 24, v17
	v_mov_b32_e32 v20, 0
	v_cmp_ne_u64_e32 vcc, 24, v[19:20]
	v_mov_b32_e32 v35, 0
	v_mov_b32_e32 v37, 0
	;; [unrolled: 1-line block ×16, first 2 shown]
	s_and_saveexec_b64 s[0:1], vcc
	s_cbranch_execz .LBB176_31
; %bb.28:
	v_lshrrev_b32_e32 v19, 3, v17
	v_add_u32_e32 v19, 1, v19
	v_and_b32_e32 v23, 3, v19
	v_lshlrev_b64 v[19:20], 3, v[11:12]
	v_mov_b32_e32 v24, s13
	v_add_co_u32_e32 v19, vcc, s12, v19
	v_addc_co_u32_e32 v20, vcc, v24, v20, vcc
	v_sub_co_u32_e32 v23, vcc, 0, v23
	v_subb_co_u32_e64 v24, s[10:11], 0, 0, vcc
	v_mov_b32_e32 v33, 0
	v_mov_b32_e32 v27, 0
	v_mov_b32_e32 v39, 0
	v_mov_b32_e32 v41, 0
	v_mov_b32_e32 v29, 0
	v_mov_b32_e32 v31, 0
	v_mov_b32_e32 v37, 0
	v_mov_b32_e32 v35, 0
	s_mov_b64 s[8:9], 0
	v_mov_b32_e32 v34, 0
	v_mov_b32_e32 v28, 0
	;; [unrolled: 1-line block ×8, first 2 shown]
	s_movk_i32 s10, 0x400
.LBB176_29:                             ; =>This Inner Loop Header: Depth=1
	global_load_dwordx2 v[25:26], v[19:20], off
	global_load_dwordx4 v[43:46], v[15:16], off offset:48
	global_load_dwordx4 v[47:50], v[15:16], off offset:32
	;; [unrolled: 1-line block ×3, first 2 shown]
	global_load_dwordx4 v[55:58], v[15:16], off
	v_mov_b32_e32 v59, s7
	s_waitcnt vmcnt(4)
	v_sub_co_u32_e32 v25, vcc, v25, v9
	v_subb_co_u32_e32 v26, vcc, v26, v10, vcc
	v_lshlrev_b64 v[25:26], 6, v[25:26]
	s_waitcnt vmcnt(0)
	v_cvt_f64_f32_e32 v[75:76], v55
	v_add_co_u32_e32 v25, vcc, s6, v25
	v_addc_co_u32_e32 v26, vcc, v59, v26, vcc
	global_load_dwordx4 v[59:62], v[25:26], off offset:48
	global_load_dwordx4 v[63:66], v[25:26], off offset:32
	;; [unrolled: 1-line block ×3, first 2 shown]
	global_load_dwordx4 v[71:74], v[25:26], off
	v_cvt_f64_f32_e32 v[55:56], v56
	s_waitcnt vmcnt(0)
	v_fma_f64 v[25:26], v[75:76], v[71:72], v[27:28]
	v_fma_f64 v[27:28], v[55:56], v[71:72], v[33:34]
	v_cvt_f64_f32_e32 v[33:34], v57
	v_fma_f64 v[41:42], v[33:34], v[71:72], v[41:42]
	v_fma_f64 v[25:26], -v[55:56], v[73:74], v[25:26]
	v_cvt_f64_f32_e32 v[55:56], v58
	v_fma_f64 v[27:28], v[75:76], v[73:74], v[27:28]
	v_fma_f64 v[39:40], v[55:56], v[71:72], v[39:40]
	v_fma_f64 v[41:42], -v[55:56], v[73:74], v[41:42]
	v_fma_f64 v[33:34], v[33:34], v[73:74], v[39:40]
	v_cvt_f64_f32_e32 v[39:40], v51
	v_cvt_f64_f32_e32 v[51:52], v52
	v_fma_f64 v[31:32], v[39:40], v[71:72], v[31:32]
	v_fma_f64 v[29:30], v[51:52], v[71:72], v[29:30]
	v_fma_f64 v[31:32], -v[51:52], v[73:74], v[31:32]
	v_cvt_f64_f32_e32 v[51:52], v54
	v_fma_f64 v[29:30], v[39:40], v[73:74], v[29:30]
	v_cvt_f64_f32_e32 v[39:40], v53
	v_fma_f64 v[37:38], v[51:52], v[71:72], v[37:38]
	v_fma_f64 v[35:36], v[39:40], v[71:72], v[35:36]
	;; [unrolled: 1-line block ×3, first 2 shown]
	v_cvt_f64_f32_e32 v[39:40], v47
	v_cvt_f64_f32_e32 v[47:48], v48
	v_fma_f64 v[35:36], -v[51:52], v[73:74], v[35:36]
	v_fma_f64 v[25:26], v[39:40], v[67:68], v[25:26]
	v_fma_f64 v[27:28], v[47:48], v[67:68], v[27:28]
	v_fma_f64 v[25:26], -v[47:48], v[69:70], v[25:26]
	v_fma_f64 v[47:48], v[39:40], v[69:70], v[27:28]
	v_cvt_f64_f32_e32 v[39:40], v50
	v_cvt_f64_f32_e32 v[27:28], v49
	v_fma_f64 v[33:34], v[39:40], v[67:68], v[33:34]
	v_fma_f64 v[41:42], v[27:28], v[67:68], v[41:42]
	;; [unrolled: 1-line block ×3, first 2 shown]
	v_cvt_f64_f32_e32 v[33:34], v44
	v_cvt_f64_f32_e32 v[27:28], v43
	v_fma_f64 v[49:50], -v[39:40], v[69:70], v[41:42]
	v_fma_f64 v[29:30], v[33:34], v[67:68], v[29:30]
	v_fma_f64 v[31:32], v[27:28], v[67:68], v[31:32]
	;; [unrolled: 1-line block ×3, first 2 shown]
	v_cvt_f64_f32_e32 v[27:28], v45
	v_fma_f64 v[43:44], -v[33:34], v[69:70], v[31:32]
	v_cvt_f64_f32_e32 v[29:30], v46
	v_fma_f64 v[31:32], v[27:28], v[67:68], v[35:36]
	v_fma_f64 v[45:46], -v[29:30], v[69:70], v[31:32]
	v_fma_f64 v[29:30], v[29:30], v[67:68], v[37:38]
	v_fma_f64 v[55:56], v[27:28], v[69:70], v[29:30]
	global_load_dwordx4 v[35:38], v[15:16], off offset:112
	global_load_dwordx4 v[27:30], v[15:16], off offset:96
	;; [unrolled: 1-line block ×4, first 2 shown]
	v_add_co_u32_e32 v15, vcc, s10, v15
	v_addc_co_u32_e32 v16, vcc, 0, v16, vcc
	v_add_co_u32_e32 v11, vcc, 8, v11
	v_addc_co_u32_e32 v12, vcc, 0, v12, vcc
	;; [unrolled: 2-line block ×4, first 2 shown]
	v_cmp_eq_u64_e32 vcc, 0, v[23:24]
	s_or_b64 s[8:9], vcc, s[8:9]
	s_waitcnt vmcnt(0)
	v_cvt_f64_f32_e32 v[57:58], v39
	v_cvt_f64_f32_e32 v[39:40], v40
	v_fma_f64 v[25:26], v[57:58], v[63:64], v[25:26]
	v_fma_f64 v[25:26], -v[39:40], v[65:66], v[25:26]
	v_fma_f64 v[39:40], v[39:40], v[63:64], v[47:48]
	v_cvt_f64_f32_e32 v[47:48], v41
	v_cvt_f64_f32_e32 v[41:42], v42
	v_fma_f64 v[49:50], v[47:48], v[63:64], v[49:50]
	v_fma_f64 v[39:40], v[57:58], v[65:66], v[39:40]
	v_fma_f64 v[49:50], -v[41:42], v[65:66], v[49:50]
	v_fma_f64 v[41:42], v[41:42], v[63:64], v[51:52]
	v_fma_f64 v[47:48], v[47:48], v[65:66], v[41:42]
	v_cvt_f64_f32_e32 v[41:42], v31
	v_cvt_f64_f32_e32 v[31:32], v32
	v_fma_f64 v[43:44], v[41:42], v[63:64], v[43:44]
	v_fma_f64 v[43:44], -v[31:32], v[65:66], v[43:44]
	v_fma_f64 v[31:32], v[31:32], v[63:64], v[53:54]
	v_fma_f64 v[51:52], v[41:42], v[65:66], v[31:32]
	v_cvt_f64_f32_e32 v[31:32], v33
	v_cvt_f64_f32_e32 v[33:34], v34
	;; [unrolled: 6-line block ×6, first 2 shown]
	v_fma_f64 v[35:36], v[25:26], v[59:60], v[45:46]
	v_fma_f64 v[35:36], -v[37:38], v[61:62], v[35:36]
	v_fma_f64 v[37:38], v[37:38], v[59:60], v[53:54]
	v_fma_f64 v[37:38], v[25:26], v[61:62], v[37:38]
	s_andn2_b64 exec, exec, s[8:9]
	s_cbranch_execnz .LBB176_29
; %bb.30:
	s_or_b64 exec, exec, s[8:9]
.LBB176_31:
	s_or_b64 exec, exec, s[0:1]
	v_cmp_lt_u64_e32 vcc, 23, v[17:18]
	s_and_saveexec_b64 s[0:1], vcc
	s_cbranch_execz .LBB176_35
; %bb.32:
	v_lshlrev_b64 v[17:18], 3, v[11:12]
	v_mov_b32_e32 v19, s13
	v_add_co_u32_e32 v17, vcc, s12, v17
	v_addc_co_u32_e32 v18, vcc, v19, v18, vcc
	v_add_co_u32_e32 v17, vcc, 0x80, v17
	v_addc_co_u32_e32 v18, vcc, 0, v18, vcc
	s_mov_b64 s[8:9], 0
	v_mov_b32_e32 v43, s7
	s_movk_i32 s7, 0x1000
.LBB176_33:                             ; =>This Inner Loop Header: Depth=1
	global_load_dwordx2 v[19:20], v[17:18], off offset:-128
	global_load_dwordx4 v[23:26], v[15:16], off offset:48
	global_load_dwordx4 v[44:47], v[15:16], off offset:32
	;; [unrolled: 1-line block ×3, first 2 shown]
	global_load_dwordx4 v[52:55], v[15:16], off
	s_waitcnt vmcnt(4)
	v_sub_co_u32_e32 v19, vcc, v19, v9
	v_subb_co_u32_e32 v20, vcc, v20, v10, vcc
	v_lshlrev_b64 v[19:20], 6, v[19:20]
	s_waitcnt vmcnt(0)
	v_cvt_f64_f32_e32 v[72:73], v52
	v_add_co_u32_e32 v19, vcc, s6, v19
	v_addc_co_u32_e32 v20, vcc, v43, v20, vcc
	global_load_dwordx4 v[56:59], v[19:20], off offset:48
	global_load_dwordx4 v[60:63], v[19:20], off offset:32
	;; [unrolled: 1-line block ×3, first 2 shown]
	global_load_dwordx4 v[68:71], v[19:20], off
	v_cvt_f64_f32_e32 v[52:53], v53
	s_waitcnt vmcnt(0)
	v_fma_f64 v[19:20], v[72:73], v[68:69], v[27:28]
	v_fma_f64 v[27:28], v[52:53], v[68:69], v[33:34]
	v_cvt_f64_f32_e32 v[33:34], v54
	v_fma_f64 v[41:42], v[33:34], v[68:69], v[41:42]
	v_fma_f64 v[19:20], -v[52:53], v[70:71], v[19:20]
	v_cvt_f64_f32_e32 v[52:53], v55
	v_fma_f64 v[27:28], v[72:73], v[70:71], v[27:28]
	v_fma_f64 v[39:40], v[52:53], v[68:69], v[39:40]
	v_fma_f64 v[41:42], -v[52:53], v[70:71], v[41:42]
	v_fma_f64 v[33:34], v[33:34], v[70:71], v[39:40]
	v_cvt_f64_f32_e32 v[39:40], v48
	v_cvt_f64_f32_e32 v[48:49], v49
	v_fma_f64 v[31:32], v[39:40], v[68:69], v[31:32]
	v_fma_f64 v[29:30], v[48:49], v[68:69], v[29:30]
	v_fma_f64 v[31:32], -v[48:49], v[70:71], v[31:32]
	v_cvt_f64_f32_e32 v[48:49], v51
	v_fma_f64 v[29:30], v[39:40], v[70:71], v[29:30]
	v_cvt_f64_f32_e32 v[39:40], v50
	v_fma_f64 v[37:38], v[48:49], v[68:69], v[37:38]
	v_fma_f64 v[35:36], v[39:40], v[68:69], v[35:36]
	v_fma_f64 v[37:38], v[39:40], v[70:71], v[37:38]
	v_cvt_f64_f32_e32 v[39:40], v44
	v_cvt_f64_f32_e32 v[44:45], v45
	v_fma_f64 v[35:36], -v[48:49], v[70:71], v[35:36]
	v_fma_f64 v[19:20], v[39:40], v[64:65], v[19:20]
	v_fma_f64 v[27:28], v[44:45], v[64:65], v[27:28]
	v_fma_f64 v[19:20], -v[44:45], v[66:67], v[19:20]
	v_fma_f64 v[39:40], v[39:40], v[66:67], v[27:28]
	v_cvt_f64_f32_e32 v[27:28], v46
	v_cvt_f64_f32_e32 v[44:45], v47
	v_fma_f64 v[41:42], v[27:28], v[64:65], v[41:42]
	v_fma_f64 v[33:34], v[44:45], v[64:65], v[33:34]
	v_fma_f64 v[41:42], -v[44:45], v[66:67], v[41:42]
	v_fma_f64 v[44:45], v[27:28], v[66:67], v[33:34]
	v_cvt_f64_f32_e32 v[27:28], v23
	v_cvt_f64_f32_e32 v[23:24], v24
	v_fma_f64 v[31:32], v[27:28], v[64:65], v[31:32]
	v_fma_f64 v[46:47], -v[23:24], v[66:67], v[31:32]
	v_fma_f64 v[23:24], v[23:24], v[64:65], v[29:30]
	v_fma_f64 v[48:49], v[27:28], v[66:67], v[23:24]
	v_cvt_f64_f32_e32 v[23:24], v25
	v_cvt_f64_f32_e32 v[25:26], v26
	v_fma_f64 v[27:28], v[23:24], v[64:65], v[35:36]
	v_fma_f64 v[50:51], -v[25:26], v[66:67], v[27:28]
	v_fma_f64 v[25:26], v[25:26], v[64:65], v[37:38]
	v_fma_f64 v[52:53], v[23:24], v[66:67], v[25:26]
	global_load_dwordx4 v[23:26], v[15:16], off offset:112
	global_load_dwordx4 v[27:30], v[15:16], off offset:96
	;; [unrolled: 1-line block ×4, first 2 shown]
	s_waitcnt vmcnt(0)
	v_cvt_f64_f32_e32 v[54:55], v35
	v_cvt_f64_f32_e32 v[35:36], v36
	v_fma_f64 v[19:20], v[54:55], v[60:61], v[19:20]
	v_fma_f64 v[19:20], -v[35:36], v[62:63], v[19:20]
	v_fma_f64 v[35:36], v[35:36], v[60:61], v[39:40]
	v_cvt_f64_f32_e32 v[39:40], v37
	v_cvt_f64_f32_e32 v[37:38], v38
	v_fma_f64 v[41:42], v[39:40], v[60:61], v[41:42]
	v_fma_f64 v[35:36], v[54:55], v[62:63], v[35:36]
	v_fma_f64 v[41:42], -v[37:38], v[62:63], v[41:42]
	v_fma_f64 v[37:38], v[37:38], v[60:61], v[44:45]
	v_fma_f64 v[37:38], v[39:40], v[62:63], v[37:38]
	v_cvt_f64_f32_e32 v[39:40], v31
	v_cvt_f64_f32_e32 v[31:32], v32
	v_fma_f64 v[44:45], v[39:40], v[60:61], v[46:47]
	v_fma_f64 v[44:45], -v[31:32], v[62:63], v[44:45]
	v_fma_f64 v[31:32], v[31:32], v[60:61], v[48:49]
	v_fma_f64 v[31:32], v[39:40], v[62:63], v[31:32]
	v_cvt_f64_f32_e32 v[39:40], v33
	v_cvt_f64_f32_e32 v[33:34], v34
	;; [unrolled: 6-line block ×6, first 2 shown]
	v_fma_f64 v[27:28], v[23:24], v[56:57], v[46:47]
	v_fma_f64 v[70:71], -v[25:26], v[58:59], v[27:28]
	v_fma_f64 v[25:26], v[25:26], v[56:57], v[33:34]
	v_fma_f64 v[56:57], v[23:24], v[58:59], v[25:26]
	global_load_dwordx2 v[23:24], v[17:18], off offset:-64
	s_waitcnt vmcnt(0)
	v_sub_co_u32_e32 v39, vcc, v23, v9
	v_subb_co_u32_e32 v40, vcc, v24, v10, vcc
	global_load_dwordx4 v[23:26], v[15:16], off offset:1072
	global_load_dwordx4 v[27:30], v[15:16], off offset:1056
	;; [unrolled: 1-line block ×4, first 2 shown]
	v_lshlrev_b64 v[39:40], 6, v[39:40]
	v_add_co_u32_e32 v72, vcc, s6, v39
	v_addc_co_u32_e32 v73, vcc, v43, v40, vcc
	global_load_dwordx4 v[39:42], v[72:73], off offset:48
	global_load_dwordx4 v[44:47], v[72:73], off offset:32
	;; [unrolled: 1-line block ×3, first 2 shown]
	global_load_dwordx4 v[52:55], v[72:73], off
	s_waitcnt vmcnt(4)
	v_cvt_f64_f32_e32 v[58:59], v35
	v_cvt_f64_f32_e32 v[35:36], v36
	s_waitcnt vmcnt(0)
	v_fma_f64 v[19:20], v[58:59], v[52:53], v[19:20]
	v_fma_f64 v[19:20], -v[35:36], v[54:55], v[19:20]
	v_fma_f64 v[35:36], v[35:36], v[52:53], v[60:61]
	v_fma_f64 v[35:36], v[58:59], v[54:55], v[35:36]
	v_cvt_f64_f32_e32 v[58:59], v37
	v_cvt_f64_f32_e32 v[37:38], v38
	v_fma_f64 v[60:61], v[58:59], v[52:53], v[62:63]
	v_fma_f64 v[60:61], -v[37:38], v[54:55], v[60:61]
	v_fma_f64 v[37:38], v[37:38], v[52:53], v[64:65]
	v_fma_f64 v[37:38], v[58:59], v[54:55], v[37:38]
	v_cvt_f64_f32_e32 v[58:59], v31
	v_cvt_f64_f32_e32 v[31:32], v32
	;; [unrolled: 6-line block ×3, first 2 shown]
	v_fma_f64 v[64:65], v[58:59], v[52:53], v[70:71]
	v_fma_f64 v[64:65], -v[33:34], v[54:55], v[64:65]
	v_fma_f64 v[33:34], v[33:34], v[52:53], v[56:57]
	v_cvt_f64_f32_e32 v[52:53], v27
	v_cvt_f64_f32_e32 v[27:28], v28
	v_fma_f64 v[19:20], v[52:53], v[48:49], v[19:20]
	v_fma_f64 v[33:34], v[58:59], v[54:55], v[33:34]
	v_fma_f64 v[19:20], -v[27:28], v[50:51], v[19:20]
	v_fma_f64 v[27:28], v[27:28], v[48:49], v[35:36]
	v_fma_f64 v[52:53], v[52:53], v[50:51], v[27:28]
	v_cvt_f64_f32_e32 v[27:28], v29
	v_cvt_f64_f32_e32 v[29:30], v30
	v_fma_f64 v[35:36], v[27:28], v[48:49], v[60:61]
	v_fma_f64 v[54:55], -v[29:30], v[50:51], v[35:36]
	v_fma_f64 v[29:30], v[29:30], v[48:49], v[37:38]
	v_fma_f64 v[56:57], v[27:28], v[50:51], v[29:30]
	v_cvt_f64_f32_e32 v[27:28], v23
	v_cvt_f64_f32_e32 v[23:24], v24
	;; [unrolled: 6-line block ×3, first 2 shown]
	v_fma_f64 v[27:28], v[23:24], v[48:49], v[64:65]
	v_fma_f64 v[62:63], -v[25:26], v[50:51], v[27:28]
	v_fma_f64 v[25:26], v[25:26], v[48:49], v[33:34]
	v_fma_f64 v[48:49], v[23:24], v[50:51], v[25:26]
	global_load_dwordx4 v[23:26], v[15:16], off offset:1136
	global_load_dwordx4 v[27:30], v[15:16], off offset:1120
	;; [unrolled: 1-line block ×4, first 2 shown]
	s_waitcnt vmcnt(0)
	v_cvt_f64_f32_e32 v[50:51], v35
	v_cvt_f64_f32_e32 v[35:36], v36
	v_fma_f64 v[19:20], v[50:51], v[44:45], v[19:20]
	v_fma_f64 v[19:20], -v[35:36], v[46:47], v[19:20]
	v_fma_f64 v[35:36], v[35:36], v[44:45], v[52:53]
	v_fma_f64 v[35:36], v[50:51], v[46:47], v[35:36]
	v_cvt_f64_f32_e32 v[50:51], v37
	v_cvt_f64_f32_e32 v[37:38], v38
	v_fma_f64 v[52:53], v[50:51], v[44:45], v[54:55]
	v_fma_f64 v[52:53], -v[37:38], v[46:47], v[52:53]
	v_fma_f64 v[37:38], v[37:38], v[44:45], v[56:57]
	v_fma_f64 v[37:38], v[50:51], v[46:47], v[37:38]
	;; [unrolled: 6-line block ×3, first 2 shown]
	v_cvt_f64_f32_e32 v[50:51], v33
	v_cvt_f64_f32_e32 v[33:34], v34
	v_fma_f64 v[56:57], v[50:51], v[44:45], v[62:63]
	v_fma_f64 v[56:57], -v[33:34], v[46:47], v[56:57]
	v_fma_f64 v[33:34], v[33:34], v[44:45], v[48:49]
	v_cvt_f64_f32_e32 v[44:45], v27
	v_cvt_f64_f32_e32 v[27:28], v28
	v_fma_f64 v[19:20], v[44:45], v[39:40], v[19:20]
	v_fma_f64 v[33:34], v[50:51], v[46:47], v[33:34]
	v_fma_f64 v[19:20], -v[27:28], v[41:42], v[19:20]
	v_fma_f64 v[27:28], v[27:28], v[39:40], v[35:36]
	v_fma_f64 v[58:59], v[44:45], v[41:42], v[27:28]
	v_cvt_f64_f32_e32 v[27:28], v29
	v_cvt_f64_f32_e32 v[29:30], v30
	v_fma_f64 v[35:36], v[27:28], v[39:40], v[52:53]
	v_fma_f64 v[60:61], -v[29:30], v[41:42], v[35:36]
	v_fma_f64 v[29:30], v[29:30], v[39:40], v[37:38]
	v_fma_f64 v[62:63], v[27:28], v[41:42], v[29:30]
	v_cvt_f64_f32_e32 v[27:28], v23
	v_cvt_f64_f32_e32 v[23:24], v24
	;; [unrolled: 6-line block ×3, first 2 shown]
	v_fma_f64 v[27:28], v[23:24], v[39:40], v[56:57]
	v_fma_f64 v[56:57], -v[25:26], v[41:42], v[27:28]
	v_fma_f64 v[25:26], v[25:26], v[39:40], v[33:34]
	v_fma_f64 v[68:69], v[23:24], v[41:42], v[25:26]
	global_load_dwordx2 v[23:24], v[17:18], off
	s_waitcnt vmcnt(0)
	v_sub_co_u32_e32 v39, vcc, v23, v9
	v_subb_co_u32_e32 v40, vcc, v24, v10, vcc
	global_load_dwordx4 v[23:26], v[15:16], off offset:2096
	global_load_dwordx4 v[27:30], v[15:16], off offset:2080
	;; [unrolled: 1-line block ×4, first 2 shown]
	v_lshlrev_b64 v[39:40], 6, v[39:40]
	v_add_co_u32_e32 v72, vcc, s6, v39
	v_addc_co_u32_e32 v73, vcc, v43, v40, vcc
	global_load_dwordx4 v[39:42], v[72:73], off offset:48
	global_load_dwordx4 v[44:47], v[72:73], off offset:32
	;; [unrolled: 1-line block ×3, first 2 shown]
	global_load_dwordx4 v[52:55], v[72:73], off
	s_waitcnt vmcnt(4)
	v_cvt_f64_f32_e32 v[70:71], v35
	v_cvt_f64_f32_e32 v[35:36], v36
	s_waitcnt vmcnt(0)
	v_fma_f64 v[19:20], v[70:71], v[52:53], v[19:20]
	v_fma_f64 v[19:20], -v[35:36], v[54:55], v[19:20]
	v_fma_f64 v[35:36], v[35:36], v[52:53], v[58:59]
	v_cvt_f64_f32_e32 v[58:59], v37
	v_cvt_f64_f32_e32 v[37:38], v38
	v_fma_f64 v[60:61], v[58:59], v[52:53], v[60:61]
	v_fma_f64 v[35:36], v[70:71], v[54:55], v[35:36]
	v_fma_f64 v[60:61], -v[37:38], v[54:55], v[60:61]
	v_fma_f64 v[37:38], v[37:38], v[52:53], v[62:63]
	v_fma_f64 v[37:38], v[58:59], v[54:55], v[37:38]
	v_cvt_f64_f32_e32 v[58:59], v31
	v_cvt_f64_f32_e32 v[31:32], v32
	v_fma_f64 v[62:63], v[58:59], v[52:53], v[64:65]
	v_fma_f64 v[62:63], -v[31:32], v[54:55], v[62:63]
	v_fma_f64 v[31:32], v[31:32], v[52:53], v[66:67]
	v_fma_f64 v[31:32], v[58:59], v[54:55], v[31:32]
	v_cvt_f64_f32_e32 v[58:59], v33
	v_cvt_f64_f32_e32 v[33:34], v34
	v_fma_f64 v[56:57], v[58:59], v[52:53], v[56:57]
	v_fma_f64 v[56:57], -v[33:34], v[54:55], v[56:57]
	v_fma_f64 v[33:34], v[33:34], v[52:53], v[68:69]
	v_cvt_f64_f32_e32 v[52:53], v27
	v_cvt_f64_f32_e32 v[27:28], v28
	v_fma_f64 v[19:20], v[52:53], v[48:49], v[19:20]
	v_fma_f64 v[33:34], v[58:59], v[54:55], v[33:34]
	v_fma_f64 v[19:20], -v[27:28], v[50:51], v[19:20]
	v_fma_f64 v[27:28], v[27:28], v[48:49], v[35:36]
	v_fma_f64 v[35:36], v[52:53], v[50:51], v[27:28]
	v_cvt_f64_f32_e32 v[27:28], v29
	v_cvt_f64_f32_e32 v[29:30], v30
	v_fma_f64 v[52:53], v[27:28], v[48:49], v[60:61]
	v_fma_f64 v[52:53], -v[29:30], v[50:51], v[52:53]
	v_fma_f64 v[29:30], v[29:30], v[48:49], v[37:38]
	v_fma_f64 v[37:38], v[27:28], v[50:51], v[29:30]
	v_cvt_f64_f32_e32 v[27:28], v23
	v_cvt_f64_f32_e32 v[23:24], v24
	;; [unrolled: 6-line block ×3, first 2 shown]
	v_fma_f64 v[27:28], v[23:24], v[48:49], v[56:57]
	v_fma_f64 v[56:57], -v[25:26], v[50:51], v[27:28]
	v_fma_f64 v[25:26], v[25:26], v[48:49], v[33:34]
	v_fma_f64 v[60:61], v[23:24], v[50:51], v[25:26]
	global_load_dwordx4 v[48:51], v[15:16], off offset:2160
	global_load_dwordx4 v[23:26], v[15:16], off offset:2144
	;; [unrolled: 1-line block ×4, first 2 shown]
	s_waitcnt vmcnt(0)
	v_cvt_f64_f32_e32 v[62:63], v31
	v_cvt_f64_f32_e32 v[31:32], v32
	v_fma_f64 v[19:20], v[62:63], v[44:45], v[19:20]
	v_fma_f64 v[19:20], -v[31:32], v[46:47], v[19:20]
	v_fma_f64 v[31:32], v[31:32], v[44:45], v[35:36]
	v_cvt_f64_f32_e32 v[35:36], v33
	v_cvt_f64_f32_e32 v[33:34], v34
	v_fma_f64 v[52:53], v[35:36], v[44:45], v[52:53]
	v_fma_f64 v[31:32], v[62:63], v[46:47], v[31:32]
	v_fma_f64 v[52:53], -v[33:34], v[46:47], v[52:53]
	v_fma_f64 v[33:34], v[33:34], v[44:45], v[37:38]
	v_fma_f64 v[37:38], v[35:36], v[46:47], v[33:34]
	v_cvt_f64_f32_e32 v[33:34], v27
	v_cvt_f64_f32_e32 v[27:28], v28
	v_fma_f64 v[35:36], v[33:34], v[44:45], v[54:55]
	v_fma_f64 v[54:55], -v[27:28], v[46:47], v[35:36]
	v_fma_f64 v[27:28], v[27:28], v[44:45], v[58:59]
	v_fma_f64 v[27:28], v[33:34], v[46:47], v[27:28]
	v_cvt_f64_f32_e32 v[33:34], v29
	v_cvt_f64_f32_e32 v[29:30], v30
	;; [unrolled: 6-line block ×3, first 2 shown]
	v_fma_f64 v[19:20], v[29:30], v[39:40], v[19:20]
	v_fma_f64 v[33:34], -v[23:24], v[41:42], v[19:20]
	v_fma_f64 v[19:20], v[23:24], v[39:40], v[31:32]
	v_cvt_f64_f32_e32 v[23:24], v26
	v_fma_f64 v[35:36], v[29:30], v[41:42], v[19:20]
	v_cvt_f64_f32_e32 v[19:20], v25
	v_fma_f64 v[25:26], v[19:20], v[39:40], v[52:53]
	v_fma_f64 v[29:30], -v[23:24], v[41:42], v[25:26]
	v_fma_f64 v[23:24], v[23:24], v[39:40], v[37:38]
	v_cvt_f64_f32_e32 v[37:38], v51
	v_fma_f64 v[31:32], v[19:20], v[41:42], v[23:24]
	v_cvt_f64_f32_e32 v[19:20], v48
	v_cvt_f64_f32_e32 v[23:24], v49
	v_fma_f64 v[25:26], v[19:20], v[39:40], v[54:55]
	v_fma_f64 v[25:26], -v[23:24], v[41:42], v[25:26]
	v_fma_f64 v[23:24], v[23:24], v[39:40], v[27:28]
	v_fma_f64 v[27:28], v[19:20], v[41:42], v[23:24]
	v_cvt_f64_f32_e32 v[23:24], v50
	v_fma_f64 v[19:20], v[23:24], v[39:40], v[56:57]
	v_fma_f64 v[19:20], -v[37:38], v[41:42], v[19:20]
	v_fma_f64 v[37:38], v[37:38], v[39:40], v[44:45]
	v_fma_f64 v[23:24], v[23:24], v[41:42], v[37:38]
	global_load_dwordx2 v[37:38], v[17:18], off offset:64
	s_waitcnt vmcnt(0)
	v_sub_co_u32_e32 v41, vcc, v37, v9
	v_subb_co_u32_e32 v42, vcc, v38, v10, vcc
	global_load_dwordx4 v[37:40], v[15:16], off offset:3120
	global_load_dwordx4 v[44:47], v[15:16], off offset:3104
	;; [unrolled: 1-line block ×4, first 2 shown]
	v_lshlrev_b64 v[41:42], 6, v[41:42]
	v_add_co_u32_e32 v41, vcc, s6, v41
	v_addc_co_u32_e32 v42, vcc, v43, v42, vcc
	global_load_dwordx4 v[56:59], v[41:42], off offset:48
	global_load_dwordx4 v[60:63], v[41:42], off offset:32
	;; [unrolled: 1-line block ×3, first 2 shown]
	global_load_dwordx4 v[68:71], v[41:42], off
	s_waitcnt vmcnt(4)
	v_cvt_f64_f32_e32 v[72:73], v52
	v_cvt_f64_f32_e32 v[52:53], v53
	;; [unrolled: 1-line block ×3, first 2 shown]
	s_waitcnt vmcnt(0)
	v_fma_f64 v[33:34], v[72:73], v[68:69], v[33:34]
	v_fma_f64 v[35:36], v[52:53], v[68:69], v[35:36]
	;; [unrolled: 1-line block ×3, first 2 shown]
	v_fma_f64 v[33:34], -v[52:53], v[70:71], v[33:34]
	v_cvt_f64_f32_e32 v[52:53], v55
	v_fma_f64 v[35:36], v[72:73], v[70:71], v[35:36]
	v_fma_f64 v[31:32], v[52:53], v[68:69], v[31:32]
	v_fma_f64 v[29:30], -v[52:53], v[70:71], v[29:30]
	v_fma_f64 v[31:32], v[41:42], v[70:71], v[31:32]
	v_cvt_f64_f32_e32 v[41:42], v48
	v_cvt_f64_f32_e32 v[48:49], v49
	v_fma_f64 v[25:26], v[41:42], v[68:69], v[25:26]
	v_fma_f64 v[27:28], v[48:49], v[68:69], v[27:28]
	v_fma_f64 v[25:26], -v[48:49], v[70:71], v[25:26]
	v_cvt_f64_f32_e32 v[48:49], v51
	v_fma_f64 v[27:28], v[41:42], v[70:71], v[27:28]
	v_cvt_f64_f32_e32 v[41:42], v50
	v_fma_f64 v[23:24], v[48:49], v[68:69], v[23:24]
	v_fma_f64 v[19:20], v[41:42], v[68:69], v[19:20]
	;; [unrolled: 1-line block ×3, first 2 shown]
	v_cvt_f64_f32_e32 v[41:42], v44
	v_cvt_f64_f32_e32 v[44:45], v45
	v_fma_f64 v[19:20], -v[48:49], v[70:71], v[19:20]
	v_fma_f64 v[33:34], v[41:42], v[64:65], v[33:34]
	v_fma_f64 v[48:49], -v[44:45], v[66:67], v[33:34]
	v_fma_f64 v[33:34], v[44:45], v[64:65], v[35:36]
	v_cvt_f64_f32_e32 v[35:36], v47
	v_fma_f64 v[41:42], v[41:42], v[66:67], v[33:34]
	v_cvt_f64_f32_e32 v[33:34], v46
	v_fma_f64 v[29:30], v[33:34], v[64:65], v[29:30]
	v_fma_f64 v[44:45], -v[35:36], v[66:67], v[29:30]
	v_fma_f64 v[29:30], v[35:36], v[64:65], v[31:32]
	v_cvt_f64_f32_e32 v[31:32], v38
	v_fma_f64 v[46:47], v[33:34], v[66:67], v[29:30]
	v_cvt_f64_f32_e32 v[29:30], v37
	v_fma_f64 v[25:26], v[29:30], v[64:65], v[25:26]
	v_fma_f64 v[50:51], -v[31:32], v[66:67], v[25:26]
	v_fma_f64 v[25:26], v[31:32], v[64:65], v[27:28]
	v_cvt_f64_f32_e32 v[27:28], v40
	v_fma_f64 v[23:24], v[27:28], v[64:65], v[23:24]
	v_fma_f64 v[52:53], v[29:30], v[66:67], v[25:26]
	v_cvt_f64_f32_e32 v[25:26], v39
	v_fma_f64 v[19:20], v[25:26], v[64:65], v[19:20]
	v_fma_f64 v[39:40], v[25:26], v[66:67], v[23:24]
	v_fma_f64 v[19:20], -v[27:28], v[66:67], v[19:20]
	global_load_dwordx4 v[23:26], v[15:16], off offset:3184
	global_load_dwordx4 v[27:30], v[15:16], off offset:3168
	;; [unrolled: 1-line block ×4, first 2 shown]
	v_add_co_u32_e32 v15, vcc, s7, v15
	v_addc_co_u32_e32 v16, vcc, 0, v16, vcc
	v_add_co_u32_e32 v11, vcc, 32, v11
	v_addc_co_u32_e32 v12, vcc, 0, v12, vcc
	;; [unrolled: 2-line block ×3, first 2 shown]
	v_cmp_ge_i64_e32 vcc, v[11:12], v[13:14]
	s_or_b64 s[8:9], vcc, s[8:9]
	s_waitcnt vmcnt(0)
	v_cvt_f64_f32_e32 v[54:55], v35
	v_cvt_f64_f32_e32 v[35:36], v36
	v_fma_f64 v[48:49], v[54:55], v[60:61], v[48:49]
	v_fma_f64 v[48:49], -v[35:36], v[62:63], v[48:49]
	v_fma_f64 v[35:36], v[35:36], v[60:61], v[41:42]
	v_cvt_f64_f32_e32 v[41:42], v37
	v_cvt_f64_f32_e32 v[37:38], v38
	v_fma_f64 v[44:45], v[41:42], v[60:61], v[44:45]
	v_fma_f64 v[35:36], v[54:55], v[62:63], v[35:36]
	v_fma_f64 v[44:45], -v[37:38], v[62:63], v[44:45]
	v_fma_f64 v[37:38], v[37:38], v[60:61], v[46:47]
	v_fma_f64 v[37:38], v[41:42], v[62:63], v[37:38]
	v_cvt_f64_f32_e32 v[41:42], v31
	v_cvt_f64_f32_e32 v[31:32], v32
	v_fma_f64 v[46:47], v[41:42], v[60:61], v[50:51]
	v_fma_f64 v[46:47], -v[31:32], v[62:63], v[46:47]
	v_fma_f64 v[31:32], v[31:32], v[60:61], v[52:53]
	v_fma_f64 v[50:51], v[41:42], v[62:63], v[31:32]
	v_cvt_f64_f32_e32 v[31:32], v33
	v_cvt_f64_f32_e32 v[33:34], v34
	;; [unrolled: 6-line block ×6, first 2 shown]
	v_fma_f64 v[19:20], v[23:24], v[56:57], v[19:20]
	v_fma_f64 v[35:36], -v[25:26], v[58:59], v[19:20]
	v_fma_f64 v[19:20], v[25:26], v[56:57], v[52:53]
	v_fma_f64 v[37:38], v[23:24], v[58:59], v[19:20]
	s_andn2_b64 exec, exec, s[8:9]
	s_cbranch_execnz .LBB176_33
; %bb.34:
	s_or_b64 exec, exec, s[8:9]
.LBB176_35:
	s_or_b64 exec, exec, s[0:1]
.LBB176_36:
	s_or_b64 exec, exec, s[2:3]
.LBB176_37:
	v_mov_b32_dpp v9, v27 row_shr:1 row_mask:0xf bank_mask:0xf
	v_mov_b32_dpp v10, v28 row_shr:1 row_mask:0xf bank_mask:0xf
	v_add_f64 v[9:10], v[27:28], v[9:10]
	v_mov_b32_dpp v11, v33 row_shr:1 row_mask:0xf bank_mask:0xf
	v_mov_b32_dpp v12, v34 row_shr:1 row_mask:0xf bank_mask:0xf
	;; [unrolled: 1-line block ×4, first 2 shown]
	v_add_f64 v[11:12], v[33:34], v[11:12]
	v_add_f64 v[13:14], v[41:42], v[13:14]
	v_mov_b32_dpp v17, v39 row_shr:1 row_mask:0xf bank_mask:0xf
	v_mov_b32_dpp v18, v40 row_shr:1 row_mask:0xf bank_mask:0xf
	v_add_f64 v[17:18], v[39:40], v[17:18]
	v_mov_b32_dpp v15, v9 row_shr:2 row_mask:0xf bank_mask:0xf
	v_mov_b32_dpp v16, v10 row_shr:2 row_mask:0xf bank_mask:0xf
	;; [unrolled: 3-line block ×14, first 2 shown]
	v_mov_b32_dpp v23, v11 row_shr:4 row_mask:0xf bank_mask:0xe
	v_mov_b32_dpp v24, v12 row_shr:4 row_mask:0xf bank_mask:0xe
	;; [unrolled: 1-line block ×14, first 2 shown]
	v_cmp_eq_u32_e32 vcc, 7, v0
	s_and_b64 exec, exec, vcc
	s_cbranch_execz .LBB176_8
; %bb.38:
	v_add_f64 v[11:12], v[11:12], v[23:24]
	v_add_f64 v[23:24], v[13:14], v[19:20]
	;; [unrolled: 1-line block ×8, first 2 shown]
	v_mul_f64 v[19:20], v[11:12], -v[7:8]
	v_mul_f64 v[11:12], v[5:6], v[11:12]
	v_mul_f64 v[29:30], v[13:14], -v[7:8]
	v_mul_f64 v[31:32], v[5:6], v[13:14]
	;; [unrolled: 2-line block ×4, first 2 shown]
	v_cmp_eq_f64_e32 vcc, 0, v[1:2]
	v_cmp_eq_f64_e64 s[0:1], 0, v[3:4]
	v_fma_f64 v[17:18], v[5:6], v[9:10], v[19:20]
	v_fma_f64 v[19:20], v[7:8], v[9:10], v[11:12]
	;; [unrolled: 1-line block ×8, first 2 shown]
	s_load_dwordx2 s[2:3], s[4:5], 0x68
	v_lshlrev_b64 v[21:22], 6, v[21:22]
	s_and_b64 s[0:1], vcc, s[0:1]
	s_and_saveexec_b64 s[4:5], s[0:1]
	s_xor_b64 s[0:1], exec, s[4:5]
	s_cbranch_execz .LBB176_40
; %bb.39:
	s_waitcnt lgkmcnt(0)
	v_mov_b32_e32 v1, s3
	v_add_co_u32_e32 v0, vcc, s2, v21
	v_addc_co_u32_e32 v1, vcc, v1, v22, vcc
	global_store_dwordx4 v[0:1], v[17:20], off
	global_store_dwordx4 v[0:1], v[13:16], off offset:16
	global_store_dwordx4 v[0:1], v[9:12], off offset:32
	;; [unrolled: 1-line block ×3, first 2 shown]
                                        ; implicit-def: $vgpr3_vgpr4
                                        ; implicit-def: $vgpr17_vgpr18
                                        ; implicit-def: $vgpr21_vgpr22
                                        ; implicit-def: $vgpr13_vgpr14
                                        ; implicit-def: $vgpr9_vgpr10
                                        ; implicit-def: $vgpr5_vgpr6
.LBB176_40:
	s_andn2_saveexec_b64 s[0:1], s[0:1]
	s_cbranch_execz .LBB176_8
; %bb.41:
	s_waitcnt lgkmcnt(0)
	v_mov_b32_e32 v0, s3
	v_add_co_u32_e32 v37, vcc, s2, v21
	v_addc_co_u32_e32 v38, vcc, v0, v22, vcc
	global_load_dwordx4 v[21:24], v[37:38], off
	global_load_dwordx4 v[25:28], v[37:38], off offset:16
	global_load_dwordx4 v[29:32], v[37:38], off offset:32
	;; [unrolled: 1-line block ×3, first 2 shown]
	s_waitcnt vmcnt(3)
	v_fma_f64 v[17:18], v[1:2], v[21:22], v[17:18]
	v_fma_f64 v[19:20], v[3:4], v[21:22], v[19:20]
	s_waitcnt vmcnt(2)
	v_fma_f64 v[13:14], v[1:2], v[25:26], v[13:14]
	v_fma_f64 v[15:16], v[3:4], v[25:26], v[15:16]
	;; [unrolled: 3-line block ×4, first 2 shown]
	v_fma_f64 v[5:6], -v[3:4], v[23:24], v[17:18]
	v_fma_f64 v[7:8], v[1:2], v[23:24], v[19:20]
	v_fma_f64 v[9:10], -v[3:4], v[27:28], v[13:14]
	v_fma_f64 v[11:12], v[1:2], v[27:28], v[15:16]
	v_fma_f64 v[13:14], -v[3:4], v[31:32], v[21:22]
	v_fma_f64 v[15:16], v[1:2], v[31:32], v[25:26]
	v_fma_f64 v[17:18], -v[3:4], v[35:36], v[29:30]
	v_fma_f64 v[19:20], v[1:2], v[35:36], v[33:34]
	global_store_dwordx4 v[37:38], v[5:8], off
	global_store_dwordx4 v[37:38], v[9:12], off offset:16
	global_store_dwordx4 v[37:38], v[13:16], off offset:32
	global_store_dwordx4 v[37:38], v[17:20], off offset:48
	s_endpgm
	.section	.rodata,"a",@progbits
	.p2align	6, 0x0
	.amdhsa_kernel _ZN9rocsparseL18bsrxmvn_4x4_kernelILj128ELj8E21rocsparse_complex_numIdEllS1_IfES2_S2_EEvT3_20rocsparse_direction_NS_24const_host_device_scalarIT1_EES4_PKS4_PKT2_SD_SA_PKT4_PKT5_S8_PT6_21rocsparse_index_base_b
		.amdhsa_group_segment_fixed_size 0
		.amdhsa_private_segment_fixed_size 0
		.amdhsa_kernarg_size 120
		.amdhsa_user_sgpr_count 6
		.amdhsa_user_sgpr_private_segment_buffer 1
		.amdhsa_user_sgpr_dispatch_ptr 0
		.amdhsa_user_sgpr_queue_ptr 0
		.amdhsa_user_sgpr_kernarg_segment_ptr 1
		.amdhsa_user_sgpr_dispatch_id 0
		.amdhsa_user_sgpr_flat_scratch_init 0
		.amdhsa_user_sgpr_private_segment_size 0
		.amdhsa_uses_dynamic_stack 0
		.amdhsa_system_sgpr_private_segment_wavefront_offset 0
		.amdhsa_system_sgpr_workgroup_id_x 1
		.amdhsa_system_sgpr_workgroup_id_y 0
		.amdhsa_system_sgpr_workgroup_id_z 0
		.amdhsa_system_sgpr_workgroup_info 0
		.amdhsa_system_vgpr_workitem_id 0
		.amdhsa_next_free_vgpr 88
		.amdhsa_next_free_sgpr 17
		.amdhsa_reserve_vcc 1
		.amdhsa_reserve_flat_scratch 0
		.amdhsa_float_round_mode_32 0
		.amdhsa_float_round_mode_16_64 0
		.amdhsa_float_denorm_mode_32 3
		.amdhsa_float_denorm_mode_16_64 3
		.amdhsa_dx10_clamp 1
		.amdhsa_ieee_mode 1
		.amdhsa_fp16_overflow 0
		.amdhsa_exception_fp_ieee_invalid_op 0
		.amdhsa_exception_fp_denorm_src 0
		.amdhsa_exception_fp_ieee_div_zero 0
		.amdhsa_exception_fp_ieee_overflow 0
		.amdhsa_exception_fp_ieee_underflow 0
		.amdhsa_exception_fp_ieee_inexact 0
		.amdhsa_exception_int_div_zero 0
	.end_amdhsa_kernel
	.section	.text._ZN9rocsparseL18bsrxmvn_4x4_kernelILj128ELj8E21rocsparse_complex_numIdEllS1_IfES2_S2_EEvT3_20rocsparse_direction_NS_24const_host_device_scalarIT1_EES4_PKS4_PKT2_SD_SA_PKT4_PKT5_S8_PT6_21rocsparse_index_base_b,"axG",@progbits,_ZN9rocsparseL18bsrxmvn_4x4_kernelILj128ELj8E21rocsparse_complex_numIdEllS1_IfES2_S2_EEvT3_20rocsparse_direction_NS_24const_host_device_scalarIT1_EES4_PKS4_PKT2_SD_SA_PKT4_PKT5_S8_PT6_21rocsparse_index_base_b,comdat
.Lfunc_end176:
	.size	_ZN9rocsparseL18bsrxmvn_4x4_kernelILj128ELj8E21rocsparse_complex_numIdEllS1_IfES2_S2_EEvT3_20rocsparse_direction_NS_24const_host_device_scalarIT1_EES4_PKS4_PKT2_SD_SA_PKT4_PKT5_S8_PT6_21rocsparse_index_base_b, .Lfunc_end176-_ZN9rocsparseL18bsrxmvn_4x4_kernelILj128ELj8E21rocsparse_complex_numIdEllS1_IfES2_S2_EEvT3_20rocsparse_direction_NS_24const_host_device_scalarIT1_EES4_PKS4_PKT2_SD_SA_PKT4_PKT5_S8_PT6_21rocsparse_index_base_b
                                        ; -- End function
	.set _ZN9rocsparseL18bsrxmvn_4x4_kernelILj128ELj8E21rocsparse_complex_numIdEllS1_IfES2_S2_EEvT3_20rocsparse_direction_NS_24const_host_device_scalarIT1_EES4_PKS4_PKT2_SD_SA_PKT4_PKT5_S8_PT6_21rocsparse_index_base_b.num_vgpr, 88
	.set _ZN9rocsparseL18bsrxmvn_4x4_kernelILj128ELj8E21rocsparse_complex_numIdEllS1_IfES2_S2_EEvT3_20rocsparse_direction_NS_24const_host_device_scalarIT1_EES4_PKS4_PKT2_SD_SA_PKT4_PKT5_S8_PT6_21rocsparse_index_base_b.num_agpr, 0
	.set _ZN9rocsparseL18bsrxmvn_4x4_kernelILj128ELj8E21rocsparse_complex_numIdEllS1_IfES2_S2_EEvT3_20rocsparse_direction_NS_24const_host_device_scalarIT1_EES4_PKS4_PKT2_SD_SA_PKT4_PKT5_S8_PT6_21rocsparse_index_base_b.numbered_sgpr, 17
	.set _ZN9rocsparseL18bsrxmvn_4x4_kernelILj128ELj8E21rocsparse_complex_numIdEllS1_IfES2_S2_EEvT3_20rocsparse_direction_NS_24const_host_device_scalarIT1_EES4_PKS4_PKT2_SD_SA_PKT4_PKT5_S8_PT6_21rocsparse_index_base_b.num_named_barrier, 0
	.set _ZN9rocsparseL18bsrxmvn_4x4_kernelILj128ELj8E21rocsparse_complex_numIdEllS1_IfES2_S2_EEvT3_20rocsparse_direction_NS_24const_host_device_scalarIT1_EES4_PKS4_PKT2_SD_SA_PKT4_PKT5_S8_PT6_21rocsparse_index_base_b.private_seg_size, 0
	.set _ZN9rocsparseL18bsrxmvn_4x4_kernelILj128ELj8E21rocsparse_complex_numIdEllS1_IfES2_S2_EEvT3_20rocsparse_direction_NS_24const_host_device_scalarIT1_EES4_PKS4_PKT2_SD_SA_PKT4_PKT5_S8_PT6_21rocsparse_index_base_b.uses_vcc, 1
	.set _ZN9rocsparseL18bsrxmvn_4x4_kernelILj128ELj8E21rocsparse_complex_numIdEllS1_IfES2_S2_EEvT3_20rocsparse_direction_NS_24const_host_device_scalarIT1_EES4_PKS4_PKT2_SD_SA_PKT4_PKT5_S8_PT6_21rocsparse_index_base_b.uses_flat_scratch, 0
	.set _ZN9rocsparseL18bsrxmvn_4x4_kernelILj128ELj8E21rocsparse_complex_numIdEllS1_IfES2_S2_EEvT3_20rocsparse_direction_NS_24const_host_device_scalarIT1_EES4_PKS4_PKT2_SD_SA_PKT4_PKT5_S8_PT6_21rocsparse_index_base_b.has_dyn_sized_stack, 0
	.set _ZN9rocsparseL18bsrxmvn_4x4_kernelILj128ELj8E21rocsparse_complex_numIdEllS1_IfES2_S2_EEvT3_20rocsparse_direction_NS_24const_host_device_scalarIT1_EES4_PKS4_PKT2_SD_SA_PKT4_PKT5_S8_PT6_21rocsparse_index_base_b.has_recursion, 0
	.set _ZN9rocsparseL18bsrxmvn_4x4_kernelILj128ELj8E21rocsparse_complex_numIdEllS1_IfES2_S2_EEvT3_20rocsparse_direction_NS_24const_host_device_scalarIT1_EES4_PKS4_PKT2_SD_SA_PKT4_PKT5_S8_PT6_21rocsparse_index_base_b.has_indirect_call, 0
	.section	.AMDGPU.csdata,"",@progbits
; Kernel info:
; codeLenInByte = 10548
; TotalNumSgprs: 21
; NumVgprs: 88
; ScratchSize: 0
; MemoryBound: 0
; FloatMode: 240
; IeeeMode: 1
; LDSByteSize: 0 bytes/workgroup (compile time only)
; SGPRBlocks: 2
; VGPRBlocks: 21
; NumSGPRsForWavesPerEU: 21
; NumVGPRsForWavesPerEU: 88
; Occupancy: 2
; WaveLimiterHint : 1
; COMPUTE_PGM_RSRC2:SCRATCH_EN: 0
; COMPUTE_PGM_RSRC2:USER_SGPR: 6
; COMPUTE_PGM_RSRC2:TRAP_HANDLER: 0
; COMPUTE_PGM_RSRC2:TGID_X_EN: 1
; COMPUTE_PGM_RSRC2:TGID_Y_EN: 0
; COMPUTE_PGM_RSRC2:TGID_Z_EN: 0
; COMPUTE_PGM_RSRC2:TIDIG_COMP_CNT: 0
	.section	.text._ZN9rocsparseL18bsrxmvn_4x4_kernelILj128ELj16E21rocsparse_complex_numIdEllS1_IfES2_S2_EEvT3_20rocsparse_direction_NS_24const_host_device_scalarIT1_EES4_PKS4_PKT2_SD_SA_PKT4_PKT5_S8_PT6_21rocsparse_index_base_b,"axG",@progbits,_ZN9rocsparseL18bsrxmvn_4x4_kernelILj128ELj16E21rocsparse_complex_numIdEllS1_IfES2_S2_EEvT3_20rocsparse_direction_NS_24const_host_device_scalarIT1_EES4_PKS4_PKT2_SD_SA_PKT4_PKT5_S8_PT6_21rocsparse_index_base_b,comdat
	.globl	_ZN9rocsparseL18bsrxmvn_4x4_kernelILj128ELj16E21rocsparse_complex_numIdEllS1_IfES2_S2_EEvT3_20rocsparse_direction_NS_24const_host_device_scalarIT1_EES4_PKS4_PKT2_SD_SA_PKT4_PKT5_S8_PT6_21rocsparse_index_base_b ; -- Begin function _ZN9rocsparseL18bsrxmvn_4x4_kernelILj128ELj16E21rocsparse_complex_numIdEllS1_IfES2_S2_EEvT3_20rocsparse_direction_NS_24const_host_device_scalarIT1_EES4_PKS4_PKT2_SD_SA_PKT4_PKT5_S8_PT6_21rocsparse_index_base_b
	.p2align	8
	.type	_ZN9rocsparseL18bsrxmvn_4x4_kernelILj128ELj16E21rocsparse_complex_numIdEllS1_IfES2_S2_EEvT3_20rocsparse_direction_NS_24const_host_device_scalarIT1_EES4_PKS4_PKT2_SD_SA_PKT4_PKT5_S8_PT6_21rocsparse_index_base_b,@function
_ZN9rocsparseL18bsrxmvn_4x4_kernelILj128ELj16E21rocsparse_complex_numIdEllS1_IfES2_S2_EEvT3_20rocsparse_direction_NS_24const_host_device_scalarIT1_EES4_PKS4_PKT2_SD_SA_PKT4_PKT5_S8_PT6_21rocsparse_index_base_b: ; @_ZN9rocsparseL18bsrxmvn_4x4_kernelILj128ELj16E21rocsparse_complex_numIdEllS1_IfES2_S2_EEvT3_20rocsparse_direction_NS_24const_host_device_scalarIT1_EES4_PKS4_PKT2_SD_SA_PKT4_PKT5_S8_PT6_21rocsparse_index_base_b
; %bb.0:
	s_load_dwordx2 s[0:1], s[4:5], 0x10
	s_load_dwordx2 s[2:3], s[4:5], 0x70
	s_add_u32 s7, s4, 16
	s_addc_u32 s10, s5, 0
	s_add_u32 s11, s4, 0x58
	s_addc_u32 s12, s5, 0
	s_waitcnt lgkmcnt(0)
	s_bitcmp1_b32 s3, 0
	s_cselect_b32 s1, s10, s1
	s_cselect_b32 s0, s7, s0
	v_mov_b32_e32 v1, s0
	v_mov_b32_e32 v2, s1
	flat_load_dwordx4 v[5:8], v[1:2]
	s_load_dwordx2 s[8:9], s[4:5], 0x58
	s_waitcnt lgkmcnt(0)
	s_cselect_b32 s0, s12, s9
	s_cselect_b32 s1, s11, s8
	v_mov_b32_e32 v1, s1
	v_mov_b32_e32 v2, s0
	flat_load_dwordx4 v[1:4], v[1:2]
	s_waitcnt vmcnt(0)
	v_cmp_eq_f64_e32 vcc, 0, v[5:6]
	v_cmp_eq_f64_e64 s[0:1], 0, v[7:8]
	s_and_b64 s[10:11], vcc, s[0:1]
	s_mov_b64 s[0:1], -1
	s_and_saveexec_b64 s[8:9], s[10:11]
	s_cbranch_execz .LBB177_2
; %bb.1:
	s_waitcnt lgkmcnt(0)
	v_cmp_neq_f64_e32 vcc, 1.0, v[1:2]
	v_cmp_neq_f64_e64 s[0:1], 0, v[3:4]
	s_or_b64 s[0:1], vcc, s[0:1]
	s_orn2_b64 s[0:1], s[0:1], exec
.LBB177_2:
	s_or_b64 exec, exec, s[8:9]
	s_and_saveexec_b64 s[8:9], s[0:1]
	s_cbranch_execz .LBB177_8
; %bb.3:
	s_load_dwordx2 s[8:9], s[4:5], 0x28
	v_lshrrev_b32_e32 v9, 4, v0
	v_lshl_or_b32 v11, s6, 3, v9
	v_mov_b32_e32 v12, 0
	s_mov_b64 s[0:1], 0
	s_waitcnt lgkmcnt(0)
	s_cmp_lg_u64 s[8:9], 0
	s_cbranch_scc0 .LBB177_9
; %bb.4:
	s_load_dwordx2 s[6:7], s[4:5], 0x20
                                        ; implicit-def: $vgpr21_vgpr22
                                        ; implicit-def: $vgpr9_vgpr10
	s_waitcnt lgkmcnt(0)
	v_cmp_gt_i64_e32 vcc, s[6:7], v[11:12]
	s_and_saveexec_b64 s[6:7], vcc
	s_xor_b64 s[6:7], exec, s[6:7]
	s_cbranch_execz .LBB177_6
; %bb.5:
	v_lshlrev_b64 v[9:10], 3, v[11:12]
	v_mov_b32_e32 v13, s9
	v_add_co_u32_e32 v9, vcc, s8, v9
	v_addc_co_u32_e32 v10, vcc, v13, v10, vcc
	global_load_dwordx2 v[9:10], v[9:10], off
	s_mov_b32 s3, 0
	s_mov_b64 s[0:1], exec
	s_waitcnt vmcnt(0)
	v_subrev_co_u32_e32 v21, vcc, s2, v9
	v_subbrev_co_u32_e32 v22, vcc, 0, v10, vcc
	v_mov_b32_e32 v10, s3
	v_mov_b32_e32 v9, s2
.LBB177_6:
	s_or_b64 exec, exec, s[6:7]
.LBB177_7:
	s_and_b64 exec, exec, s[0:1]
	s_cbranch_execnz .LBB177_13
.LBB177_8:
	s_endpgm
.LBB177_9:
                                        ; implicit-def: $vgpr21_vgpr22
                                        ; implicit-def: $vgpr9_vgpr10
	s_cbranch_execz .LBB177_7
; %bb.10:
	s_load_dwordx2 s[6:7], s[4:5], 0x0
	s_waitcnt lgkmcnt(0)
	v_cmp_gt_i64_e32 vcc, s[6:7], v[11:12]
	s_and_saveexec_b64 s[6:7], vcc
; %bb.11:
	s_mov_b32 s3, 0
	s_or_b64 s[0:1], s[0:1], exec
; %bb.12:
	s_or_b64 exec, exec, s[6:7]
	v_mov_b32_e32 v10, s3
	v_mov_b32_e32 v22, v12
	;; [unrolled: 1-line block ×4, first 2 shown]
	s_and_b64 exec, exec, s[0:1]
	s_cbranch_execz .LBB177_8
.LBB177_13:
	s_load_dwordx8 s[8:15], s[4:5], 0x30
	v_lshlrev_b64 v[11:12], 3, v[21:22]
	v_and_b32_e32 v0, 15, v0
	s_waitcnt lgkmcnt(0)
	v_mov_b32_e32 v14, s9
	v_add_co_u32_e32 v13, vcc, s8, v11
	v_addc_co_u32_e32 v14, vcc, v14, v12, vcc
	global_load_dwordx2 v[17:18], v[13:14], off
	v_add_co_u32_e32 v13, vcc, 8, v13
	v_addc_co_u32_e32 v14, vcc, 0, v14, vcc
	v_mov_b32_e32 v15, s11
	v_add_co_u32_e32 v11, vcc, s10, v11
	s_cmp_eq_u64 s[10:11], 0
	v_addc_co_u32_e32 v12, vcc, v15, v12, vcc
	s_cselect_b64 vcc, -1, 0
	v_cndmask_b32_e32 v12, v12, v14, vcc
	v_cndmask_b32_e32 v11, v11, v13, vcc
	global_load_dwordx2 v[13:14], v[11:12], off
	s_load_dword s0, s[4:5], 0x8
	s_load_dwordx2 s[6:7], s[4:5], 0x50
	v_mov_b32_e32 v19, s15
	s_waitcnt lgkmcnt(0)
	s_cmp_eq_u32 s0, 1
	s_waitcnt vmcnt(1)
	v_sub_co_u32_e32 v11, vcc, v17, v9
	v_subb_co_u32_e32 v12, vcc, v18, v10, vcc
	v_add_co_u32_e32 v11, vcc, v11, v0
	v_addc_co_u32_e32 v12, vcc, 0, v12, vcc
	v_lshlrev_b64 v[15:16], 7, v[11:12]
	s_waitcnt vmcnt(0)
	v_sub_co_u32_e32 v13, vcc, v13, v9
	v_subb_co_u32_e32 v14, vcc, v14, v10, vcc
	v_cmp_lt_i64_e64 s[0:1], v[11:12], v[13:14]
	v_add_co_u32_e32 v15, vcc, s14, v15
	v_addc_co_u32_e32 v16, vcc, v19, v16, vcc
	s_cbranch_scc1 .LBB177_25
; %bb.14:
	v_mov_b32_e32 v37, 0
	v_mov_b32_e32 v29, 0
	;; [unrolled: 1-line block ×16, first 2 shown]
	s_and_saveexec_b64 s[8:9], s[0:1]
	s_cbranch_execz .LBB177_24
; %bb.15:
	v_or_b32_e32 v19, 16, v0
	v_sub_co_u32_e32 v19, vcc, v19, v9
	v_subb_co_u32_e32 v20, vcc, 0, v10, vcc
	v_add_co_u32_e32 v19, vcc, v19, v17
	v_addc_co_u32_e32 v20, vcc, v20, v18, vcc
	v_cmp_gt_i64_e32 vcc, v[19:20], v[13:14]
	v_not_b32_e32 v24, v17
	v_cndmask_b32_e32 v20, v14, v20, vcc
	v_cndmask_b32_e32 v19, v13, v19, vcc
	v_sub_co_u32_e32 v25, vcc, v9, v0
	v_subbrev_co_u32_e32 v26, vcc, 0, v10, vcc
	v_not_b32_e32 v23, v18
	v_add_co_u32_e32 v24, vcc, v25, v24
	v_addc_co_u32_e32 v23, vcc, v26, v23, vcc
	v_add_co_u32_e32 v25, vcc, v24, v19
	v_addc_co_u32_e32 v26, vcc, v23, v20, vcc
	v_and_b32_e32 v19, 48, v25
	v_mov_b32_e32 v20, 0
	v_cmp_ne_u64_e32 vcc, 48, v[19:20]
	v_mov_b32_e32 v35, 0
	v_mov_b32_e32 v33, 0
	;; [unrolled: 1-line block ×20, first 2 shown]
	s_and_saveexec_b64 s[10:11], vcc
	s_cbranch_execz .LBB177_19
; %bb.16:
	v_lshrrev_b32_e32 v19, 4, v25
	v_add_u32_e32 v19, 1, v19
	v_and_b32_e32 v23, 3, v19
	v_lshlrev_b64 v[19:20], 3, v[11:12]
	v_mov_b32_e32 v24, s13
	v_add_co_u32_e32 v43, vcc, s12, v19
	v_addc_co_u32_e32 v44, vcc, v24, v20, vcc
	v_sub_co_u32_e32 v45, vcc, 0, v23
	v_mov_b32_e32 v37, 0
	v_mov_b32_e32 v20, v12
	;; [unrolled: 1-line block ×10, first 2 shown]
	s_mov_b64 s[14:15], 0
	v_subb_co_u32_e64 v46, s[2:3], 0, 0, vcc
	v_mov_b32_e32 v38, 0
	s_movk_i32 s16, 0x800
	v_mov_b32_e32 v19, v11
	v_mov_b32_e32 v30, 0
	;; [unrolled: 1-line block ×9, first 2 shown]
.LBB177_17:                             ; =>This Inner Loop Header: Depth=1
	global_load_dwordx2 v[55:56], v[43:44], off
	global_load_dwordx4 v[47:50], v[23:24], off
	global_load_dwordx4 v[51:54], v[23:24], off offset:32
	v_mov_b32_e32 v57, s7
	v_add_co_u32_e64 v19, s[2:3], 16, v19
	v_addc_co_u32_e64 v20, s[2:3], 0, v20, s[2:3]
	v_add_co_u32_e64 v45, s[2:3], 1, v45
	v_addc_co_u32_e64 v46, s[2:3], 0, v46, s[2:3]
	v_cmp_eq_u64_e64 s[2:3], 0, v[45:46]
	s_or_b64 s[14:15], s[2:3], s[14:15]
	s_waitcnt vmcnt(2)
	v_sub_co_u32_e32 v55, vcc, v55, v9
	v_subb_co_u32_e32 v56, vcc, v56, v10, vcc
	v_lshlrev_b64 v[55:56], 6, v[55:56]
	s_waitcnt vmcnt(1)
	v_cvt_f64_f32_e32 v[59:60], v47
	v_add_co_u32_e32 v61, vcc, s6, v55
	v_addc_co_u32_e32 v62, vcc, v57, v56, vcc
	global_load_dwordx4 v[55:58], v[61:62], off
	v_cvt_f64_f32_e32 v[47:48], v48
	s_waitcnt vmcnt(0)
	v_fma_f64 v[29:30], v[59:60], v[55:56], v[29:30]
	v_fma_f64 v[37:38], v[47:48], v[55:56], v[37:38]
	v_fma_f64 v[47:48], -v[47:48], v[57:58], v[29:30]
	v_cvt_f64_f32_e32 v[29:30], v51
	v_fma_f64 v[59:60], v[59:60], v[57:58], v[37:38]
	v_cvt_f64_f32_e32 v[37:38], v52
	v_fma_f64 v[41:42], v[29:30], v[55:56], v[41:42]
	v_fma_f64 v[39:40], v[37:38], v[55:56], v[39:40]
	v_fma_f64 v[41:42], -v[37:38], v[57:58], v[41:42]
	v_fma_f64 v[51:52], v[29:30], v[57:58], v[39:40]
	global_load_dwordx4 v[37:40], v[23:24], off offset:64
	s_waitcnt vmcnt(0)
	v_cvt_f64_f32_e32 v[29:30], v37
	v_cvt_f64_f32_e32 v[37:38], v38
	v_fma_f64 v[31:32], v[29:30], v[55:56], v[31:32]
	v_fma_f64 v[27:28], v[37:38], v[55:56], v[27:28]
	v_fma_f64 v[37:38], -v[37:38], v[57:58], v[31:32]
	v_fma_f64 v[63:64], v[29:30], v[57:58], v[27:28]
	global_load_dwordx4 v[27:30], v[23:24], off offset:96
	s_waitcnt vmcnt(0)
	v_cvt_f64_f32_e32 v[31:32], v27
	v_cvt_f64_f32_e32 v[27:28], v28
	;; [unrolled: 1-line block ×4, first 2 shown]
	v_fma_f64 v[35:36], v[31:32], v[55:56], v[35:36]
	v_fma_f64 v[33:34], v[27:28], v[55:56], v[33:34]
	v_fma_f64 v[55:56], -v[27:28], v[57:58], v[35:36]
	global_load_dwordx4 v[27:30], v[61:62], off offset:16
	v_fma_f64 v[57:58], v[31:32], v[57:58], v[33:34]
	v_cvt_f64_f32_e32 v[31:32], v49
	v_cvt_f64_f32_e32 v[33:34], v50
	;; [unrolled: 1-line block ×6, first 2 shown]
	s_waitcnt vmcnt(0)
	v_fma_f64 v[47:48], v[31:32], v[27:28], v[47:48]
	v_fma_f64 v[59:60], v[33:34], v[27:28], v[59:60]
	v_fma_f64 v[47:48], -v[33:34], v[29:30], v[47:48]
	v_fma_f64 v[59:60], v[31:32], v[29:30], v[59:60]
	v_fma_f64 v[31:32], v[35:36], v[27:28], v[41:42]
	;; [unrolled: 1-line block ×3, first 2 shown]
	v_fma_f64 v[41:42], -v[49:50], v[29:30], v[31:32]
	v_fma_f64 v[49:50], v[35:36], v[29:30], v[33:34]
	v_fma_f64 v[35:36], v[53:54], v[27:28], v[37:38]
	;; [unrolled: 1-line block ×3, first 2 shown]
	global_load_dwordx4 v[31:34], v[23:24], off offset:16
	v_fma_f64 v[51:52], -v[39:40], v[29:30], v[35:36]
	v_fma_f64 v[39:40], v[65:66], v[27:28], v[55:56]
	v_fma_f64 v[27:28], v[67:68], v[27:28], v[57:58]
	;; [unrolled: 1-line block ×3, first 2 shown]
	global_load_dwordx4 v[35:38], v[23:24], off offset:48
	v_fma_f64 v[55:56], -v[67:68], v[29:30], v[39:40]
	v_fma_f64 v[57:58], v[65:66], v[29:30], v[27:28]
	global_load_dwordx4 v[27:30], v[61:62], off offset:32
	s_waitcnt vmcnt(2)
	v_cvt_f64_f32_e32 v[39:40], v31
	v_cvt_f64_f32_e32 v[31:32], v32
	s_waitcnt vmcnt(0)
	v_fma_f64 v[47:48], v[39:40], v[27:28], v[47:48]
	v_fma_f64 v[59:60], v[31:32], v[27:28], v[59:60]
	v_fma_f64 v[63:64], -v[31:32], v[29:30], v[47:48]
	v_cvt_f64_f32_e32 v[31:32], v35
	v_cvt_f64_f32_e32 v[35:36], v36
	v_fma_f64 v[59:60], v[39:40], v[29:30], v[59:60]
	v_fma_f64 v[39:40], v[31:32], v[27:28], v[41:42]
	;; [unrolled: 1-line block ×3, first 2 shown]
	v_fma_f64 v[35:36], -v[35:36], v[29:30], v[39:40]
	v_fma_f64 v[65:66], v[31:32], v[29:30], v[41:42]
	global_load_dwordx4 v[39:42], v[23:24], off offset:80
	s_waitcnt vmcnt(0)
	v_cvt_f64_f32_e32 v[31:32], v39
	v_cvt_f64_f32_e32 v[39:40], v40
	;; [unrolled: 1-line block ×4, first 2 shown]
	v_fma_f64 v[47:48], v[31:32], v[27:28], v[51:52]
	v_fma_f64 v[49:50], v[39:40], v[27:28], v[53:54]
	v_fma_f64 v[39:40], -v[39:40], v[29:30], v[47:48]
	v_fma_f64 v[51:52], v[31:32], v[29:30], v[49:50]
	global_load_dwordx4 v[47:50], v[23:24], off offset:112
	v_add_co_u32_e32 v23, vcc, s16, v23
	v_addc_co_u32_e32 v24, vcc, 0, v24, vcc
	v_add_co_u32_e32 v43, vcc, 0x80, v43
	v_addc_co_u32_e32 v44, vcc, 0, v44, vcc
	s_waitcnt vmcnt(0)
	v_cvt_f64_f32_e32 v[31:32], v47
	v_cvt_f64_f32_e32 v[47:48], v48
	;; [unrolled: 1-line block ×4, first 2 shown]
	v_fma_f64 v[53:54], v[31:32], v[27:28], v[55:56]
	v_fma_f64 v[27:28], v[47:48], v[27:28], v[57:58]
	v_cvt_f64_f32_e32 v[55:56], v37
	v_cvt_f64_f32_e32 v[57:58], v38
	v_fma_f64 v[47:48], -v[47:48], v[29:30], v[53:54]
	v_fma_f64 v[27:28], v[31:32], v[29:30], v[27:28]
	v_cvt_f64_f32_e32 v[53:54], v33
	v_cvt_f64_f32_e32 v[29:30], v34
	global_load_dwordx4 v[31:34], v[61:62], off offset:48
	s_waitcnt vmcnt(0)
	v_fma_f64 v[37:38], v[53:54], v[31:32], v[63:64]
	v_fma_f64 v[41:42], v[29:30], v[31:32], v[59:60]
	;; [unrolled: 1-line block ×8, first 2 shown]
	v_fma_f64 v[29:30], -v[29:30], v[33:34], v[37:38]
	v_fma_f64 v[37:38], v[53:54], v[33:34], v[41:42]
	v_fma_f64 v[41:42], -v[57:58], v[33:34], v[35:36]
	v_fma_f64 v[39:40], v[55:56], v[33:34], v[59:60]
	;; [unrolled: 2-line block ×4, first 2 shown]
	s_andn2_b64 exec, exec, s[14:15]
	s_cbranch_execnz .LBB177_17
; %bb.18:
	s_or_b64 exec, exec, s[14:15]
.LBB177_19:
	s_or_b64 exec, exec, s[10:11]
	v_cmp_lt_u64_e32 vcc, 47, v[25:26]
	s_and_saveexec_b64 s[10:11], vcc
	s_cbranch_execz .LBB177_23
; %bb.20:
	v_lshlrev_b64 v[25:26], 3, v[19:20]
	v_mov_b32_e32 v43, s13
	v_add_co_u32_e32 v25, vcc, s12, v25
	v_addc_co_u32_e32 v26, vcc, v43, v26, vcc
	v_add_co_u32_e32 v25, vcc, 0x100, v25
	v_addc_co_u32_e32 v26, vcc, 0, v26, vcc
	s_mov_b64 s[14:15], 0
	v_mov_b32_e32 v45, s7
	s_movk_i32 s16, 0x1000
.LBB177_21:                             ; =>This Inner Loop Header: Depth=1
	global_load_dwordx2 v[43:44], v[25:26], off offset:-256
	global_load_dwordx4 v[46:49], v[23:24], off offset:48
	global_load_dwordx4 v[50:53], v[23:24], off offset:32
	;; [unrolled: 1-line block ×3, first 2 shown]
	global_load_dwordx4 v[58:61], v[23:24], off
	s_waitcnt vmcnt(4)
	v_sub_co_u32_e32 v43, vcc, v43, v9
	v_subb_co_u32_e32 v44, vcc, v44, v10, vcc
	v_lshlrev_b64 v[43:44], 6, v[43:44]
	s_waitcnt vmcnt(0)
	v_cvt_f64_f32_e32 v[78:79], v58
	v_add_co_u32_e32 v43, vcc, s6, v43
	v_addc_co_u32_e32 v44, vcc, v45, v44, vcc
	global_load_dwordx4 v[62:65], v[43:44], off offset:48
	global_load_dwordx4 v[66:69], v[43:44], off offset:32
	;; [unrolled: 1-line block ×3, first 2 shown]
	global_load_dwordx4 v[74:77], v[43:44], off
	v_cvt_f64_f32_e32 v[58:59], v59
	v_cvt_f64_f32_e32 v[43:44], v60
	s_waitcnt vmcnt(0)
	v_fma_f64 v[29:30], v[78:79], v[74:75], v[29:30]
	v_fma_f64 v[37:38], v[58:59], v[74:75], v[37:38]
	v_fma_f64 v[29:30], -v[58:59], v[76:77], v[29:30]
	v_fma_f64 v[37:38], v[78:79], v[76:77], v[37:38]
	v_cvt_f64_f32_e32 v[58:59], v61
	v_fma_f64 v[29:30], v[43:44], v[70:71], v[29:30]
	v_fma_f64 v[37:38], v[58:59], v[70:71], v[37:38]
	v_fma_f64 v[29:30], -v[58:59], v[72:73], v[29:30]
	v_fma_f64 v[37:38], v[43:44], v[72:73], v[37:38]
	v_cvt_f64_f32_e32 v[43:44], v54
	v_cvt_f64_f32_e32 v[54:55], v55
	v_fma_f64 v[29:30], v[43:44], v[66:67], v[29:30]
	v_fma_f64 v[37:38], v[54:55], v[66:67], v[37:38]
	v_fma_f64 v[29:30], -v[54:55], v[68:69], v[29:30]
	v_fma_f64 v[37:38], v[43:44], v[68:69], v[37:38]
	v_cvt_f64_f32_e32 v[43:44], v56
	v_cvt_f64_f32_e32 v[54:55], v57
	v_fma_f64 v[29:30], v[43:44], v[62:63], v[29:30]
	v_fma_f64 v[78:79], -v[54:55], v[64:65], v[29:30]
	v_fma_f64 v[29:30], v[54:55], v[62:63], v[37:38]
	v_cvt_f64_f32_e32 v[37:38], v51
	v_fma_f64 v[80:81], v[43:44], v[64:65], v[29:30]
	v_cvt_f64_f32_e32 v[29:30], v50
	v_fma_f64 v[41:42], v[29:30], v[74:75], v[41:42]
	v_fma_f64 v[41:42], -v[37:38], v[76:77], v[41:42]
	v_fma_f64 v[37:38], v[37:38], v[74:75], v[39:40]
	v_cvt_f64_f32_e32 v[39:40], v53
	v_fma_f64 v[29:30], v[29:30], v[76:77], v[37:38]
	v_cvt_f64_f32_e32 v[37:38], v52
	v_fma_f64 v[41:42], v[37:38], v[70:71], v[41:42]
	v_fma_f64 v[29:30], v[39:40], v[70:71], v[29:30]
	v_fma_f64 v[41:42], -v[39:40], v[72:73], v[41:42]
	v_cvt_f64_f32_e32 v[39:40], v47
	v_fma_f64 v[29:30], v[37:38], v[72:73], v[29:30]
	v_cvt_f64_f32_e32 v[37:38], v46
	v_fma_f64 v[41:42], v[37:38], v[66:67], v[41:42]
	v_fma_f64 v[29:30], v[39:40], v[66:67], v[29:30]
	v_fma_f64 v[41:42], -v[39:40], v[68:69], v[41:42]
	;; [unrolled: 6-line block ×3, first 2 shown]
	v_fma_f64 v[84:85], v[37:38], v[64:65], v[29:30]
	global_load_dwordx4 v[37:40], v[23:24], off offset:112
	global_load_dwordx4 v[41:44], v[23:24], off offset:96
	;; [unrolled: 1-line block ×4, first 2 shown]
	s_waitcnt vmcnt(0)
	v_cvt_f64_f32_e32 v[29:30], v50
	v_cvt_f64_f32_e32 v[50:51], v51
	v_fma_f64 v[31:32], v[29:30], v[74:75], v[31:32]
	v_fma_f64 v[27:28], v[50:51], v[74:75], v[27:28]
	v_fma_f64 v[31:32], -v[50:51], v[76:77], v[31:32]
	v_fma_f64 v[27:28], v[29:30], v[76:77], v[27:28]
	v_cvt_f64_f32_e32 v[50:51], v53
	v_cvt_f64_f32_e32 v[29:30], v52
	v_fma_f64 v[31:32], v[29:30], v[70:71], v[31:32]
	v_fma_f64 v[27:28], v[50:51], v[70:71], v[27:28]
	v_fma_f64 v[31:32], -v[50:51], v[72:73], v[31:32]
	v_fma_f64 v[27:28], v[29:30], v[72:73], v[27:28]
	v_cvt_f64_f32_e32 v[29:30], v46
	v_cvt_f64_f32_e32 v[46:47], v47
	v_fma_f64 v[31:32], v[29:30], v[66:67], v[31:32]
	v_fma_f64 v[27:28], v[46:47], v[66:67], v[27:28]
	v_fma_f64 v[31:32], -v[46:47], v[68:69], v[31:32]
	v_fma_f64 v[27:28], v[29:30], v[68:69], v[27:28]
	v_cvt_f64_f32_e32 v[46:47], v49
	v_cvt_f64_f32_e32 v[29:30], v48
	v_fma_f64 v[31:32], v[29:30], v[62:63], v[31:32]
	v_fma_f64 v[27:28], v[46:47], v[62:63], v[27:28]
	v_fma_f64 v[86:87], -v[46:47], v[64:65], v[31:32]
	v_fma_f64 v[88:89], v[29:30], v[64:65], v[27:28]
	v_cvt_f64_f32_e32 v[27:28], v41
	v_cvt_f64_f32_e32 v[29:30], v42
	v_fma_f64 v[31:32], v[27:28], v[74:75], v[35:36]
	v_fma_f64 v[31:32], -v[29:30], v[76:77], v[31:32]
	v_fma_f64 v[29:30], v[29:30], v[74:75], v[33:34]
	v_cvt_f64_f32_e32 v[33:34], v44
	v_fma_f64 v[27:28], v[27:28], v[76:77], v[29:30]
	v_cvt_f64_f32_e32 v[29:30], v43
	v_fma_f64 v[31:32], v[29:30], v[70:71], v[31:32]
	v_fma_f64 v[27:28], v[33:34], v[70:71], v[27:28]
	v_fma_f64 v[31:32], -v[33:34], v[72:73], v[31:32]
	v_cvt_f64_f32_e32 v[33:34], v38
	v_fma_f64 v[27:28], v[29:30], v[72:73], v[27:28]
	v_cvt_f64_f32_e32 v[29:30], v37
	v_fma_f64 v[31:32], v[29:30], v[66:67], v[31:32]
	v_fma_f64 v[27:28], v[33:34], v[66:67], v[27:28]
	v_fma_f64 v[31:32], -v[33:34], v[68:69], v[31:32]
	;; [unrolled: 6-line block ×3, first 2 shown]
	v_fma_f64 v[62:63], v[29:30], v[64:65], v[27:28]
	global_load_dwordx2 v[27:28], v[25:26], off offset:-128
	s_waitcnt vmcnt(0)
	v_sub_co_u32_e32 v46, vcc, v27, v9
	v_subb_co_u32_e32 v47, vcc, v28, v10, vcc
	global_load_dwordx4 v[27:30], v[23:24], off offset:2096
	global_load_dwordx4 v[31:34], v[23:24], off offset:2080
	;; [unrolled: 1-line block ×4, first 2 shown]
	v_lshlrev_b64 v[46:47], 6, v[46:47]
	v_add_co_u32_e32 v66, vcc, s6, v46
	v_addc_co_u32_e32 v67, vcc, v45, v47, vcc
	global_load_dwordx4 v[46:49], v[66:67], off offset:48
	global_load_dwordx4 v[50:53], v[66:67], off offset:32
	global_load_dwordx4 v[54:57], v[66:67], off offset:16
	global_load_dwordx4 v[58:61], v[66:67], off
	s_waitcnt vmcnt(4)
	v_cvt_f64_f32_e32 v[64:65], v39
	v_cvt_f64_f32_e32 v[39:40], v40
	s_waitcnt vmcnt(0)
	v_fma_f64 v[66:67], v[64:65], v[58:59], v[78:79]
	v_fma_f64 v[66:67], -v[39:40], v[60:61], v[66:67]
	v_fma_f64 v[39:40], v[39:40], v[58:59], v[80:81]
	v_fma_f64 v[39:40], v[64:65], v[60:61], v[39:40]
	v_cvt_f64_f32_e32 v[64:65], v41
	v_cvt_f64_f32_e32 v[41:42], v42
	v_fma_f64 v[66:67], v[64:65], v[54:55], v[66:67]
	v_fma_f64 v[39:40], v[41:42], v[54:55], v[39:40]
	v_fma_f64 v[66:67], -v[41:42], v[56:57], v[66:67]
	v_cvt_f64_f32_e32 v[41:42], v35
	v_cvt_f64_f32_e32 v[35:36], v36
	v_fma_f64 v[39:40], v[64:65], v[56:57], v[39:40]
	v_fma_f64 v[64:65], v[41:42], v[50:51], v[66:67]
	v_fma_f64 v[64:65], -v[35:36], v[52:53], v[64:65]
	v_fma_f64 v[35:36], v[35:36], v[50:51], v[39:40]
	v_cvt_f64_f32_e32 v[39:40], v37
	v_cvt_f64_f32_e32 v[37:38], v38
	v_fma_f64 v[35:36], v[41:42], v[52:53], v[35:36]
	v_fma_f64 v[41:42], v[39:40], v[46:47], v[64:65]
	;; [unrolled: 1-line block ×3, first 2 shown]
	v_fma_f64 v[66:67], -v[37:38], v[48:49], v[41:42]
	v_fma_f64 v[68:69], v[39:40], v[48:49], v[35:36]
	v_cvt_f64_f32_e32 v[35:36], v31
	v_cvt_f64_f32_e32 v[31:32], v32
	v_fma_f64 v[37:38], v[35:36], v[58:59], v[82:83]
	v_fma_f64 v[37:38], -v[31:32], v[60:61], v[37:38]
	v_fma_f64 v[31:32], v[31:32], v[58:59], v[84:85]
	v_fma_f64 v[31:32], v[35:36], v[60:61], v[31:32]
	v_cvt_f64_f32_e32 v[35:36], v33
	v_cvt_f64_f32_e32 v[33:34], v34
	v_fma_f64 v[37:38], v[35:36], v[54:55], v[37:38]
	v_fma_f64 v[31:32], v[33:34], v[54:55], v[31:32]
	v_fma_f64 v[37:38], -v[33:34], v[56:57], v[37:38]
	v_cvt_f64_f32_e32 v[33:34], v27
	v_cvt_f64_f32_e32 v[27:28], v28
	v_fma_f64 v[31:32], v[35:36], v[56:57], v[31:32]
	v_fma_f64 v[35:36], v[33:34], v[50:51], v[37:38]
	v_fma_f64 v[35:36], -v[27:28], v[52:53], v[35:36]
	v_fma_f64 v[27:28], v[27:28], v[50:51], v[31:32]
	v_cvt_f64_f32_e32 v[31:32], v29
	v_cvt_f64_f32_e32 v[29:30], v30
	v_fma_f64 v[27:28], v[33:34], v[52:53], v[27:28]
	v_fma_f64 v[33:34], v[31:32], v[46:47], v[35:36]
	;; [unrolled: 1-line block ×3, first 2 shown]
	v_fma_f64 v[70:71], -v[29:30], v[48:49], v[33:34]
	v_fma_f64 v[72:73], v[31:32], v[48:49], v[27:28]
	global_load_dwordx4 v[27:30], v[23:24], off offset:2160
	global_load_dwordx4 v[31:34], v[23:24], off offset:2144
	;; [unrolled: 1-line block ×4, first 2 shown]
	s_waitcnt vmcnt(0)
	v_cvt_f64_f32_e32 v[64:65], v39
	v_cvt_f64_f32_e32 v[39:40], v40
	v_fma_f64 v[74:75], v[64:65], v[58:59], v[86:87]
	v_fma_f64 v[74:75], -v[39:40], v[60:61], v[74:75]
	v_fma_f64 v[39:40], v[39:40], v[58:59], v[88:89]
	v_fma_f64 v[39:40], v[64:65], v[60:61], v[39:40]
	v_cvt_f64_f32_e32 v[64:65], v41
	v_cvt_f64_f32_e32 v[41:42], v42
	v_fma_f64 v[74:75], v[64:65], v[54:55], v[74:75]
	v_fma_f64 v[39:40], v[41:42], v[54:55], v[39:40]
	v_fma_f64 v[74:75], -v[41:42], v[56:57], v[74:75]
	v_cvt_f64_f32_e32 v[41:42], v35
	v_cvt_f64_f32_e32 v[35:36], v36
	v_fma_f64 v[39:40], v[64:65], v[56:57], v[39:40]
	v_fma_f64 v[64:65], v[41:42], v[50:51], v[74:75]
	v_fma_f64 v[64:65], -v[35:36], v[52:53], v[64:65]
	v_fma_f64 v[35:36], v[35:36], v[50:51], v[39:40]
	v_cvt_f64_f32_e32 v[39:40], v37
	v_cvt_f64_f32_e32 v[37:38], v38
	v_fma_f64 v[35:36], v[41:42], v[52:53], v[35:36]
	v_fma_f64 v[41:42], v[39:40], v[46:47], v[64:65]
	;; [unrolled: 1-line block ×3, first 2 shown]
	v_fma_f64 v[74:75], -v[37:38], v[48:49], v[41:42]
	v_fma_f64 v[76:77], v[39:40], v[48:49], v[35:36]
	v_cvt_f64_f32_e32 v[35:36], v31
	v_cvt_f64_f32_e32 v[31:32], v32
	v_fma_f64 v[37:38], v[35:36], v[58:59], v[43:44]
	v_fma_f64 v[37:38], -v[31:32], v[60:61], v[37:38]
	v_fma_f64 v[31:32], v[31:32], v[58:59], v[62:63]
	v_fma_f64 v[31:32], v[35:36], v[60:61], v[31:32]
	v_cvt_f64_f32_e32 v[35:36], v33
	v_cvt_f64_f32_e32 v[33:34], v34
	v_fma_f64 v[37:38], v[35:36], v[54:55], v[37:38]
	v_fma_f64 v[31:32], v[33:34], v[54:55], v[31:32]
	v_fma_f64 v[37:38], -v[33:34], v[56:57], v[37:38]
	v_cvt_f64_f32_e32 v[33:34], v27
	v_cvt_f64_f32_e32 v[27:28], v28
	v_fma_f64 v[31:32], v[35:36], v[56:57], v[31:32]
	v_fma_f64 v[35:36], v[33:34], v[50:51], v[37:38]
	v_fma_f64 v[35:36], -v[27:28], v[52:53], v[35:36]
	v_fma_f64 v[27:28], v[27:28], v[50:51], v[31:32]
	v_cvt_f64_f32_e32 v[31:32], v29
	v_cvt_f64_f32_e32 v[29:30], v30
	v_fma_f64 v[27:28], v[33:34], v[52:53], v[27:28]
	v_fma_f64 v[33:34], v[31:32], v[46:47], v[35:36]
	;; [unrolled: 1-line block ×3, first 2 shown]
	v_fma_f64 v[78:79], -v[29:30], v[48:49], v[33:34]
	global_load_dwordx2 v[29:30], v[25:26], off
	v_fma_f64 v[80:81], v[31:32], v[48:49], v[27:28]
	v_add_co_u32_e32 v27, vcc, s16, v23
	v_addc_co_u32_e32 v28, vcc, 0, v24, vcc
	s_waitcnt vmcnt(0)
	v_sub_co_u32_e32 v37, vcc, v29, v9
	v_subb_co_u32_e32 v38, vcc, v30, v10, vcc
	v_lshlrev_b64 v[37:38], 6, v[37:38]
	global_load_dwordx4 v[29:32], v[27:28], off
	global_load_dwordx4 v[33:36], v[27:28], off offset:48
	global_load_dwordx4 v[39:42], v[27:28], off offset:32
	;; [unrolled: 1-line block ×3, first 2 shown]
	v_add_co_u32_e32 v37, vcc, s6, v37
	v_addc_co_u32_e32 v38, vcc, v45, v38, vcc
	global_load_dwordx4 v[50:53], v[37:38], off offset:48
	global_load_dwordx4 v[54:57], v[37:38], off offset:32
	;; [unrolled: 1-line block ×3, first 2 shown]
	global_load_dwordx4 v[62:65], v[37:38], off
	s_waitcnt vmcnt(7)
	v_cvt_f64_f32_e32 v[43:44], v29
	v_cvt_f64_f32_e32 v[29:30], v30
	s_waitcnt vmcnt(0)
	v_fma_f64 v[37:38], v[43:44], v[62:63], v[66:67]
	v_fma_f64 v[37:38], -v[29:30], v[64:65], v[37:38]
	v_fma_f64 v[29:30], v[29:30], v[62:63], v[68:69]
	v_fma_f64 v[29:30], v[43:44], v[64:65], v[29:30]
	v_cvt_f64_f32_e32 v[43:44], v31
	v_cvt_f64_f32_e32 v[31:32], v32
	v_fma_f64 v[37:38], v[43:44], v[58:59], v[37:38]
	v_fma_f64 v[29:30], v[31:32], v[58:59], v[29:30]
	v_fma_f64 v[37:38], -v[31:32], v[60:61], v[37:38]
	v_cvt_f64_f32_e32 v[31:32], v46
	v_fma_f64 v[29:30], v[43:44], v[60:61], v[29:30]
	v_cvt_f64_f32_e32 v[43:44], v47
	v_cvt_f64_f32_e32 v[46:47], v49
	v_fma_f64 v[37:38], v[31:32], v[54:55], v[37:38]
	v_fma_f64 v[29:30], v[43:44], v[54:55], v[29:30]
	v_fma_f64 v[37:38], -v[43:44], v[56:57], v[37:38]
	v_cvt_f64_f32_e32 v[43:44], v48
	v_fma_f64 v[31:32], v[31:32], v[56:57], v[29:30]
	v_fma_f64 v[29:30], v[43:44], v[50:51], v[37:38]
	;; [unrolled: 1-line block ×3, first 2 shown]
	v_fma_f64 v[29:30], -v[46:47], v[52:53], v[29:30]
	v_fma_f64 v[37:38], v[43:44], v[52:53], v[31:32]
	v_cvt_f64_f32_e32 v[31:32], v39
	v_cvt_f64_f32_e32 v[39:40], v40
	v_fma_f64 v[43:44], v[31:32], v[62:63], v[70:71]
	v_fma_f64 v[43:44], -v[39:40], v[64:65], v[43:44]
	v_fma_f64 v[39:40], v[39:40], v[62:63], v[72:73]
	v_fma_f64 v[31:32], v[31:32], v[64:65], v[39:40]
	v_cvt_f64_f32_e32 v[39:40], v41
	v_cvt_f64_f32_e32 v[41:42], v42
	v_fma_f64 v[43:44], v[39:40], v[58:59], v[43:44]
	v_fma_f64 v[31:32], v[41:42], v[58:59], v[31:32]
	v_fma_f64 v[43:44], -v[41:42], v[60:61], v[43:44]
	v_fma_f64 v[31:32], v[39:40], v[60:61], v[31:32]
	v_cvt_f64_f32_e32 v[39:40], v33
	v_cvt_f64_f32_e32 v[33:34], v34
	v_fma_f64 v[41:42], v[39:40], v[54:55], v[43:44]
	v_fma_f64 v[31:32], v[33:34], v[54:55], v[31:32]
	v_fma_f64 v[41:42], -v[33:34], v[56:57], v[41:42]
	v_cvt_f64_f32_e32 v[33:34], v35
	v_cvt_f64_f32_e32 v[35:36], v36
	v_fma_f64 v[31:32], v[39:40], v[56:57], v[31:32]
	v_fma_f64 v[39:40], v[33:34], v[50:51], v[41:42]
	;; [unrolled: 1-line block ×3, first 2 shown]
	v_fma_f64 v[39:40], -v[35:36], v[52:53], v[39:40]
	v_fma_f64 v[41:42], v[33:34], v[52:53], v[31:32]
	global_load_dwordx4 v[33:36], v[27:28], off offset:112
	global_load_dwordx4 v[46:49], v[27:28], off offset:96
	global_load_dwordx4 v[66:69], v[27:28], off offset:80
	global_load_dwordx4 v[70:73], v[27:28], off offset:64
	s_waitcnt vmcnt(0)
	v_cvt_f64_f32_e32 v[31:32], v70
	v_cvt_f64_f32_e32 v[43:44], v71
	v_fma_f64 v[70:71], v[31:32], v[62:63], v[74:75]
	v_fma_f64 v[70:71], -v[43:44], v[64:65], v[70:71]
	v_fma_f64 v[43:44], v[43:44], v[62:63], v[76:77]
	v_fma_f64 v[31:32], v[31:32], v[64:65], v[43:44]
	v_cvt_f64_f32_e32 v[43:44], v72
	v_cvt_f64_f32_e32 v[72:73], v73
	v_fma_f64 v[70:71], v[43:44], v[58:59], v[70:71]
	v_fma_f64 v[31:32], v[72:73], v[58:59], v[31:32]
	v_fma_f64 v[70:71], -v[72:73], v[60:61], v[70:71]
	v_fma_f64 v[31:32], v[43:44], v[60:61], v[31:32]
	v_cvt_f64_f32_e32 v[43:44], v66
	v_cvt_f64_f32_e32 v[66:67], v67
	v_fma_f64 v[70:71], v[43:44], v[54:55], v[70:71]
	v_fma_f64 v[31:32], v[66:67], v[54:55], v[31:32]
	v_fma_f64 v[70:71], -v[66:67], v[56:57], v[70:71]
	v_cvt_f64_f32_e32 v[66:67], v68
	v_cvt_f64_f32_e32 v[68:69], v69
	v_fma_f64 v[43:44], v[43:44], v[56:57], v[31:32]
	v_fma_f64 v[31:32], v[66:67], v[50:51], v[70:71]
	;; [unrolled: 1-line block ×3, first 2 shown]
	v_fma_f64 v[31:32], -v[68:69], v[52:53], v[31:32]
	v_fma_f64 v[43:44], v[66:67], v[52:53], v[43:44]
	v_cvt_f64_f32_e32 v[66:67], v46
	v_cvt_f64_f32_e32 v[46:47], v47
	v_fma_f64 v[68:69], v[66:67], v[62:63], v[78:79]
	v_fma_f64 v[68:69], -v[46:47], v[64:65], v[68:69]
	v_fma_f64 v[46:47], v[46:47], v[62:63], v[80:81]
	v_cvt_f64_f32_e32 v[62:63], v48
	v_cvt_f64_f32_e32 v[48:49], v49
	v_fma_f64 v[46:47], v[66:67], v[64:65], v[46:47]
	v_fma_f64 v[64:65], v[62:63], v[58:59], v[68:69]
	;; [unrolled: 1-line block ×3, first 2 shown]
	v_fma_f64 v[64:65], -v[48:49], v[60:61], v[64:65]
	v_cvt_f64_f32_e32 v[48:49], v33
	v_cvt_f64_f32_e32 v[33:34], v34
	v_fma_f64 v[46:47], v[62:63], v[60:61], v[46:47]
	v_fma_f64 v[58:59], v[48:49], v[54:55], v[64:65]
	v_fma_f64 v[58:59], -v[33:34], v[56:57], v[58:59]
	v_fma_f64 v[33:34], v[33:34], v[54:55], v[46:47]
	v_fma_f64 v[46:47], v[48:49], v[56:57], v[33:34]
	v_cvt_f64_f32_e32 v[48:49], v35
	v_cvt_f64_f32_e32 v[35:36], v36
	v_fma_f64 v[33:34], v[48:49], v[50:51], v[58:59]
	v_fma_f64 v[33:34], -v[35:36], v[52:53], v[33:34]
	v_fma_f64 v[35:36], v[35:36], v[50:51], v[46:47]
	global_load_dwordx2 v[46:47], v[25:26], off offset:128
	v_fma_f64 v[35:36], v[48:49], v[52:53], v[35:36]
	s_waitcnt vmcnt(0)
	v_sub_co_u32_e32 v62, vcc, v46, v9
	v_subb_co_u32_e32 v63, vcc, v47, v10, vcc
	global_load_dwordx4 v[46:49], v[27:28], off offset:2096
	global_load_dwordx4 v[50:53], v[27:28], off offset:2080
	;; [unrolled: 1-line block ×4, first 2 shown]
	v_lshlrev_b64 v[62:63], 6, v[62:63]
	v_add_co_u32_e32 v80, vcc, s6, v62
	v_addc_co_u32_e32 v81, vcc, v45, v63, vcc
	global_load_dwordx4 v[62:65], v[80:81], off offset:48
	global_load_dwordx4 v[66:69], v[80:81], off offset:32
	;; [unrolled: 1-line block ×3, first 2 shown]
	global_load_dwordx4 v[74:77], v[80:81], off
	v_add_co_u32_e32 v19, vcc, 64, v19
	v_addc_co_u32_e32 v20, vcc, 0, v20, vcc
	v_add_co_u32_e32 v25, vcc, 0x200, v25
	v_addc_co_u32_e32 v26, vcc, 0, v26, vcc
	v_cmp_ge_i64_e64 s[2:3], v[19:20], v[13:14]
	v_add_co_u32_e32 v23, vcc, 0x2000, v23
	v_addc_co_u32_e32 v24, vcc, 0, v24, vcc
	s_or_b64 s[14:15], s[2:3], s[14:15]
	s_waitcnt vmcnt(4)
	v_cvt_f64_f32_e32 v[78:79], v58
	v_cvt_f64_f32_e32 v[58:59], v59
	s_waitcnt vmcnt(0)
	v_fma_f64 v[37:38], v[58:59], v[74:75], v[37:38]
	v_fma_f64 v[29:30], v[78:79], v[74:75], v[29:30]
	v_fma_f64 v[37:38], v[78:79], v[76:77], v[37:38]
	v_fma_f64 v[29:30], -v[58:59], v[76:77], v[29:30]
	v_cvt_f64_f32_e32 v[58:59], v60
	v_cvt_f64_f32_e32 v[60:61], v61
	v_fma_f64 v[37:38], v[60:61], v[70:71], v[37:38]
	v_fma_f64 v[29:30], v[58:59], v[70:71], v[29:30]
	v_fma_f64 v[37:38], v[58:59], v[72:73], v[37:38]
	v_fma_f64 v[29:30], -v[60:61], v[72:73], v[29:30]
	v_cvt_f64_f32_e32 v[58:59], v54
	v_cvt_f64_f32_e32 v[54:55], v55
	;; [unrolled: 6-line block ×3, first 2 shown]
	v_fma_f64 v[37:38], v[56:57], v[62:63], v[37:38]
	v_fma_f64 v[29:30], v[54:55], v[62:63], v[29:30]
	;; [unrolled: 1-line block ×3, first 2 shown]
	v_cvt_f64_f32_e32 v[54:55], v50
	v_cvt_f64_f32_e32 v[50:51], v51
	v_fma_f64 v[29:30], -v[56:57], v[64:65], v[29:30]
	v_fma_f64 v[39:40], v[54:55], v[74:75], v[39:40]
	v_fma_f64 v[41:42], v[50:51], v[74:75], v[41:42]
	v_fma_f64 v[39:40], -v[50:51], v[76:77], v[39:40]
	v_fma_f64 v[41:42], v[54:55], v[76:77], v[41:42]
	v_cvt_f64_f32_e32 v[50:51], v52
	v_cvt_f64_f32_e32 v[52:53], v53
	v_fma_f64 v[39:40], v[50:51], v[70:71], v[39:40]
	v_fma_f64 v[41:42], v[52:53], v[70:71], v[41:42]
	v_fma_f64 v[39:40], -v[52:53], v[72:73], v[39:40]
	v_fma_f64 v[41:42], v[50:51], v[72:73], v[41:42]
	v_cvt_f64_f32_e32 v[50:51], v46
	v_cvt_f64_f32_e32 v[46:47], v47
	;; [unrolled: 6-line block ×3, first 2 shown]
	v_fma_f64 v[39:40], v[50:51], v[62:63], v[39:40]
	v_fma_f64 v[41:42], -v[48:49], v[64:65], v[39:40]
	v_fma_f64 v[39:40], v[48:49], v[62:63], v[46:47]
	v_fma_f64 v[39:40], v[50:51], v[64:65], v[39:40]
	global_load_dwordx4 v[46:49], v[27:28], off offset:2160
	global_load_dwordx4 v[50:53], v[27:28], off offset:2144
	;; [unrolled: 1-line block ×4, first 2 shown]
	s_waitcnt vmcnt(0)
	v_cvt_f64_f32_e32 v[27:28], v58
	v_cvt_f64_f32_e32 v[58:59], v59
	v_fma_f64 v[31:32], v[27:28], v[74:75], v[31:32]
	v_fma_f64 v[43:44], v[58:59], v[74:75], v[43:44]
	v_fma_f64 v[31:32], -v[58:59], v[76:77], v[31:32]
	v_fma_f64 v[27:28], v[27:28], v[76:77], v[43:44]
	v_cvt_f64_f32_e32 v[58:59], v61
	v_cvt_f64_f32_e32 v[43:44], v60
	v_fma_f64 v[31:32], v[43:44], v[70:71], v[31:32]
	v_fma_f64 v[27:28], v[58:59], v[70:71], v[27:28]
	v_fma_f64 v[31:32], -v[58:59], v[72:73], v[31:32]
	v_fma_f64 v[27:28], v[43:44], v[72:73], v[27:28]
	;; [unrolled: 6-line block ×6, first 2 shown]
	v_cvt_f64_f32_e32 v[43:44], v46
	v_cvt_f64_f32_e32 v[46:47], v47
	v_fma_f64 v[33:34], v[43:44], v[66:67], v[33:34]
	v_fma_f64 v[35:36], v[46:47], v[66:67], v[35:36]
	v_fma_f64 v[33:34], -v[46:47], v[68:69], v[33:34]
	v_cvt_f64_f32_e32 v[46:47], v48
	v_fma_f64 v[43:44], v[43:44], v[68:69], v[35:36]
	v_cvt_f64_f32_e32 v[48:49], v49
	v_fma_f64 v[33:34], v[46:47], v[62:63], v[33:34]
	v_fma_f64 v[35:36], -v[48:49], v[64:65], v[33:34]
	v_fma_f64 v[33:34], v[48:49], v[62:63], v[43:44]
	v_fma_f64 v[33:34], v[46:47], v[64:65], v[33:34]
	s_andn2_b64 exec, exec, s[14:15]
	s_cbranch_execnz .LBB177_21
; %bb.22:
	s_or_b64 exec, exec, s[14:15]
.LBB177_23:
	s_or_b64 exec, exec, s[10:11]
.LBB177_24:
	s_or_b64 exec, exec, s[8:9]
	s_cbranch_execz .LBB177_26
	s_branch .LBB177_37
.LBB177_25:
                                        ; implicit-def: $vgpr37_vgpr38
                                        ; implicit-def: $vgpr29_vgpr30
                                        ; implicit-def: $vgpr39_vgpr40
                                        ; implicit-def: $vgpr41_vgpr42
                                        ; implicit-def: $vgpr27_vgpr28
                                        ; implicit-def: $vgpr31_vgpr32
                                        ; implicit-def: $vgpr33_vgpr34
                                        ; implicit-def: $vgpr35_vgpr36
.LBB177_26:
	v_mov_b32_e32 v37, 0
	v_mov_b32_e32 v29, 0
	;; [unrolled: 1-line block ×16, first 2 shown]
	s_and_saveexec_b64 s[2:3], s[0:1]
	s_cbranch_execz .LBB177_36
; %bb.27:
	v_or_b32_e32 v19, 16, v0
	v_sub_co_u32_e32 v19, vcc, v19, v9
	v_subb_co_u32_e32 v20, vcc, 0, v10, vcc
	v_add_co_u32_e32 v19, vcc, v19, v17
	v_addc_co_u32_e32 v20, vcc, v20, v18, vcc
	v_cmp_gt_i64_e32 vcc, v[19:20], v[13:14]
	v_not_b32_e32 v17, v17
	v_cndmask_b32_e32 v20, v14, v20, vcc
	v_cndmask_b32_e32 v19, v13, v19, vcc
	v_sub_co_u32_e32 v23, vcc, v9, v0
	v_subbrev_co_u32_e32 v24, vcc, 0, v10, vcc
	v_not_b32_e32 v18, v18
	v_add_co_u32_e32 v17, vcc, v23, v17
	v_addc_co_u32_e32 v18, vcc, v24, v18, vcc
	v_add_co_u32_e32 v17, vcc, v17, v19
	v_addc_co_u32_e32 v18, vcc, v18, v20, vcc
	v_and_b32_e32 v19, 48, v17
	v_mov_b32_e32 v20, 0
	v_cmp_ne_u64_e32 vcc, 48, v[19:20]
	v_mov_b32_e32 v35, 0
	v_mov_b32_e32 v33, 0
	;; [unrolled: 1-line block ×16, first 2 shown]
	s_and_saveexec_b64 s[0:1], vcc
	s_cbranch_execz .LBB177_31
; %bb.28:
	v_lshrrev_b32_e32 v19, 4, v17
	v_add_u32_e32 v19, 1, v19
	v_and_b32_e32 v23, 3, v19
	v_lshlrev_b64 v[19:20], 3, v[11:12]
	v_mov_b32_e32 v24, s13
	v_add_co_u32_e32 v19, vcc, s12, v19
	v_addc_co_u32_e32 v20, vcc, v24, v20, vcc
	v_sub_co_u32_e32 v23, vcc, 0, v23
	v_subb_co_u32_e64 v24, s[10:11], 0, 0, vcc
	v_mov_b32_e32 v37, 0
	v_mov_b32_e32 v29, 0
	;; [unrolled: 1-line block ×8, first 2 shown]
	s_mov_b64 s[8:9], 0
	v_mov_b32_e32 v38, 0
	v_mov_b32_e32 v30, 0
	;; [unrolled: 1-line block ×8, first 2 shown]
	s_movk_i32 s10, 0x800
.LBB177_29:                             ; =>This Inner Loop Header: Depth=1
	global_load_dwordx2 v[25:26], v[19:20], off
	global_load_dwordx4 v[43:46], v[15:16], off offset:48
	global_load_dwordx4 v[47:50], v[15:16], off offset:32
	;; [unrolled: 1-line block ×3, first 2 shown]
	global_load_dwordx4 v[55:58], v[15:16], off
	v_mov_b32_e32 v59, s7
	s_waitcnt vmcnt(4)
	v_sub_co_u32_e32 v25, vcc, v25, v9
	v_subb_co_u32_e32 v26, vcc, v26, v10, vcc
	v_lshlrev_b64 v[25:26], 6, v[25:26]
	s_waitcnt vmcnt(0)
	v_cvt_f64_f32_e32 v[75:76], v55
	v_add_co_u32_e32 v25, vcc, s6, v25
	v_addc_co_u32_e32 v26, vcc, v59, v26, vcc
	global_load_dwordx4 v[59:62], v[25:26], off offset:48
	global_load_dwordx4 v[63:66], v[25:26], off offset:32
	;; [unrolled: 1-line block ×3, first 2 shown]
	global_load_dwordx4 v[71:74], v[25:26], off
	v_cvt_f64_f32_e32 v[55:56], v56
	s_waitcnt vmcnt(0)
	v_fma_f64 v[25:26], v[75:76], v[71:72], v[29:30]
	v_fma_f64 v[29:30], v[55:56], v[71:72], v[37:38]
	v_cvt_f64_f32_e32 v[37:38], v57
	v_fma_f64 v[41:42], v[37:38], v[71:72], v[41:42]
	v_fma_f64 v[25:26], -v[55:56], v[73:74], v[25:26]
	v_cvt_f64_f32_e32 v[55:56], v58
	v_fma_f64 v[29:30], v[75:76], v[73:74], v[29:30]
	v_fma_f64 v[39:40], v[55:56], v[71:72], v[39:40]
	v_fma_f64 v[41:42], -v[55:56], v[73:74], v[41:42]
	v_fma_f64 v[37:38], v[37:38], v[73:74], v[39:40]
	v_cvt_f64_f32_e32 v[39:40], v51
	v_cvt_f64_f32_e32 v[51:52], v52
	v_fma_f64 v[31:32], v[39:40], v[71:72], v[31:32]
	v_fma_f64 v[27:28], v[51:52], v[71:72], v[27:28]
	v_fma_f64 v[31:32], -v[51:52], v[73:74], v[31:32]
	v_cvt_f64_f32_e32 v[51:52], v54
	v_fma_f64 v[27:28], v[39:40], v[73:74], v[27:28]
	v_cvt_f64_f32_e32 v[39:40], v53
	v_fma_f64 v[33:34], v[51:52], v[71:72], v[33:34]
	v_fma_f64 v[35:36], v[39:40], v[71:72], v[35:36]
	;; [unrolled: 1-line block ×3, first 2 shown]
	v_cvt_f64_f32_e32 v[39:40], v47
	v_cvt_f64_f32_e32 v[47:48], v48
	v_fma_f64 v[35:36], -v[51:52], v[73:74], v[35:36]
	v_fma_f64 v[25:26], v[39:40], v[67:68], v[25:26]
	v_fma_f64 v[51:52], -v[47:48], v[69:70], v[25:26]
	v_fma_f64 v[25:26], v[47:48], v[67:68], v[29:30]
	v_fma_f64 v[29:30], v[39:40], v[69:70], v[25:26]
	v_cvt_f64_f32_e32 v[39:40], v50
	v_cvt_f64_f32_e32 v[25:26], v49
	v_fma_f64 v[37:38], v[39:40], v[67:68], v[37:38]
	v_fma_f64 v[41:42], v[25:26], v[67:68], v[41:42]
	;; [unrolled: 1-line block ×3, first 2 shown]
	v_cvt_f64_f32_e32 v[37:38], v44
	v_cvt_f64_f32_e32 v[25:26], v43
	v_fma_f64 v[47:48], -v[39:40], v[69:70], v[41:42]
	v_fma_f64 v[27:28], v[37:38], v[67:68], v[27:28]
	v_fma_f64 v[31:32], v[25:26], v[67:68], v[31:32]
	;; [unrolled: 1-line block ×3, first 2 shown]
	v_cvt_f64_f32_e32 v[25:26], v45
	v_fma_f64 v[43:44], -v[37:38], v[69:70], v[31:32]
	v_cvt_f64_f32_e32 v[27:28], v46
	v_fma_f64 v[31:32], v[25:26], v[67:68], v[35:36]
	v_fma_f64 v[45:46], -v[27:28], v[69:70], v[31:32]
	v_fma_f64 v[27:28], v[27:28], v[67:68], v[33:34]
	v_fma_f64 v[55:56], v[25:26], v[69:70], v[27:28]
	global_load_dwordx4 v[31:34], v[15:16], off offset:112
	global_load_dwordx4 v[25:28], v[15:16], off offset:96
	;; [unrolled: 1-line block ×4, first 2 shown]
	v_add_co_u32_e32 v15, vcc, s10, v15
	v_addc_co_u32_e32 v16, vcc, 0, v16, vcc
	v_add_co_u32_e32 v11, vcc, 16, v11
	v_addc_co_u32_e32 v12, vcc, 0, v12, vcc
	;; [unrolled: 2-line block ×4, first 2 shown]
	v_cmp_eq_u64_e32 vcc, 0, v[23:24]
	s_or_b64 s[8:9], vcc, s[8:9]
	s_waitcnt vmcnt(0)
	v_cvt_f64_f32_e32 v[57:58], v39
	v_cvt_f64_f32_e32 v[39:40], v40
	v_fma_f64 v[51:52], v[57:58], v[63:64], v[51:52]
	v_fma_f64 v[29:30], v[39:40], v[63:64], v[29:30]
	v_fma_f64 v[51:52], -v[39:40], v[65:66], v[51:52]
	v_fma_f64 v[39:40], v[57:58], v[65:66], v[29:30]
	v_cvt_f64_f32_e32 v[29:30], v41
	v_cvt_f64_f32_e32 v[41:42], v42
	v_fma_f64 v[47:48], v[29:30], v[63:64], v[47:48]
	v_fma_f64 v[47:48], -v[41:42], v[65:66], v[47:48]
	v_fma_f64 v[41:42], v[41:42], v[63:64], v[49:50]
	v_fma_f64 v[49:50], v[29:30], v[65:66], v[41:42]
	v_cvt_f64_f32_e32 v[29:30], v35
	v_cvt_f64_f32_e32 v[35:36], v36
	v_fma_f64 v[41:42], v[29:30], v[63:64], v[43:44]
	v_fma_f64 v[43:44], -v[35:36], v[65:66], v[41:42]
	v_fma_f64 v[35:36], v[35:36], v[63:64], v[53:54]
	;; [unrolled: 6-line block ×7, first 2 shown]
	v_fma_f64 v[33:34], v[25:26], v[61:62], v[33:34]
	s_andn2_b64 exec, exec, s[8:9]
	s_cbranch_execnz .LBB177_29
; %bb.30:
	s_or_b64 exec, exec, s[8:9]
.LBB177_31:
	s_or_b64 exec, exec, s[0:1]
	v_cmp_lt_u64_e32 vcc, 47, v[17:18]
	s_and_saveexec_b64 s[8:9], vcc
	s_cbranch_execz .LBB177_35
; %bb.32:
	v_lshlrev_b64 v[17:18], 3, v[11:12]
	v_mov_b32_e32 v19, s13
	v_add_co_u32_e32 v17, vcc, s12, v17
	v_addc_co_u32_e32 v18, vcc, v19, v18, vcc
	v_add_co_u32_e32 v17, vcc, 0x100, v17
	v_addc_co_u32_e32 v18, vcc, 0, v18, vcc
	s_mov_b64 s[10:11], 0
	v_mov_b32_e32 v43, s7
	s_movk_i32 s7, 0x1000
.LBB177_33:                             ; =>This Inner Loop Header: Depth=1
	global_load_dwordx2 v[19:20], v[17:18], off offset:-256
	global_load_dwordx4 v[23:26], v[15:16], off offset:48
	global_load_dwordx4 v[44:47], v[15:16], off offset:32
	;; [unrolled: 1-line block ×3, first 2 shown]
	global_load_dwordx4 v[52:55], v[15:16], off
	s_waitcnt vmcnt(4)
	v_sub_co_u32_e32 v19, vcc, v19, v9
	v_subb_co_u32_e32 v20, vcc, v20, v10, vcc
	v_lshlrev_b64 v[19:20], 6, v[19:20]
	s_waitcnt vmcnt(0)
	v_cvt_f64_f32_e32 v[72:73], v52
	v_add_co_u32_e32 v19, vcc, s6, v19
	v_addc_co_u32_e32 v20, vcc, v43, v20, vcc
	global_load_dwordx4 v[56:59], v[19:20], off offset:48
	global_load_dwordx4 v[60:63], v[19:20], off offset:32
	;; [unrolled: 1-line block ×3, first 2 shown]
	global_load_dwordx4 v[68:71], v[19:20], off
	v_cvt_f64_f32_e32 v[52:53], v53
	s_waitcnt vmcnt(0)
	v_fma_f64 v[19:20], v[72:73], v[68:69], v[29:30]
	v_fma_f64 v[29:30], v[52:53], v[68:69], v[37:38]
	v_cvt_f64_f32_e32 v[37:38], v54
	v_fma_f64 v[41:42], v[37:38], v[68:69], v[41:42]
	v_fma_f64 v[19:20], -v[52:53], v[70:71], v[19:20]
	v_cvt_f64_f32_e32 v[52:53], v55
	v_fma_f64 v[29:30], v[72:73], v[70:71], v[29:30]
	v_fma_f64 v[39:40], v[52:53], v[68:69], v[39:40]
	v_fma_f64 v[41:42], -v[52:53], v[70:71], v[41:42]
	v_fma_f64 v[37:38], v[37:38], v[70:71], v[39:40]
	v_cvt_f64_f32_e32 v[39:40], v48
	v_cvt_f64_f32_e32 v[48:49], v49
	v_fma_f64 v[31:32], v[39:40], v[68:69], v[31:32]
	v_fma_f64 v[27:28], v[48:49], v[68:69], v[27:28]
	v_fma_f64 v[31:32], -v[48:49], v[70:71], v[31:32]
	v_cvt_f64_f32_e32 v[48:49], v51
	v_fma_f64 v[27:28], v[39:40], v[70:71], v[27:28]
	v_cvt_f64_f32_e32 v[39:40], v50
	v_fma_f64 v[33:34], v[48:49], v[68:69], v[33:34]
	v_fma_f64 v[35:36], v[39:40], v[68:69], v[35:36]
	;; [unrolled: 1-line block ×3, first 2 shown]
	v_cvt_f64_f32_e32 v[39:40], v44
	v_cvt_f64_f32_e32 v[44:45], v45
	v_fma_f64 v[35:36], -v[48:49], v[70:71], v[35:36]
	v_fma_f64 v[19:20], v[39:40], v[64:65], v[19:20]
	v_fma_f64 v[29:30], v[44:45], v[64:65], v[29:30]
	v_fma_f64 v[19:20], -v[44:45], v[66:67], v[19:20]
	v_fma_f64 v[39:40], v[39:40], v[66:67], v[29:30]
	v_cvt_f64_f32_e32 v[29:30], v46
	v_cvt_f64_f32_e32 v[44:45], v47
	v_fma_f64 v[41:42], v[29:30], v[64:65], v[41:42]
	v_fma_f64 v[37:38], v[44:45], v[64:65], v[37:38]
	v_fma_f64 v[41:42], -v[44:45], v[66:67], v[41:42]
	v_fma_f64 v[44:45], v[29:30], v[66:67], v[37:38]
	v_cvt_f64_f32_e32 v[29:30], v23
	v_cvt_f64_f32_e32 v[23:24], v24
	v_fma_f64 v[31:32], v[29:30], v[64:65], v[31:32]
	v_fma_f64 v[46:47], -v[23:24], v[66:67], v[31:32]
	v_fma_f64 v[23:24], v[23:24], v[64:65], v[27:28]
	v_fma_f64 v[48:49], v[29:30], v[66:67], v[23:24]
	v_cvt_f64_f32_e32 v[23:24], v25
	v_cvt_f64_f32_e32 v[25:26], v26
	v_fma_f64 v[27:28], v[23:24], v[64:65], v[35:36]
	v_fma_f64 v[50:51], -v[25:26], v[66:67], v[27:28]
	v_fma_f64 v[25:26], v[25:26], v[64:65], v[33:34]
	v_fma_f64 v[52:53], v[23:24], v[66:67], v[25:26]
	global_load_dwordx4 v[23:26], v[15:16], off offset:112
	global_load_dwordx4 v[27:30], v[15:16], off offset:96
	;; [unrolled: 1-line block ×4, first 2 shown]
	s_waitcnt vmcnt(0)
	v_cvt_f64_f32_e32 v[54:55], v35
	v_cvt_f64_f32_e32 v[35:36], v36
	v_fma_f64 v[19:20], v[54:55], v[60:61], v[19:20]
	v_fma_f64 v[19:20], -v[35:36], v[62:63], v[19:20]
	v_fma_f64 v[35:36], v[35:36], v[60:61], v[39:40]
	v_cvt_f64_f32_e32 v[39:40], v37
	v_cvt_f64_f32_e32 v[37:38], v38
	v_fma_f64 v[41:42], v[39:40], v[60:61], v[41:42]
	v_fma_f64 v[35:36], v[54:55], v[62:63], v[35:36]
	v_fma_f64 v[41:42], -v[37:38], v[62:63], v[41:42]
	v_fma_f64 v[37:38], v[37:38], v[60:61], v[44:45]
	v_fma_f64 v[37:38], v[39:40], v[62:63], v[37:38]
	v_cvt_f64_f32_e32 v[39:40], v31
	v_cvt_f64_f32_e32 v[31:32], v32
	v_fma_f64 v[44:45], v[39:40], v[60:61], v[46:47]
	v_fma_f64 v[44:45], -v[31:32], v[62:63], v[44:45]
	v_fma_f64 v[31:32], v[31:32], v[60:61], v[48:49]
	v_fma_f64 v[31:32], v[39:40], v[62:63], v[31:32]
	v_cvt_f64_f32_e32 v[39:40], v33
	v_cvt_f64_f32_e32 v[33:34], v34
	;; [unrolled: 6-line block ×6, first 2 shown]
	v_fma_f64 v[27:28], v[23:24], v[56:57], v[46:47]
	v_fma_f64 v[70:71], -v[25:26], v[58:59], v[27:28]
	v_fma_f64 v[25:26], v[25:26], v[56:57], v[33:34]
	v_fma_f64 v[56:57], v[23:24], v[58:59], v[25:26]
	global_load_dwordx2 v[23:24], v[17:18], off offset:-128
	s_waitcnt vmcnt(0)
	v_sub_co_u32_e32 v39, vcc, v23, v9
	v_subb_co_u32_e32 v40, vcc, v24, v10, vcc
	global_load_dwordx4 v[23:26], v[15:16], off offset:2096
	global_load_dwordx4 v[27:30], v[15:16], off offset:2080
	;; [unrolled: 1-line block ×4, first 2 shown]
	v_lshlrev_b64 v[39:40], 6, v[39:40]
	v_add_co_u32_e32 v72, vcc, s6, v39
	v_addc_co_u32_e32 v73, vcc, v43, v40, vcc
	global_load_dwordx4 v[39:42], v[72:73], off offset:48
	global_load_dwordx4 v[44:47], v[72:73], off offset:32
	;; [unrolled: 1-line block ×3, first 2 shown]
	global_load_dwordx4 v[52:55], v[72:73], off
	s_waitcnt vmcnt(4)
	v_cvt_f64_f32_e32 v[58:59], v35
	v_cvt_f64_f32_e32 v[35:36], v36
	s_waitcnt vmcnt(0)
	v_fma_f64 v[19:20], v[58:59], v[52:53], v[19:20]
	v_fma_f64 v[19:20], -v[35:36], v[54:55], v[19:20]
	v_fma_f64 v[35:36], v[35:36], v[52:53], v[60:61]
	v_fma_f64 v[35:36], v[58:59], v[54:55], v[35:36]
	v_cvt_f64_f32_e32 v[58:59], v37
	v_cvt_f64_f32_e32 v[37:38], v38
	v_fma_f64 v[60:61], v[58:59], v[52:53], v[62:63]
	v_fma_f64 v[60:61], -v[37:38], v[54:55], v[60:61]
	v_fma_f64 v[37:38], v[37:38], v[52:53], v[64:65]
	v_fma_f64 v[37:38], v[58:59], v[54:55], v[37:38]
	v_cvt_f64_f32_e32 v[58:59], v31
	v_cvt_f64_f32_e32 v[31:32], v32
	v_fma_f64 v[62:63], v[58:59], v[52:53], v[66:67]
	v_fma_f64 v[62:63], -v[31:32], v[54:55], v[62:63]
	v_fma_f64 v[31:32], v[31:32], v[52:53], v[68:69]
	v_fma_f64 v[31:32], v[58:59], v[54:55], v[31:32]
	v_cvt_f64_f32_e32 v[58:59], v33
	v_cvt_f64_f32_e32 v[33:34], v34
	v_fma_f64 v[64:65], v[58:59], v[52:53], v[70:71]
	v_fma_f64 v[64:65], -v[33:34], v[54:55], v[64:65]
	v_fma_f64 v[33:34], v[33:34], v[52:53], v[56:57]
	v_cvt_f64_f32_e32 v[52:53], v27
	v_cvt_f64_f32_e32 v[27:28], v28
	v_fma_f64 v[19:20], v[52:53], v[48:49], v[19:20]
	v_fma_f64 v[33:34], v[58:59], v[54:55], v[33:34]
	v_fma_f64 v[19:20], -v[27:28], v[50:51], v[19:20]
	v_fma_f64 v[27:28], v[27:28], v[48:49], v[35:36]
	v_fma_f64 v[52:53], v[52:53], v[50:51], v[27:28]
	v_cvt_f64_f32_e32 v[27:28], v29
	v_cvt_f64_f32_e32 v[29:30], v30
	v_fma_f64 v[35:36], v[27:28], v[48:49], v[60:61]
	v_fma_f64 v[54:55], -v[29:30], v[50:51], v[35:36]
	v_fma_f64 v[29:30], v[29:30], v[48:49], v[37:38]
	v_fma_f64 v[56:57], v[27:28], v[50:51], v[29:30]
	v_cvt_f64_f32_e32 v[27:28], v23
	v_cvt_f64_f32_e32 v[23:24], v24
	;; [unrolled: 6-line block ×3, first 2 shown]
	v_fma_f64 v[27:28], v[23:24], v[48:49], v[64:65]
	v_fma_f64 v[62:63], -v[25:26], v[50:51], v[27:28]
	v_fma_f64 v[25:26], v[25:26], v[48:49], v[33:34]
	v_fma_f64 v[48:49], v[23:24], v[50:51], v[25:26]
	global_load_dwordx4 v[23:26], v[15:16], off offset:2160
	global_load_dwordx4 v[27:30], v[15:16], off offset:2144
	;; [unrolled: 1-line block ×4, first 2 shown]
	s_waitcnt vmcnt(0)
	v_cvt_f64_f32_e32 v[50:51], v35
	v_cvt_f64_f32_e32 v[35:36], v36
	v_fma_f64 v[19:20], v[50:51], v[44:45], v[19:20]
	v_fma_f64 v[19:20], -v[35:36], v[46:47], v[19:20]
	v_fma_f64 v[35:36], v[35:36], v[44:45], v[52:53]
	v_fma_f64 v[35:36], v[50:51], v[46:47], v[35:36]
	v_cvt_f64_f32_e32 v[50:51], v37
	v_cvt_f64_f32_e32 v[37:38], v38
	v_fma_f64 v[52:53], v[50:51], v[44:45], v[54:55]
	v_fma_f64 v[52:53], -v[37:38], v[46:47], v[52:53]
	v_fma_f64 v[37:38], v[37:38], v[44:45], v[56:57]
	v_fma_f64 v[37:38], v[50:51], v[46:47], v[37:38]
	v_cvt_f64_f32_e32 v[50:51], v31
	v_cvt_f64_f32_e32 v[31:32], v32
	v_fma_f64 v[54:55], v[50:51], v[44:45], v[58:59]
	v_fma_f64 v[54:55], -v[31:32], v[46:47], v[54:55]
	v_fma_f64 v[31:32], v[31:32], v[44:45], v[60:61]
	v_fma_f64 v[31:32], v[50:51], v[46:47], v[31:32]
	v_cvt_f64_f32_e32 v[50:51], v33
	v_cvt_f64_f32_e32 v[33:34], v34
	v_fma_f64 v[56:57], v[50:51], v[44:45], v[62:63]
	v_fma_f64 v[56:57], -v[33:34], v[46:47], v[56:57]
	v_fma_f64 v[33:34], v[33:34], v[44:45], v[48:49]
	v_cvt_f64_f32_e32 v[44:45], v27
	v_cvt_f64_f32_e32 v[27:28], v28
	v_fma_f64 v[19:20], v[44:45], v[39:40], v[19:20]
	v_fma_f64 v[33:34], v[50:51], v[46:47], v[33:34]
	v_fma_f64 v[58:59], -v[27:28], v[41:42], v[19:20]
	v_fma_f64 v[19:20], v[27:28], v[39:40], v[35:36]
	v_cvt_f64_f32_e32 v[27:28], v30
	v_fma_f64 v[60:61], v[44:45], v[41:42], v[19:20]
	v_cvt_f64_f32_e32 v[19:20], v29
	v_fma_f64 v[29:30], v[19:20], v[39:40], v[52:53]
	v_fma_f64 v[62:63], -v[27:28], v[41:42], v[29:30]
	v_fma_f64 v[27:28], v[27:28], v[39:40], v[37:38]
	v_fma_f64 v[64:65], v[19:20], v[41:42], v[27:28]
	v_cvt_f64_f32_e32 v[19:20], v23
	v_cvt_f64_f32_e32 v[23:24], v24
	v_fma_f64 v[27:28], v[19:20], v[39:40], v[54:55]
	v_fma_f64 v[66:67], -v[23:24], v[41:42], v[27:28]
	v_fma_f64 v[23:24], v[23:24], v[39:40], v[31:32]
	v_fma_f64 v[68:69], v[19:20], v[41:42], v[23:24]
	v_cvt_f64_f32_e32 v[19:20], v25
	v_cvt_f64_f32_e32 v[23:24], v26
	v_fma_f64 v[25:26], v[19:20], v[39:40], v[56:57]
	v_fma_f64 v[56:57], -v[23:24], v[41:42], v[25:26]
	v_fma_f64 v[23:24], v[23:24], v[39:40], v[33:34]
	v_fma_f64 v[70:71], v[19:20], v[41:42], v[23:24]
	global_load_dwordx2 v[23:24], v[17:18], off
	v_add_co_u32_e32 v19, vcc, s7, v15
	v_addc_co_u32_e32 v20, vcc, 0, v16, vcc
	s_waitcnt vmcnt(0)
	v_sub_co_u32_e32 v39, vcc, v23, v9
	v_subb_co_u32_e32 v40, vcc, v24, v10, vcc
	v_lshlrev_b64 v[39:40], 6, v[39:40]
	global_load_dwordx4 v[23:26], v[19:20], off
	global_load_dwordx4 v[27:30], v[19:20], off offset:48
	global_load_dwordx4 v[31:34], v[19:20], off offset:32
	;; [unrolled: 1-line block ×3, first 2 shown]
	v_add_co_u32_e32 v74, vcc, s6, v39
	v_addc_co_u32_e32 v75, vcc, v43, v40, vcc
	global_load_dwordx4 v[39:42], v[74:75], off offset:48
	global_load_dwordx4 v[44:47], v[74:75], off offset:32
	;; [unrolled: 1-line block ×3, first 2 shown]
	global_load_dwordx4 v[52:55], v[74:75], off
	s_waitcnt vmcnt(7)
	v_cvt_f64_f32_e32 v[72:73], v23
	v_cvt_f64_f32_e32 v[23:24], v24
	s_waitcnt vmcnt(0)
	v_fma_f64 v[58:59], v[72:73], v[52:53], v[58:59]
	v_fma_f64 v[58:59], -v[23:24], v[54:55], v[58:59]
	v_fma_f64 v[23:24], v[23:24], v[52:53], v[60:61]
	v_cvt_f64_f32_e32 v[60:61], v25
	v_cvt_f64_f32_e32 v[25:26], v26
	v_fma_f64 v[62:63], v[60:61], v[52:53], v[62:63]
	v_fma_f64 v[23:24], v[72:73], v[54:55], v[23:24]
	v_fma_f64 v[62:63], -v[25:26], v[54:55], v[62:63]
	v_fma_f64 v[25:26], v[25:26], v[52:53], v[64:65]
	v_fma_f64 v[25:26], v[60:61], v[54:55], v[25:26]
	v_cvt_f64_f32_e32 v[60:61], v35
	v_cvt_f64_f32_e32 v[35:36], v36
	v_fma_f64 v[64:65], v[60:61], v[52:53], v[66:67]
	v_fma_f64 v[64:65], -v[35:36], v[54:55], v[64:65]
	v_fma_f64 v[35:36], v[35:36], v[52:53], v[68:69]
	v_fma_f64 v[35:36], v[60:61], v[54:55], v[35:36]
	v_cvt_f64_f32_e32 v[60:61], v37
	v_cvt_f64_f32_e32 v[37:38], v38
	v_fma_f64 v[56:57], v[60:61], v[52:53], v[56:57]
	v_fma_f64 v[56:57], -v[37:38], v[54:55], v[56:57]
	v_fma_f64 v[37:38], v[37:38], v[52:53], v[70:71]
	v_cvt_f64_f32_e32 v[52:53], v31
	v_cvt_f64_f32_e32 v[31:32], v32
	v_fma_f64 v[23:24], v[31:32], v[48:49], v[23:24]
	v_fma_f64 v[37:38], v[60:61], v[54:55], v[37:38]
	;; [unrolled: 1-line block ×4, first 2 shown]
	v_cvt_f64_f32_e32 v[23:24], v33
	v_fma_f64 v[54:55], -v[31:32], v[50:51], v[54:55]
	v_cvt_f64_f32_e32 v[31:32], v34
	v_fma_f64 v[33:34], v[23:24], v[48:49], v[62:63]
	v_fma_f64 v[25:26], v[31:32], v[48:49], v[25:26]
	v_fma_f64 v[58:59], -v[31:32], v[50:51], v[33:34]
	v_fma_f64 v[60:61], v[23:24], v[50:51], v[25:26]
	v_cvt_f64_f32_e32 v[23:24], v27
	v_cvt_f64_f32_e32 v[25:26], v28
	v_fma_f64 v[27:28], v[23:24], v[48:49], v[64:65]
	v_fma_f64 v[62:63], -v[25:26], v[50:51], v[27:28]
	v_fma_f64 v[25:26], v[25:26], v[48:49], v[35:36]
	v_fma_f64 v[64:65], v[23:24], v[50:51], v[25:26]
	v_cvt_f64_f32_e32 v[23:24], v29
	v_cvt_f64_f32_e32 v[25:26], v30
	v_fma_f64 v[27:28], v[23:24], v[48:49], v[56:57]
	v_fma_f64 v[56:57], -v[25:26], v[50:51], v[27:28]
	v_fma_f64 v[25:26], v[25:26], v[48:49], v[37:38]
	v_fma_f64 v[48:49], v[23:24], v[50:51], v[25:26]
	global_load_dwordx4 v[23:26], v[19:20], off offset:112
	global_load_dwordx4 v[27:30], v[19:20], off offset:96
	;; [unrolled: 1-line block ×4, first 2 shown]
	s_waitcnt vmcnt(0)
	v_cvt_f64_f32_e32 v[50:51], v35
	v_cvt_f64_f32_e32 v[35:36], v36
	v_fma_f64 v[54:55], v[50:51], v[44:45], v[54:55]
	v_fma_f64 v[54:55], -v[35:36], v[46:47], v[54:55]
	v_fma_f64 v[35:36], v[35:36], v[44:45], v[52:53]
	v_fma_f64 v[50:51], v[50:51], v[46:47], v[35:36]
	v_cvt_f64_f32_e32 v[35:36], v37
	v_cvt_f64_f32_e32 v[37:38], v38
	v_fma_f64 v[52:53], v[35:36], v[44:45], v[58:59]
	v_fma_f64 v[52:53], -v[37:38], v[46:47], v[52:53]
	v_fma_f64 v[37:38], v[37:38], v[44:45], v[60:61]
	v_fma_f64 v[58:59], v[35:36], v[46:47], v[37:38]
	;; [unrolled: 6-line block ×4, first 2 shown]
	v_cvt_f64_f32_e32 v[31:32], v27
	v_cvt_f64_f32_e32 v[27:28], v28
	;; [unrolled: 1-line block ×4, first 2 shown]
	v_fma_f64 v[33:34], v[31:32], v[39:40], v[54:55]
	v_fma_f64 v[35:36], -v[27:28], v[41:42], v[33:34]
	v_fma_f64 v[27:28], v[27:28], v[39:40], v[50:51]
	v_fma_f64 v[37:38], v[31:32], v[41:42], v[27:28]
	v_cvt_f64_f32_e32 v[27:28], v29
	v_cvt_f64_f32_e32 v[29:30], v30
	v_fma_f64 v[31:32], v[27:28], v[39:40], v[52:53]
	v_fma_f64 v[31:32], -v[29:30], v[41:42], v[31:32]
	v_fma_f64 v[29:30], v[29:30], v[39:40], v[58:59]
	v_fma_f64 v[33:34], v[27:28], v[41:42], v[29:30]
	v_cvt_f64_f32_e32 v[29:30], v23
	v_cvt_f64_f32_e32 v[23:24], v24
	v_fma_f64 v[27:28], v[29:30], v[39:40], v[60:61]
	v_fma_f64 v[27:28], -v[23:24], v[41:42], v[27:28]
	v_fma_f64 v[23:24], v[23:24], v[39:40], v[62:63]
	v_fma_f64 v[29:30], v[29:30], v[41:42], v[23:24]
	;; [unrolled: 1-line block ×3, first 2 shown]
	v_fma_f64 v[23:24], -v[25:26], v[41:42], v[23:24]
	v_fma_f64 v[25:26], v[25:26], v[39:40], v[44:45]
	global_load_dwordx2 v[39:40], v[17:18], off offset:128
	v_fma_f64 v[25:26], v[46:47], v[41:42], v[25:26]
	s_waitcnt vmcnt(0)
	v_sub_co_u32_e32 v56, vcc, v39, v9
	v_subb_co_u32_e32 v57, vcc, v40, v10, vcc
	global_load_dwordx4 v[39:42], v[19:20], off offset:2096
	global_load_dwordx4 v[44:47], v[19:20], off offset:2080
	;; [unrolled: 1-line block ×4, first 2 shown]
	v_lshlrev_b64 v[56:57], 6, v[56:57]
	v_add_co_u32_e32 v74, vcc, s6, v56
	v_addc_co_u32_e32 v75, vcc, v43, v57, vcc
	global_load_dwordx4 v[56:59], v[74:75], off offset:48
	global_load_dwordx4 v[60:63], v[74:75], off offset:32
	;; [unrolled: 1-line block ×3, first 2 shown]
	global_load_dwordx4 v[68:71], v[74:75], off
	v_add_co_u32_e32 v11, vcc, 64, v11
	v_addc_co_u32_e32 v12, vcc, 0, v12, vcc
	v_add_co_u32_e32 v17, vcc, 0x200, v17
	v_addc_co_u32_e32 v18, vcc, 0, v18, vcc
	v_cmp_ge_i64_e64 s[0:1], v[11:12], v[13:14]
	v_add_co_u32_e32 v15, vcc, 0x2000, v15
	v_addc_co_u32_e32 v16, vcc, 0, v16, vcc
	s_or_b64 s[10:11], s[0:1], s[10:11]
	s_waitcnt vmcnt(4)
	v_cvt_f64_f32_e32 v[72:73], v52
	v_cvt_f64_f32_e32 v[52:53], v53
	s_waitcnt vmcnt(0)
	v_fma_f64 v[35:36], v[72:73], v[68:69], v[35:36]
	v_fma_f64 v[37:38], v[52:53], v[68:69], v[37:38]
	v_fma_f64 v[35:36], -v[52:53], v[70:71], v[35:36]
	v_cvt_f64_f32_e32 v[52:53], v54
	v_cvt_f64_f32_e32 v[54:55], v55
	v_fma_f64 v[37:38], v[72:73], v[70:71], v[37:38]
	v_fma_f64 v[31:32], v[52:53], v[68:69], v[31:32]
	;; [unrolled: 1-line block ×3, first 2 shown]
	v_fma_f64 v[31:32], -v[54:55], v[70:71], v[31:32]
	v_fma_f64 v[33:34], v[52:53], v[70:71], v[33:34]
	v_cvt_f64_f32_e32 v[52:53], v48
	v_cvt_f64_f32_e32 v[48:49], v49
	v_fma_f64 v[27:28], v[52:53], v[68:69], v[27:28]
	v_fma_f64 v[29:30], v[48:49], v[68:69], v[29:30]
	v_fma_f64 v[27:28], -v[48:49], v[70:71], v[27:28]
	v_cvt_f64_f32_e32 v[48:49], v50
	v_cvt_f64_f32_e32 v[50:51], v51
	v_fma_f64 v[29:30], v[52:53], v[70:71], v[29:30]
	v_fma_f64 v[23:24], v[48:49], v[68:69], v[23:24]
	;; [unrolled: 1-line block ×3, first 2 shown]
	v_fma_f64 v[23:24], -v[50:51], v[70:71], v[23:24]
	v_fma_f64 v[25:26], v[48:49], v[70:71], v[25:26]
	v_cvt_f64_f32_e32 v[48:49], v44
	v_cvt_f64_f32_e32 v[44:45], v45
	v_fma_f64 v[35:36], v[48:49], v[64:65], v[35:36]
	v_fma_f64 v[50:51], -v[44:45], v[66:67], v[35:36]
	v_fma_f64 v[35:36], v[44:45], v[64:65], v[37:38]
	v_cvt_f64_f32_e32 v[37:38], v47
	v_fma_f64 v[44:45], v[48:49], v[66:67], v[35:36]
	v_cvt_f64_f32_e32 v[35:36], v46
	v_fma_f64 v[31:32], v[35:36], v[64:65], v[31:32]
	v_fma_f64 v[46:47], -v[37:38], v[66:67], v[31:32]
	v_fma_f64 v[31:32], v[37:38], v[64:65], v[33:34]
	v_cvt_f64_f32_e32 v[33:34], v40
	v_fma_f64 v[29:30], v[33:34], v[64:65], v[29:30]
	v_fma_f64 v[48:49], v[35:36], v[66:67], v[31:32]
	v_cvt_f64_f32_e32 v[31:32], v39
	v_fma_f64 v[52:53], v[31:32], v[66:67], v[29:30]
	v_cvt_f64_f32_e32 v[29:30], v41
	;; [unrolled: 2-line block ×3, first 2 shown]
	v_fma_f64 v[23:24], v[29:30], v[64:65], v[23:24]
	v_fma_f64 v[27:28], -v[33:34], v[66:67], v[27:28]
	v_fma_f64 v[41:42], -v[31:32], v[66:67], v[23:24]
	v_fma_f64 v[23:24], v[31:32], v[64:65], v[25:26]
	v_fma_f64 v[54:55], v[29:30], v[66:67], v[23:24]
	global_load_dwordx4 v[23:26], v[19:20], off offset:2160
	global_load_dwordx4 v[29:32], v[19:20], off offset:2144
	;; [unrolled: 1-line block ×4, first 2 shown]
	s_waitcnt vmcnt(0)
	v_cvt_f64_f32_e32 v[19:20], v37
	v_cvt_f64_f32_e32 v[37:38], v38
	v_fma_f64 v[50:51], v[19:20], v[60:61], v[50:51]
	v_fma_f64 v[50:51], -v[37:38], v[62:63], v[50:51]
	v_fma_f64 v[37:38], v[37:38], v[60:61], v[44:45]
	v_fma_f64 v[19:20], v[19:20], v[62:63], v[37:38]
	v_cvt_f64_f32_e32 v[37:38], v39
	v_cvt_f64_f32_e32 v[39:40], v40
	v_fma_f64 v[44:45], v[37:38], v[60:61], v[46:47]
	v_fma_f64 v[44:45], -v[39:40], v[62:63], v[44:45]
	v_fma_f64 v[39:40], v[39:40], v[60:61], v[48:49]
	v_fma_f64 v[39:40], v[37:38], v[62:63], v[39:40]
	;; [unrolled: 6-line block ×4, first 2 shown]
	v_cvt_f64_f32_e32 v[35:36], v29
	v_cvt_f64_f32_e32 v[37:38], v30
	v_fma_f64 v[29:30], v[35:36], v[56:57], v[50:51]
	v_fma_f64 v[19:20], v[37:38], v[56:57], v[19:20]
	v_fma_f64 v[29:30], -v[37:38], v[58:59], v[29:30]
	v_fma_f64 v[37:38], v[35:36], v[58:59], v[19:20]
	v_cvt_f64_f32_e32 v[19:20], v31
	v_cvt_f64_f32_e32 v[31:32], v32
	v_fma_f64 v[35:36], v[19:20], v[56:57], v[44:45]
	v_fma_f64 v[41:42], -v[31:32], v[58:59], v[35:36]
	v_fma_f64 v[31:32], v[31:32], v[56:57], v[39:40]
	v_fma_f64 v[39:40], v[19:20], v[58:59], v[31:32]
	v_cvt_f64_f32_e32 v[19:20], v23
	v_cvt_f64_f32_e32 v[23:24], v24
	v_fma_f64 v[27:28], v[19:20], v[56:57], v[27:28]
	v_fma_f64 v[31:32], -v[23:24], v[58:59], v[27:28]
	v_fma_f64 v[23:24], v[23:24], v[56:57], v[33:34]
	;; [unrolled: 6-line block ×3, first 2 shown]
	v_fma_f64 v[33:34], v[19:20], v[58:59], v[23:24]
	s_andn2_b64 exec, exec, s[10:11]
	s_cbranch_execnz .LBB177_33
; %bb.34:
	s_or_b64 exec, exec, s[10:11]
.LBB177_35:
	s_or_b64 exec, exec, s[8:9]
.LBB177_36:
	s_or_b64 exec, exec, s[2:3]
.LBB177_37:
	v_mov_b32_dpp v9, v29 row_shr:1 row_mask:0xf bank_mask:0xf
	v_mov_b32_dpp v10, v30 row_shr:1 row_mask:0xf bank_mask:0xf
	v_add_f64 v[9:10], v[29:30], v[9:10]
	v_mov_b32_dpp v11, v37 row_shr:1 row_mask:0xf bank_mask:0xf
	v_mov_b32_dpp v12, v38 row_shr:1 row_mask:0xf bank_mask:0xf
	v_add_f64 v[11:12], v[37:38], v[11:12]
	;; [unrolled: 3-line block ×3, first 2 shown]
	v_mov_b32_dpp v37, v27 row_shr:1 row_mask:0xf bank_mask:0xf
	v_mov_b32_dpp v15, v9 row_shr:2 row_mask:0xf bank_mask:0xf
	;; [unrolled: 1-line block ×3, first 2 shown]
	v_add_f64 v[9:10], v[9:10], v[15:16]
	v_mov_b32_dpp v15, v11 row_shr:2 row_mask:0xf bank_mask:0xf
	v_mov_b32_dpp v16, v12 row_shr:2 row_mask:0xf bank_mask:0xf
	v_add_f64 v[11:12], v[11:12], v[15:16]
	v_mov_b32_dpp v15, v39 row_shr:1 row_mask:0xf bank_mask:0xf
	v_mov_b32_dpp v16, v40 row_shr:1 row_mask:0xf bank_mask:0xf
	;; [unrolled: 3-line block ×3, first 2 shown]
	v_add_f64 v[13:14], v[13:14], v[19:20]
	v_mov_b32_dpp v38, v28 row_shr:1 row_mask:0xf bank_mask:0xf
	v_add_f64 v[27:28], v[27:28], v[37:38]
	v_mov_b32_dpp v37, v35 row_shr:1 row_mask:0xf bank_mask:0xf
	v_mov_b32_dpp v38, v36 row_shr:1 row_mask:0xf bank_mask:0xf
	;; [unrolled: 1-line block ×4, first 2 shown]
	v_add_f64 v[15:16], v[15:16], v[19:20]
	v_mov_b32_dpp v19, v31 row_shr:1 row_mask:0xf bank_mask:0xf
	v_mov_b32_dpp v20, v32 row_shr:1 row_mask:0xf bank_mask:0xf
	v_add_f64 v[19:20], v[31:32], v[19:20]
	v_add_f64 v[35:36], v[35:36], v[37:38]
	v_mov_b32_dpp v37, v33 row_shr:1 row_mask:0xf bank_mask:0xf
	v_mov_b32_dpp v38, v34 row_shr:1 row_mask:0xf bank_mask:0xf
	v_add_f64 v[33:34], v[33:34], v[37:38]
	v_mov_b32_dpp v17, v9 row_shr:4 row_mask:0xf bank_mask:0xe
	v_mov_b32_dpp v18, v10 row_shr:4 row_mask:0xf bank_mask:0xe
	;; [unrolled: 3-line block ×6, first 2 shown]
	v_mov_b32_dpp v37, v27 row_shr:2 row_mask:0xf bank_mask:0xf
	v_mov_b32_dpp v38, v28 row_shr:2 row_mask:0xf bank_mask:0xf
	v_add_f64 v[29:30], v[19:20], v[17:18]
	v_add_f64 v[37:38], v[27:28], v[37:38]
	v_mov_b32_dpp v27, v35 row_shr:2 row_mask:0xf bank_mask:0xf
	v_mov_b32_dpp v28, v36 row_shr:2 row_mask:0xf bank_mask:0xf
	v_add_f64 v[35:36], v[35:36], v[27:28]
	v_mov_b32_dpp v27, v33 row_shr:2 row_mask:0xf bank_mask:0xf
	v_mov_b32_dpp v28, v34 row_shr:2 row_mask:0xf bank_mask:0xf
	;; [unrolled: 3-line block ×4, first 2 shown]
	v_mov_b32_dpp v32, v36 row_shr:4 row_mask:0xf bank_mask:0xe
	v_mov_b32_dpp v30, v38 row_shr:4 row_mask:0xf bank_mask:0xe
	v_add_f64 v[31:32], v[35:36], v[31:32]
	v_mov_b32_dpp v35, v33 row_shr:4 row_mask:0xf bank_mask:0xe
	v_mov_b32_dpp v36, v34 row_shr:4 row_mask:0xf bank_mask:0xe
	v_add_f64 v[29:30], v[37:38], v[29:30]
	v_add_f64 v[33:34], v[33:34], v[35:36]
	v_mov_b32_dpp v25, v9 row_shr:8 row_mask:0xf bank_mask:0xc
	v_mov_b32_dpp v26, v10 row_shr:8 row_mask:0xf bank_mask:0xc
	;; [unrolled: 1-line block ×16, first 2 shown]
	v_cmp_eq_u32_e32 vcc, 15, v0
	s_and_b64 exec, exec, vcc
	s_cbranch_execz .LBB177_8
; %bb.38:
	v_add_f64 v[11:12], v[11:12], v[23:24]
	v_add_f64 v[23:24], v[13:14], v[19:20]
	;; [unrolled: 1-line block ×8, first 2 shown]
	v_mul_f64 v[19:20], v[11:12], -v[7:8]
	v_mul_f64 v[11:12], v[5:6], v[11:12]
	v_mul_f64 v[29:30], v[13:14], -v[7:8]
	v_mul_f64 v[31:32], v[5:6], v[13:14]
	;; [unrolled: 2-line block ×4, first 2 shown]
	v_cmp_eq_f64_e32 vcc, 0, v[1:2]
	v_cmp_eq_f64_e64 s[0:1], 0, v[3:4]
	v_fma_f64 v[17:18], v[5:6], v[9:10], v[19:20]
	v_fma_f64 v[19:20], v[7:8], v[9:10], v[11:12]
	;; [unrolled: 1-line block ×8, first 2 shown]
	s_load_dwordx2 s[2:3], s[4:5], 0x68
	v_lshlrev_b64 v[21:22], 6, v[21:22]
	s_and_b64 s[0:1], vcc, s[0:1]
	s_and_saveexec_b64 s[4:5], s[0:1]
	s_xor_b64 s[0:1], exec, s[4:5]
	s_cbranch_execz .LBB177_40
; %bb.39:
	s_waitcnt lgkmcnt(0)
	v_mov_b32_e32 v1, s3
	v_add_co_u32_e32 v0, vcc, s2, v21
	v_addc_co_u32_e32 v1, vcc, v1, v22, vcc
	global_store_dwordx4 v[0:1], v[17:20], off
	global_store_dwordx4 v[0:1], v[13:16], off offset:16
	global_store_dwordx4 v[0:1], v[9:12], off offset:32
	;; [unrolled: 1-line block ×3, first 2 shown]
                                        ; implicit-def: $vgpr3_vgpr4
                                        ; implicit-def: $vgpr17_vgpr18
                                        ; implicit-def: $vgpr21_vgpr22
                                        ; implicit-def: $vgpr13_vgpr14
                                        ; implicit-def: $vgpr9_vgpr10
                                        ; implicit-def: $vgpr5_vgpr6
.LBB177_40:
	s_andn2_saveexec_b64 s[0:1], s[0:1]
	s_cbranch_execz .LBB177_8
; %bb.41:
	s_waitcnt lgkmcnt(0)
	v_mov_b32_e32 v0, s3
	v_add_co_u32_e32 v37, vcc, s2, v21
	v_addc_co_u32_e32 v38, vcc, v0, v22, vcc
	global_load_dwordx4 v[21:24], v[37:38], off
	global_load_dwordx4 v[25:28], v[37:38], off offset:16
	global_load_dwordx4 v[29:32], v[37:38], off offset:32
	;; [unrolled: 1-line block ×3, first 2 shown]
	s_waitcnt vmcnt(3)
	v_fma_f64 v[17:18], v[1:2], v[21:22], v[17:18]
	v_fma_f64 v[19:20], v[3:4], v[21:22], v[19:20]
	s_waitcnt vmcnt(2)
	v_fma_f64 v[13:14], v[1:2], v[25:26], v[13:14]
	v_fma_f64 v[15:16], v[3:4], v[25:26], v[15:16]
	;; [unrolled: 3-line block ×4, first 2 shown]
	v_fma_f64 v[5:6], -v[3:4], v[23:24], v[17:18]
	v_fma_f64 v[7:8], v[1:2], v[23:24], v[19:20]
	v_fma_f64 v[9:10], -v[3:4], v[27:28], v[13:14]
	v_fma_f64 v[11:12], v[1:2], v[27:28], v[15:16]
	;; [unrolled: 2-line block ×4, first 2 shown]
	global_store_dwordx4 v[37:38], v[5:8], off
	global_store_dwordx4 v[37:38], v[9:12], off offset:16
	global_store_dwordx4 v[37:38], v[13:16], off offset:32
	;; [unrolled: 1-line block ×3, first 2 shown]
	s_endpgm
	.section	.rodata,"a",@progbits
	.p2align	6, 0x0
	.amdhsa_kernel _ZN9rocsparseL18bsrxmvn_4x4_kernelILj128ELj16E21rocsparse_complex_numIdEllS1_IfES2_S2_EEvT3_20rocsparse_direction_NS_24const_host_device_scalarIT1_EES4_PKS4_PKT2_SD_SA_PKT4_PKT5_S8_PT6_21rocsparse_index_base_b
		.amdhsa_group_segment_fixed_size 0
		.amdhsa_private_segment_fixed_size 0
		.amdhsa_kernarg_size 120
		.amdhsa_user_sgpr_count 6
		.amdhsa_user_sgpr_private_segment_buffer 1
		.amdhsa_user_sgpr_dispatch_ptr 0
		.amdhsa_user_sgpr_queue_ptr 0
		.amdhsa_user_sgpr_kernarg_segment_ptr 1
		.amdhsa_user_sgpr_dispatch_id 0
		.amdhsa_user_sgpr_flat_scratch_init 0
		.amdhsa_user_sgpr_private_segment_size 0
		.amdhsa_uses_dynamic_stack 0
		.amdhsa_system_sgpr_private_segment_wavefront_offset 0
		.amdhsa_system_sgpr_workgroup_id_x 1
		.amdhsa_system_sgpr_workgroup_id_y 0
		.amdhsa_system_sgpr_workgroup_id_z 0
		.amdhsa_system_sgpr_workgroup_info 0
		.amdhsa_system_vgpr_workitem_id 0
		.amdhsa_next_free_vgpr 90
		.amdhsa_next_free_sgpr 17
		.amdhsa_reserve_vcc 1
		.amdhsa_reserve_flat_scratch 0
		.amdhsa_float_round_mode_32 0
		.amdhsa_float_round_mode_16_64 0
		.amdhsa_float_denorm_mode_32 3
		.amdhsa_float_denorm_mode_16_64 3
		.amdhsa_dx10_clamp 1
		.amdhsa_ieee_mode 1
		.amdhsa_fp16_overflow 0
		.amdhsa_exception_fp_ieee_invalid_op 0
		.amdhsa_exception_fp_denorm_src 0
		.amdhsa_exception_fp_ieee_div_zero 0
		.amdhsa_exception_fp_ieee_overflow 0
		.amdhsa_exception_fp_ieee_underflow 0
		.amdhsa_exception_fp_ieee_inexact 0
		.amdhsa_exception_int_div_zero 0
	.end_amdhsa_kernel
	.section	.text._ZN9rocsparseL18bsrxmvn_4x4_kernelILj128ELj16E21rocsparse_complex_numIdEllS1_IfES2_S2_EEvT3_20rocsparse_direction_NS_24const_host_device_scalarIT1_EES4_PKS4_PKT2_SD_SA_PKT4_PKT5_S8_PT6_21rocsparse_index_base_b,"axG",@progbits,_ZN9rocsparseL18bsrxmvn_4x4_kernelILj128ELj16E21rocsparse_complex_numIdEllS1_IfES2_S2_EEvT3_20rocsparse_direction_NS_24const_host_device_scalarIT1_EES4_PKS4_PKT2_SD_SA_PKT4_PKT5_S8_PT6_21rocsparse_index_base_b,comdat
.Lfunc_end177:
	.size	_ZN9rocsparseL18bsrxmvn_4x4_kernelILj128ELj16E21rocsparse_complex_numIdEllS1_IfES2_S2_EEvT3_20rocsparse_direction_NS_24const_host_device_scalarIT1_EES4_PKS4_PKT2_SD_SA_PKT4_PKT5_S8_PT6_21rocsparse_index_base_b, .Lfunc_end177-_ZN9rocsparseL18bsrxmvn_4x4_kernelILj128ELj16E21rocsparse_complex_numIdEllS1_IfES2_S2_EEvT3_20rocsparse_direction_NS_24const_host_device_scalarIT1_EES4_PKS4_PKT2_SD_SA_PKT4_PKT5_S8_PT6_21rocsparse_index_base_b
                                        ; -- End function
	.set _ZN9rocsparseL18bsrxmvn_4x4_kernelILj128ELj16E21rocsparse_complex_numIdEllS1_IfES2_S2_EEvT3_20rocsparse_direction_NS_24const_host_device_scalarIT1_EES4_PKS4_PKT2_SD_SA_PKT4_PKT5_S8_PT6_21rocsparse_index_base_b.num_vgpr, 90
	.set _ZN9rocsparseL18bsrxmvn_4x4_kernelILj128ELj16E21rocsparse_complex_numIdEllS1_IfES2_S2_EEvT3_20rocsparse_direction_NS_24const_host_device_scalarIT1_EES4_PKS4_PKT2_SD_SA_PKT4_PKT5_S8_PT6_21rocsparse_index_base_b.num_agpr, 0
	.set _ZN9rocsparseL18bsrxmvn_4x4_kernelILj128ELj16E21rocsparse_complex_numIdEllS1_IfES2_S2_EEvT3_20rocsparse_direction_NS_24const_host_device_scalarIT1_EES4_PKS4_PKT2_SD_SA_PKT4_PKT5_S8_PT6_21rocsparse_index_base_b.numbered_sgpr, 17
	.set _ZN9rocsparseL18bsrxmvn_4x4_kernelILj128ELj16E21rocsparse_complex_numIdEllS1_IfES2_S2_EEvT3_20rocsparse_direction_NS_24const_host_device_scalarIT1_EES4_PKS4_PKT2_SD_SA_PKT4_PKT5_S8_PT6_21rocsparse_index_base_b.num_named_barrier, 0
	.set _ZN9rocsparseL18bsrxmvn_4x4_kernelILj128ELj16E21rocsparse_complex_numIdEllS1_IfES2_S2_EEvT3_20rocsparse_direction_NS_24const_host_device_scalarIT1_EES4_PKS4_PKT2_SD_SA_PKT4_PKT5_S8_PT6_21rocsparse_index_base_b.private_seg_size, 0
	.set _ZN9rocsparseL18bsrxmvn_4x4_kernelILj128ELj16E21rocsparse_complex_numIdEllS1_IfES2_S2_EEvT3_20rocsparse_direction_NS_24const_host_device_scalarIT1_EES4_PKS4_PKT2_SD_SA_PKT4_PKT5_S8_PT6_21rocsparse_index_base_b.uses_vcc, 1
	.set _ZN9rocsparseL18bsrxmvn_4x4_kernelILj128ELj16E21rocsparse_complex_numIdEllS1_IfES2_S2_EEvT3_20rocsparse_direction_NS_24const_host_device_scalarIT1_EES4_PKS4_PKT2_SD_SA_PKT4_PKT5_S8_PT6_21rocsparse_index_base_b.uses_flat_scratch, 0
	.set _ZN9rocsparseL18bsrxmvn_4x4_kernelILj128ELj16E21rocsparse_complex_numIdEllS1_IfES2_S2_EEvT3_20rocsparse_direction_NS_24const_host_device_scalarIT1_EES4_PKS4_PKT2_SD_SA_PKT4_PKT5_S8_PT6_21rocsparse_index_base_b.has_dyn_sized_stack, 0
	.set _ZN9rocsparseL18bsrxmvn_4x4_kernelILj128ELj16E21rocsparse_complex_numIdEllS1_IfES2_S2_EEvT3_20rocsparse_direction_NS_24const_host_device_scalarIT1_EES4_PKS4_PKT2_SD_SA_PKT4_PKT5_S8_PT6_21rocsparse_index_base_b.has_recursion, 0
	.set _ZN9rocsparseL18bsrxmvn_4x4_kernelILj128ELj16E21rocsparse_complex_numIdEllS1_IfES2_S2_EEvT3_20rocsparse_direction_NS_24const_host_device_scalarIT1_EES4_PKS4_PKT2_SD_SA_PKT4_PKT5_S8_PT6_21rocsparse_index_base_b.has_indirect_call, 0
	.section	.AMDGPU.csdata,"",@progbits
; Kernel info:
; codeLenInByte = 10768
; TotalNumSgprs: 21
; NumVgprs: 90
; ScratchSize: 0
; MemoryBound: 0
; FloatMode: 240
; IeeeMode: 1
; LDSByteSize: 0 bytes/workgroup (compile time only)
; SGPRBlocks: 2
; VGPRBlocks: 22
; NumSGPRsForWavesPerEU: 21
; NumVGPRsForWavesPerEU: 90
; Occupancy: 2
; WaveLimiterHint : 1
; COMPUTE_PGM_RSRC2:SCRATCH_EN: 0
; COMPUTE_PGM_RSRC2:USER_SGPR: 6
; COMPUTE_PGM_RSRC2:TRAP_HANDLER: 0
; COMPUTE_PGM_RSRC2:TGID_X_EN: 1
; COMPUTE_PGM_RSRC2:TGID_Y_EN: 0
; COMPUTE_PGM_RSRC2:TGID_Z_EN: 0
; COMPUTE_PGM_RSRC2:TIDIG_COMP_CNT: 0
	.section	.text._ZN9rocsparseL18bsrxmvn_4x4_kernelILj128ELj32E21rocsparse_complex_numIdEllS1_IfES2_S2_EEvT3_20rocsparse_direction_NS_24const_host_device_scalarIT1_EES4_PKS4_PKT2_SD_SA_PKT4_PKT5_S8_PT6_21rocsparse_index_base_b,"axG",@progbits,_ZN9rocsparseL18bsrxmvn_4x4_kernelILj128ELj32E21rocsparse_complex_numIdEllS1_IfES2_S2_EEvT3_20rocsparse_direction_NS_24const_host_device_scalarIT1_EES4_PKS4_PKT2_SD_SA_PKT4_PKT5_S8_PT6_21rocsparse_index_base_b,comdat
	.globl	_ZN9rocsparseL18bsrxmvn_4x4_kernelILj128ELj32E21rocsparse_complex_numIdEllS1_IfES2_S2_EEvT3_20rocsparse_direction_NS_24const_host_device_scalarIT1_EES4_PKS4_PKT2_SD_SA_PKT4_PKT5_S8_PT6_21rocsparse_index_base_b ; -- Begin function _ZN9rocsparseL18bsrxmvn_4x4_kernelILj128ELj32E21rocsparse_complex_numIdEllS1_IfES2_S2_EEvT3_20rocsparse_direction_NS_24const_host_device_scalarIT1_EES4_PKS4_PKT2_SD_SA_PKT4_PKT5_S8_PT6_21rocsparse_index_base_b
	.p2align	8
	.type	_ZN9rocsparseL18bsrxmvn_4x4_kernelILj128ELj32E21rocsparse_complex_numIdEllS1_IfES2_S2_EEvT3_20rocsparse_direction_NS_24const_host_device_scalarIT1_EES4_PKS4_PKT2_SD_SA_PKT4_PKT5_S8_PT6_21rocsparse_index_base_b,@function
_ZN9rocsparseL18bsrxmvn_4x4_kernelILj128ELj32E21rocsparse_complex_numIdEllS1_IfES2_S2_EEvT3_20rocsparse_direction_NS_24const_host_device_scalarIT1_EES4_PKS4_PKT2_SD_SA_PKT4_PKT5_S8_PT6_21rocsparse_index_base_b: ; @_ZN9rocsparseL18bsrxmvn_4x4_kernelILj128ELj32E21rocsparse_complex_numIdEllS1_IfES2_S2_EEvT3_20rocsparse_direction_NS_24const_host_device_scalarIT1_EES4_PKS4_PKT2_SD_SA_PKT4_PKT5_S8_PT6_21rocsparse_index_base_b
; %bb.0:
	s_load_dwordx2 s[0:1], s[4:5], 0x10
	s_load_dwordx2 s[2:3], s[4:5], 0x70
	s_add_u32 s7, s4, 16
	s_addc_u32 s10, s5, 0
	s_add_u32 s11, s4, 0x58
	s_addc_u32 s12, s5, 0
	s_waitcnt lgkmcnt(0)
	s_bitcmp1_b32 s3, 0
	s_cselect_b32 s1, s10, s1
	s_cselect_b32 s0, s7, s0
	v_mov_b32_e32 v1, s0
	v_mov_b32_e32 v2, s1
	flat_load_dwordx4 v[5:8], v[1:2]
	s_load_dwordx2 s[8:9], s[4:5], 0x58
	s_waitcnt lgkmcnt(0)
	s_cselect_b32 s0, s12, s9
	s_cselect_b32 s1, s11, s8
	v_mov_b32_e32 v1, s1
	v_mov_b32_e32 v2, s0
	flat_load_dwordx4 v[1:4], v[1:2]
	s_waitcnt vmcnt(0)
	v_cmp_eq_f64_e32 vcc, 0, v[5:6]
	v_cmp_eq_f64_e64 s[0:1], 0, v[7:8]
	s_and_b64 s[10:11], vcc, s[0:1]
	s_mov_b64 s[0:1], -1
	s_and_saveexec_b64 s[8:9], s[10:11]
	s_cbranch_execz .LBB178_2
; %bb.1:
	s_waitcnt lgkmcnt(0)
	v_cmp_neq_f64_e32 vcc, 1.0, v[1:2]
	v_cmp_neq_f64_e64 s[0:1], 0, v[3:4]
	s_or_b64 s[0:1], vcc, s[0:1]
	s_orn2_b64 s[0:1], s[0:1], exec
.LBB178_2:
	s_or_b64 exec, exec, s[8:9]
	s_and_saveexec_b64 s[8:9], s[0:1]
	s_cbranch_execz .LBB178_8
; %bb.3:
	s_load_dwordx2 s[8:9], s[4:5], 0x28
	v_lshrrev_b32_e32 v9, 5, v0
	v_lshl_or_b32 v11, s6, 2, v9
	v_mov_b32_e32 v12, 0
	s_mov_b64 s[0:1], 0
	s_waitcnt lgkmcnt(0)
	s_cmp_lg_u64 s[8:9], 0
	s_cbranch_scc0 .LBB178_9
; %bb.4:
	s_load_dwordx2 s[6:7], s[4:5], 0x20
                                        ; implicit-def: $vgpr21_vgpr22
                                        ; implicit-def: $vgpr9_vgpr10
	s_waitcnt lgkmcnt(0)
	v_cmp_gt_i64_e32 vcc, s[6:7], v[11:12]
	s_and_saveexec_b64 s[6:7], vcc
	s_xor_b64 s[6:7], exec, s[6:7]
	s_cbranch_execz .LBB178_6
; %bb.5:
	v_lshlrev_b64 v[9:10], 3, v[11:12]
	v_mov_b32_e32 v13, s9
	v_add_co_u32_e32 v9, vcc, s8, v9
	v_addc_co_u32_e32 v10, vcc, v13, v10, vcc
	global_load_dwordx2 v[9:10], v[9:10], off
	s_mov_b32 s3, 0
	s_mov_b64 s[0:1], exec
	s_waitcnt vmcnt(0)
	v_subrev_co_u32_e32 v21, vcc, s2, v9
	v_subbrev_co_u32_e32 v22, vcc, 0, v10, vcc
	v_mov_b32_e32 v10, s3
	v_mov_b32_e32 v9, s2
.LBB178_6:
	s_or_b64 exec, exec, s[6:7]
.LBB178_7:
	s_and_b64 exec, exec, s[0:1]
	s_cbranch_execnz .LBB178_13
.LBB178_8:
	s_endpgm
.LBB178_9:
                                        ; implicit-def: $vgpr21_vgpr22
                                        ; implicit-def: $vgpr9_vgpr10
	s_cbranch_execz .LBB178_7
; %bb.10:
	s_load_dwordx2 s[6:7], s[4:5], 0x0
	s_waitcnt lgkmcnt(0)
	v_cmp_gt_i64_e32 vcc, s[6:7], v[11:12]
	s_and_saveexec_b64 s[6:7], vcc
; %bb.11:
	s_mov_b32 s3, 0
	s_or_b64 s[0:1], s[0:1], exec
; %bb.12:
	s_or_b64 exec, exec, s[6:7]
	v_mov_b32_e32 v10, s3
	v_mov_b32_e32 v22, v12
	;; [unrolled: 1-line block ×4, first 2 shown]
	s_and_b64 exec, exec, s[0:1]
	s_cbranch_execz .LBB178_8
.LBB178_13:
	s_load_dwordx8 s[8:15], s[4:5], 0x30
	v_lshlrev_b64 v[11:12], 3, v[21:22]
	v_and_b32_e32 v0, 31, v0
	s_waitcnt lgkmcnt(0)
	v_mov_b32_e32 v14, s9
	v_add_co_u32_e32 v13, vcc, s8, v11
	v_addc_co_u32_e32 v14, vcc, v14, v12, vcc
	global_load_dwordx2 v[17:18], v[13:14], off
	v_add_co_u32_e32 v13, vcc, 8, v13
	v_addc_co_u32_e32 v14, vcc, 0, v14, vcc
	v_mov_b32_e32 v15, s11
	v_add_co_u32_e32 v11, vcc, s10, v11
	s_cmp_eq_u64 s[10:11], 0
	v_addc_co_u32_e32 v12, vcc, v15, v12, vcc
	s_cselect_b64 vcc, -1, 0
	v_cndmask_b32_e32 v12, v12, v14, vcc
	v_cndmask_b32_e32 v11, v11, v13, vcc
	global_load_dwordx2 v[13:14], v[11:12], off
	s_load_dword s0, s[4:5], 0x8
	s_load_dwordx2 s[6:7], s[4:5], 0x50
	v_mov_b32_e32 v19, s15
	s_waitcnt lgkmcnt(0)
	s_cmp_eq_u32 s0, 1
	s_waitcnt vmcnt(1)
	v_sub_co_u32_e32 v11, vcc, v17, v9
	v_subb_co_u32_e32 v12, vcc, v18, v10, vcc
	v_add_co_u32_e32 v11, vcc, v11, v0
	v_addc_co_u32_e32 v12, vcc, 0, v12, vcc
	v_lshlrev_b64 v[15:16], 7, v[11:12]
	s_waitcnt vmcnt(0)
	v_sub_co_u32_e32 v13, vcc, v13, v9
	v_subb_co_u32_e32 v14, vcc, v14, v10, vcc
	v_cmp_lt_i64_e64 s[0:1], v[11:12], v[13:14]
	v_add_co_u32_e32 v15, vcc, s14, v15
	v_addc_co_u32_e32 v16, vcc, v19, v16, vcc
	s_cbranch_scc1 .LBB178_25
; %bb.14:
	v_mov_b32_e32 v37, 0
	v_mov_b32_e32 v35, 0
	;; [unrolled: 1-line block ×16, first 2 shown]
	s_and_saveexec_b64 s[8:9], s[0:1]
	s_cbranch_execz .LBB178_24
; %bb.15:
	v_or_b32_e32 v19, 32, v0
	v_sub_co_u32_e32 v19, vcc, v19, v9
	v_subb_co_u32_e32 v20, vcc, 0, v10, vcc
	v_add_co_u32_e32 v19, vcc, v19, v17
	v_addc_co_u32_e32 v20, vcc, v20, v18, vcc
	v_cmp_gt_i64_e32 vcc, v[19:20], v[13:14]
	v_not_b32_e32 v24, v17
	v_cndmask_b32_e32 v20, v14, v20, vcc
	v_cndmask_b32_e32 v19, v13, v19, vcc
	v_sub_co_u32_e32 v25, vcc, v9, v0
	v_subbrev_co_u32_e32 v26, vcc, 0, v10, vcc
	v_not_b32_e32 v23, v18
	v_add_co_u32_e32 v24, vcc, v25, v24
	v_addc_co_u32_e32 v23, vcc, v26, v23, vcc
	v_add_co_u32_e32 v25, vcc, v24, v19
	v_addc_co_u32_e32 v26, vcc, v23, v20, vcc
	v_and_b32_e32 v19, 0x60, v25
	v_mov_b32_e32 v20, 0
	s_mov_b64 s[2:3], 0x60
	v_cmp_ne_u64_e32 vcc, s[2:3], v[19:20]
	v_mov_b32_e32 v33, 0
	v_mov_b32_e32 v29, 0
	;; [unrolled: 1-line block ×20, first 2 shown]
	s_and_saveexec_b64 s[10:11], vcc
	s_cbranch_execz .LBB178_19
; %bb.16:
	v_lshrrev_b32_e32 v19, 5, v25
	v_add_u32_e32 v19, 1, v19
	v_and_b32_e32 v23, 3, v19
	v_lshlrev_b64 v[19:20], 3, v[11:12]
	v_mov_b32_e32 v24, s13
	v_add_co_u32_e32 v43, vcc, s12, v19
	v_addc_co_u32_e32 v44, vcc, v24, v20, vcc
	v_sub_co_u32_e32 v45, vcc, 0, v23
	v_mov_b32_e32 v37, 0
	v_mov_b32_e32 v20, v12
	;; [unrolled: 1-line block ×10, first 2 shown]
	s_mov_b64 s[14:15], 0
	v_subb_co_u32_e64 v46, s[2:3], 0, 0, vcc
	v_mov_b32_e32 v38, 0
	s_movk_i32 s16, 0x1000
	v_mov_b32_e32 v19, v11
	v_mov_b32_e32 v36, 0
	;; [unrolled: 1-line block ×9, first 2 shown]
.LBB178_17:                             ; =>This Inner Loop Header: Depth=1
	global_load_dwordx2 v[55:56], v[43:44], off
	global_load_dwordx4 v[47:50], v[23:24], off
	global_load_dwordx4 v[51:54], v[23:24], off offset:32
	v_mov_b32_e32 v57, s7
	v_add_co_u32_e64 v19, s[2:3], 32, v19
	v_addc_co_u32_e64 v20, s[2:3], 0, v20, s[2:3]
	v_add_co_u32_e64 v45, s[2:3], 1, v45
	v_addc_co_u32_e64 v46, s[2:3], 0, v46, s[2:3]
	v_cmp_eq_u64_e64 s[2:3], 0, v[45:46]
	s_or_b64 s[14:15], s[2:3], s[14:15]
	s_waitcnt vmcnt(2)
	v_sub_co_u32_e32 v55, vcc, v55, v9
	v_subb_co_u32_e32 v56, vcc, v56, v10, vcc
	v_lshlrev_b64 v[55:56], 6, v[55:56]
	s_waitcnt vmcnt(1)
	v_cvt_f64_f32_e32 v[59:60], v47
	v_add_co_u32_e32 v61, vcc, s6, v55
	v_addc_co_u32_e32 v62, vcc, v57, v56, vcc
	global_load_dwordx4 v[55:58], v[61:62], off
	v_cvt_f64_f32_e32 v[47:48], v48
	s_waitcnt vmcnt(0)
	v_fma_f64 v[35:36], v[59:60], v[55:56], v[35:36]
	v_fma_f64 v[37:38], v[47:48], v[55:56], v[37:38]
	v_fma_f64 v[47:48], -v[47:48], v[57:58], v[35:36]
	v_cvt_f64_f32_e32 v[35:36], v51
	v_fma_f64 v[59:60], v[59:60], v[57:58], v[37:38]
	v_cvt_f64_f32_e32 v[37:38], v52
	v_fma_f64 v[41:42], v[35:36], v[55:56], v[41:42]
	v_fma_f64 v[39:40], v[37:38], v[55:56], v[39:40]
	v_fma_f64 v[51:52], -v[37:38], v[57:58], v[41:42]
	v_fma_f64 v[63:64], v[35:36], v[57:58], v[39:40]
	global_load_dwordx4 v[35:38], v[23:24], off offset:64
	s_waitcnt vmcnt(0)
	v_cvt_f64_f32_e32 v[39:40], v35
	v_cvt_f64_f32_e32 v[35:36], v36
	v_fma_f64 v[31:32], v[39:40], v[55:56], v[31:32]
	v_fma_f64 v[27:28], v[35:36], v[55:56], v[27:28]
	v_fma_f64 v[35:36], -v[35:36], v[57:58], v[31:32]
	v_fma_f64 v[65:66], v[39:40], v[57:58], v[27:28]
	global_load_dwordx4 v[39:42], v[23:24], off offset:96
	s_waitcnt vmcnt(0)
	v_cvt_f64_f32_e32 v[27:28], v39
	v_cvt_f64_f32_e32 v[67:68], v41
	;; [unrolled: 1-line block ×3, first 2 shown]
	v_fma_f64 v[31:32], v[27:28], v[55:56], v[33:34]
	v_cvt_f64_f32_e32 v[33:34], v40
	v_fma_f64 v[29:30], v[33:34], v[55:56], v[29:30]
	v_fma_f64 v[39:40], -v[33:34], v[57:58], v[31:32]
	v_cvt_f64_f32_e32 v[33:34], v50
	v_cvt_f64_f32_e32 v[31:32], v49
	;; [unrolled: 1-line block ×4, first 2 shown]
	v_fma_f64 v[55:56], v[27:28], v[57:58], v[29:30]
	global_load_dwordx4 v[27:30], v[61:62], off offset:16
	v_cvt_f64_f32_e32 v[57:58], v37
	v_cvt_f64_f32_e32 v[37:38], v38
	s_waitcnt vmcnt(0)
	v_fma_f64 v[59:60], v[33:34], v[27:28], v[59:60]
	v_fma_f64 v[47:48], v[31:32], v[27:28], v[47:48]
	;; [unrolled: 1-line block ×6, first 2 shown]
	v_fma_f64 v[47:48], -v[33:34], v[29:30], v[47:48]
	v_fma_f64 v[33:34], v[53:54], v[27:28], v[63:64]
	v_fma_f64 v[63:64], -v[37:38], v[29:30], v[35:36]
	v_fma_f64 v[51:52], -v[53:54], v[29:30], v[31:32]
	v_fma_f64 v[53:54], v[37:38], v[27:28], v[65:66]
	v_fma_f64 v[27:28], v[41:42], v[27:28], v[55:56]
	;; [unrolled: 1-line block ×3, first 2 shown]
	global_load_dwordx4 v[31:34], v[23:24], off offset:16
	global_load_dwordx4 v[35:38], v[23:24], off offset:48
	v_fma_f64 v[55:56], -v[41:42], v[29:30], v[39:40]
	v_fma_f64 v[53:54], v[57:58], v[29:30], v[53:54]
	v_fma_f64 v[57:58], v[67:68], v[29:30], v[27:28]
	global_load_dwordx4 v[27:30], v[61:62], off offset:32
	s_waitcnt vmcnt(2)
	v_cvt_f64_f32_e32 v[39:40], v31
	v_cvt_f64_f32_e32 v[31:32], v32
	s_waitcnt vmcnt(1)
	v_cvt_f64_f32_e32 v[67:68], v38
	s_waitcnt vmcnt(0)
	v_fma_f64 v[41:42], v[39:40], v[27:28], v[47:48]
	v_fma_f64 v[47:48], v[31:32], v[27:28], v[59:60]
	v_fma_f64 v[31:32], -v[31:32], v[29:30], v[41:42]
	v_cvt_f64_f32_e32 v[41:42], v35
	v_cvt_f64_f32_e32 v[35:36], v36
	v_fma_f64 v[59:60], v[39:40], v[29:30], v[47:48]
	v_fma_f64 v[39:40], v[41:42], v[27:28], v[51:52]
	;; [unrolled: 1-line block ×3, first 2 shown]
	v_fma_f64 v[51:52], -v[35:36], v[29:30], v[39:40]
	v_fma_f64 v[65:66], v[41:42], v[29:30], v[47:48]
	global_load_dwordx4 v[39:42], v[23:24], off offset:80
	s_waitcnt vmcnt(0)
	v_cvt_f64_f32_e32 v[35:36], v39
	v_cvt_f64_f32_e32 v[39:40], v40
	v_cvt_f64_f32_e32 v[69:70], v41
	v_cvt_f64_f32_e32 v[71:72], v42
	v_fma_f64 v[47:48], v[35:36], v[27:28], v[63:64]
	v_fma_f64 v[49:50], v[39:40], v[27:28], v[53:54]
	v_cvt_f64_f32_e32 v[63:64], v37
	v_fma_f64 v[39:40], -v[39:40], v[29:30], v[47:48]
	v_fma_f64 v[53:54], v[35:36], v[29:30], v[49:50]
	global_load_dwordx4 v[47:50], v[23:24], off offset:112
	v_add_co_u32_e32 v23, vcc, s16, v23
	v_addc_co_u32_e32 v24, vcc, 0, v24, vcc
	v_add_co_u32_e32 v43, vcc, 0x100, v43
	v_addc_co_u32_e32 v44, vcc, 0, v44, vcc
	s_waitcnt vmcnt(0)
	v_cvt_f64_f32_e32 v[35:36], v47
	v_cvt_f64_f32_e32 v[47:48], v48
	;; [unrolled: 1-line block ×4, first 2 shown]
	v_fma_f64 v[55:56], v[35:36], v[27:28], v[55:56]
	v_fma_f64 v[27:28], v[47:48], v[27:28], v[57:58]
	v_cvt_f64_f32_e32 v[57:58], v33
	v_cvt_f64_f32_e32 v[33:34], v34
	v_fma_f64 v[47:48], -v[47:48], v[29:30], v[55:56]
	v_fma_f64 v[55:56], v[35:36], v[29:30], v[27:28]
	global_load_dwordx4 v[27:30], v[61:62], off offset:48
	s_waitcnt vmcnt(0)
	v_fma_f64 v[31:32], v[57:58], v[27:28], v[31:32]
	v_fma_f64 v[37:38], v[33:34], v[27:28], v[59:60]
	;; [unrolled: 1-line block ×5, first 2 shown]
	v_fma_f64 v[35:36], -v[33:34], v[29:30], v[31:32]
	v_fma_f64 v[31:32], v[63:64], v[27:28], v[51:52]
	v_fma_f64 v[33:34], v[67:68], v[27:28], v[65:66]
	;; [unrolled: 1-line block ×5, first 2 shown]
	v_fma_f64 v[41:42], -v[67:68], v[29:30], v[31:32]
	v_fma_f64 v[39:40], v[63:64], v[29:30], v[33:34]
	v_fma_f64 v[31:32], -v[71:72], v[29:30], v[51:52]
	v_fma_f64 v[33:34], -v[49:50], v[29:30], v[47:48]
	v_fma_f64 v[29:30], v[73:74], v[29:30], v[55:56]
	s_andn2_b64 exec, exec, s[14:15]
	s_cbranch_execnz .LBB178_17
; %bb.18:
	s_or_b64 exec, exec, s[14:15]
.LBB178_19:
	s_or_b64 exec, exec, s[10:11]
	s_mov_b64 s[2:3], 0x5f
	v_cmp_lt_u64_e32 vcc, s[2:3], v[25:26]
	s_and_saveexec_b64 s[10:11], vcc
	s_cbranch_execz .LBB178_23
; %bb.20:
	v_lshlrev_b64 v[25:26], 3, v[19:20]
	v_mov_b32_e32 v43, s13
	v_add_co_u32_e32 v25, vcc, s12, v25
	v_addc_co_u32_e32 v26, vcc, v43, v26, vcc
	v_add_co_u32_e32 v25, vcc, 0x200, v25
	v_addc_co_u32_e32 v26, vcc, 0, v26, vcc
	s_mov_b64 s[14:15], 0
	v_mov_b32_e32 v43, s7
	s_movk_i32 s16, 0x1000
	s_movk_i32 s17, 0x2000
	;; [unrolled: 1-line block ×3, first 2 shown]
.LBB178_21:                             ; =>This Inner Loop Header: Depth=1
	global_load_dwordx2 v[44:45], v[25:26], off offset:-512
	s_waitcnt vmcnt(0)
	v_sub_co_u32_e32 v60, vcc, v44, v9
	v_subb_co_u32_e32 v61, vcc, v45, v10, vcc
	global_load_dwordx4 v[44:47], v[23:24], off offset:48
	global_load_dwordx4 v[48:51], v[23:24], off offset:32
	;; [unrolled: 1-line block ×3, first 2 shown]
	global_load_dwordx4 v[56:59], v[23:24], off
	v_lshlrev_b64 v[60:61], 6, v[60:61]
	v_add_co_u32_e32 v78, vcc, s6, v60
	v_addc_co_u32_e32 v79, vcc, v43, v61, vcc
	global_load_dwordx4 v[60:63], v[78:79], off offset:48
	global_load_dwordx4 v[64:67], v[78:79], off offset:32
	;; [unrolled: 1-line block ×3, first 2 shown]
	global_load_dwordx4 v[72:75], v[78:79], off
	s_waitcnt vmcnt(4)
	v_cvt_f64_f32_e32 v[76:77], v56
	v_cvt_f64_f32_e32 v[56:57], v57
	s_waitcnt vmcnt(0)
	v_fma_f64 v[35:36], v[76:77], v[72:73], v[35:36]
	v_fma_f64 v[37:38], v[56:57], v[72:73], v[37:38]
	v_fma_f64 v[35:36], -v[56:57], v[74:75], v[35:36]
	v_fma_f64 v[37:38], v[76:77], v[74:75], v[37:38]
	v_cvt_f64_f32_e32 v[56:57], v58
	v_cvt_f64_f32_e32 v[58:59], v59
	v_fma_f64 v[35:36], v[56:57], v[68:69], v[35:36]
	v_fma_f64 v[37:38], v[58:59], v[68:69], v[37:38]
	v_fma_f64 v[35:36], -v[58:59], v[70:71], v[35:36]
	v_fma_f64 v[37:38], v[56:57], v[70:71], v[37:38]
	v_cvt_f64_f32_e32 v[56:57], v52
	v_cvt_f64_f32_e32 v[52:53], v53
	v_fma_f64 v[35:36], v[56:57], v[64:65], v[35:36]
	v_fma_f64 v[37:38], v[52:53], v[64:65], v[37:38]
	v_fma_f64 v[35:36], -v[52:53], v[66:67], v[35:36]
	v_cvt_f64_f32_e32 v[52:53], v54
	v_fma_f64 v[37:38], v[56:57], v[66:67], v[37:38]
	v_cvt_f64_f32_e32 v[54:55], v55
	v_fma_f64 v[35:36], v[52:53], v[60:61], v[35:36]
	v_fma_f64 v[76:77], -v[54:55], v[62:63], v[35:36]
	v_fma_f64 v[35:36], v[54:55], v[60:61], v[37:38]
	v_cvt_f64_f32_e32 v[37:38], v49
	v_fma_f64 v[78:79], v[52:53], v[62:63], v[35:36]
	v_cvt_f64_f32_e32 v[35:36], v48
	v_fma_f64 v[41:42], v[35:36], v[72:73], v[41:42]
	v_fma_f64 v[41:42], -v[37:38], v[74:75], v[41:42]
	v_fma_f64 v[37:38], v[37:38], v[72:73], v[39:40]
	v_cvt_f64_f32_e32 v[39:40], v51
	v_fma_f64 v[35:36], v[35:36], v[74:75], v[37:38]
	v_cvt_f64_f32_e32 v[37:38], v50
	v_fma_f64 v[41:42], v[37:38], v[68:69], v[41:42]
	v_fma_f64 v[35:36], v[39:40], v[68:69], v[35:36]
	v_fma_f64 v[41:42], -v[39:40], v[70:71], v[41:42]
	v_cvt_f64_f32_e32 v[39:40], v45
	v_fma_f64 v[35:36], v[37:38], v[70:71], v[35:36]
	v_cvt_f64_f32_e32 v[37:38], v44
	v_fma_f64 v[41:42], v[37:38], v[64:65], v[41:42]
	v_fma_f64 v[35:36], v[39:40], v[64:65], v[35:36]
	v_fma_f64 v[41:42], -v[39:40], v[66:67], v[41:42]
	v_cvt_f64_f32_e32 v[39:40], v47
	v_fma_f64 v[35:36], v[37:38], v[66:67], v[35:36]
	v_cvt_f64_f32_e32 v[37:38], v46
	v_fma_f64 v[41:42], v[37:38], v[60:61], v[41:42]
	v_fma_f64 v[35:36], v[39:40], v[60:61], v[35:36]
	v_fma_f64 v[80:81], -v[39:40], v[62:63], v[41:42]
	v_fma_f64 v[82:83], v[37:38], v[62:63], v[35:36]
	global_load_dwordx4 v[35:38], v[23:24], off offset:112
	global_load_dwordx4 v[39:42], v[23:24], off offset:96
	;; [unrolled: 1-line block ×4, first 2 shown]
	s_waitcnt vmcnt(0)
	v_cvt_f64_f32_e32 v[52:53], v48
	v_cvt_f64_f32_e32 v[48:49], v49
	v_fma_f64 v[31:32], v[52:53], v[72:73], v[31:32]
	v_fma_f64 v[27:28], v[48:49], v[72:73], v[27:28]
	v_fma_f64 v[31:32], -v[48:49], v[74:75], v[31:32]
	v_fma_f64 v[27:28], v[52:53], v[74:75], v[27:28]
	v_cvt_f64_f32_e32 v[48:49], v50
	v_cvt_f64_f32_e32 v[50:51], v51
	v_fma_f64 v[31:32], v[48:49], v[68:69], v[31:32]
	v_fma_f64 v[27:28], v[50:51], v[68:69], v[27:28]
	v_fma_f64 v[31:32], -v[50:51], v[70:71], v[31:32]
	v_fma_f64 v[27:28], v[48:49], v[70:71], v[27:28]
	;; [unrolled: 6-line block ×3, first 2 shown]
	v_cvt_f64_f32_e32 v[44:45], v46
	v_cvt_f64_f32_e32 v[46:47], v47
	v_fma_f64 v[31:32], v[44:45], v[60:61], v[31:32]
	v_fma_f64 v[27:28], v[46:47], v[60:61], v[27:28]
	v_fma_f64 v[84:85], -v[46:47], v[62:63], v[31:32]
	v_cvt_f64_f32_e32 v[31:32], v40
	v_fma_f64 v[86:87], v[44:45], v[62:63], v[27:28]
	v_cvt_f64_f32_e32 v[27:28], v39
	v_fma_f64 v[29:30], v[31:32], v[72:73], v[29:30]
	v_fma_f64 v[33:34], v[27:28], v[72:73], v[33:34]
	v_fma_f64 v[27:28], v[27:28], v[74:75], v[29:30]
	v_cvt_f64_f32_e32 v[29:30], v41
	v_fma_f64 v[33:34], -v[31:32], v[74:75], v[33:34]
	v_cvt_f64_f32_e32 v[31:32], v42
	v_fma_f64 v[27:28], v[31:32], v[68:69], v[27:28]
	v_fma_f64 v[33:34], v[29:30], v[68:69], v[33:34]
	v_fma_f64 v[27:28], v[29:30], v[70:71], v[27:28]
	v_cvt_f64_f32_e32 v[29:30], v35
	v_fma_f64 v[33:34], -v[31:32], v[70:71], v[33:34]
	;; [unrolled: 6-line block ×3, first 2 shown]
	v_cvt_f64_f32_e32 v[31:32], v38
	v_fma_f64 v[27:28], v[31:32], v[60:61], v[27:28]
	v_fma_f64 v[33:34], v[29:30], v[60:61], v[33:34]
	;; [unrolled: 1-line block ×3, first 2 shown]
	global_load_dwordx2 v[27:28], v[25:26], off offset:-256
	v_fma_f64 v[64:65], -v[31:32], v[62:63], v[33:34]
	v_add_co_u32_e32 v62, vcc, s16, v23
	v_addc_co_u32_e32 v63, vcc, 0, v24, vcc
	s_waitcnt vmcnt(0)
	v_sub_co_u32_e32 v44, vcc, v27, v9
	v_subb_co_u32_e32 v45, vcc, v28, v10, vcc
	v_add_co_u32_e32 v68, vcc, s17, v23
	v_lshlrev_b64 v[44:45], 6, v[44:45]
	v_addc_co_u32_e32 v69, vcc, 0, v24, vcc
	v_add_co_u32_e32 v70, vcc, s6, v44
	global_load_dwordx4 v[27:30], v[68:69], off offset:-4096
	global_load_dwordx4 v[31:34], v[62:63], off offset:48
	global_load_dwordx4 v[35:38], v[62:63], off offset:32
	;; [unrolled: 1-line block ×3, first 2 shown]
	v_addc_co_u32_e32 v71, vcc, v43, v45, vcc
	global_load_dwordx4 v[44:47], v[70:71], off offset:48
	global_load_dwordx4 v[48:51], v[70:71], off offset:32
	;; [unrolled: 1-line block ×3, first 2 shown]
	global_load_dwordx4 v[56:59], v[70:71], off
	s_waitcnt vmcnt(7)
	v_cvt_f64_f32_e32 v[66:67], v27
	v_cvt_f64_f32_e32 v[27:28], v28
	s_waitcnt vmcnt(0)
	v_fma_f64 v[70:71], v[66:67], v[56:57], v[76:77]
	v_fma_f64 v[70:71], -v[27:28], v[58:59], v[70:71]
	v_fma_f64 v[27:28], v[27:28], v[56:57], v[78:79]
	v_fma_f64 v[27:28], v[66:67], v[58:59], v[27:28]
	v_cvt_f64_f32_e32 v[66:67], v29
	v_cvt_f64_f32_e32 v[29:30], v30
	v_fma_f64 v[70:71], v[66:67], v[52:53], v[70:71]
	v_fma_f64 v[27:28], v[29:30], v[52:53], v[27:28]
	v_fma_f64 v[70:71], -v[29:30], v[54:55], v[70:71]
	v_cvt_f64_f32_e32 v[29:30], v39
	v_cvt_f64_f32_e32 v[39:40], v40
	v_fma_f64 v[27:28], v[66:67], v[54:55], v[27:28]
	v_fma_f64 v[66:67], v[29:30], v[48:49], v[70:71]
	v_fma_f64 v[27:28], v[39:40], v[48:49], v[27:28]
	v_fma_f64 v[66:67], -v[39:40], v[50:51], v[66:67]
	v_cvt_f64_f32_e32 v[39:40], v42
	v_fma_f64 v[27:28], v[29:30], v[50:51], v[27:28]
	v_cvt_f64_f32_e32 v[29:30], v41
	v_fma_f64 v[41:42], v[29:30], v[44:45], v[66:67]
	v_fma_f64 v[27:28], v[39:40], v[44:45], v[27:28]
	v_fma_f64 v[66:67], -v[39:40], v[46:47], v[41:42]
	v_fma_f64 v[70:71], v[29:30], v[46:47], v[27:28]
	v_cvt_f64_f32_e32 v[27:28], v35
	v_cvt_f64_f32_e32 v[29:30], v36
	v_fma_f64 v[35:36], v[27:28], v[56:57], v[80:81]
	v_fma_f64 v[35:36], -v[29:30], v[58:59], v[35:36]
	v_fma_f64 v[29:30], v[29:30], v[56:57], v[82:83]
	v_fma_f64 v[27:28], v[27:28], v[58:59], v[29:30]
	v_cvt_f64_f32_e32 v[29:30], v37
	v_cvt_f64_f32_e32 v[37:38], v38
	v_fma_f64 v[35:36], v[29:30], v[52:53], v[35:36]
	v_fma_f64 v[27:28], v[37:38], v[52:53], v[27:28]
	v_fma_f64 v[35:36], -v[37:38], v[54:55], v[35:36]
	v_fma_f64 v[27:28], v[29:30], v[54:55], v[27:28]
	v_cvt_f64_f32_e32 v[29:30], v31
	v_cvt_f64_f32_e32 v[31:32], v32
	v_fma_f64 v[35:36], v[29:30], v[48:49], v[35:36]
	v_fma_f64 v[27:28], v[31:32], v[48:49], v[27:28]
	v_fma_f64 v[35:36], -v[31:32], v[50:51], v[35:36]
	v_cvt_f64_f32_e32 v[31:32], v34
	v_fma_f64 v[27:28], v[29:30], v[50:51], v[27:28]
	v_cvt_f64_f32_e32 v[29:30], v33
	v_fma_f64 v[33:34], v[29:30], v[44:45], v[35:36]
	v_fma_f64 v[27:28], v[31:32], v[44:45], v[27:28]
	v_fma_f64 v[72:73], -v[31:32], v[46:47], v[33:34]
	v_fma_f64 v[74:75], v[29:30], v[46:47], v[27:28]
	global_load_dwordx4 v[27:30], v[62:63], off offset:112
	global_load_dwordx4 v[31:34], v[62:63], off offset:96
	;; [unrolled: 1-line block ×4, first 2 shown]
	s_waitcnt vmcnt(0)
	v_cvt_f64_f32_e32 v[62:63], v39
	v_cvt_f64_f32_e32 v[39:40], v40
	v_fma_f64 v[76:77], v[62:63], v[56:57], v[84:85]
	v_fma_f64 v[76:77], -v[39:40], v[58:59], v[76:77]
	v_fma_f64 v[39:40], v[39:40], v[56:57], v[86:87]
	v_fma_f64 v[39:40], v[62:63], v[58:59], v[39:40]
	v_cvt_f64_f32_e32 v[62:63], v41
	v_cvt_f64_f32_e32 v[41:42], v42
	v_fma_f64 v[76:77], v[62:63], v[52:53], v[76:77]
	v_fma_f64 v[39:40], v[41:42], v[52:53], v[39:40]
	v_fma_f64 v[76:77], -v[41:42], v[54:55], v[76:77]
	v_cvt_f64_f32_e32 v[41:42], v35
	v_cvt_f64_f32_e32 v[35:36], v36
	v_fma_f64 v[39:40], v[62:63], v[54:55], v[39:40]
	v_fma_f64 v[62:63], v[41:42], v[48:49], v[76:77]
	v_fma_f64 v[62:63], -v[35:36], v[50:51], v[62:63]
	v_fma_f64 v[35:36], v[35:36], v[48:49], v[39:40]
	v_cvt_f64_f32_e32 v[39:40], v37
	v_cvt_f64_f32_e32 v[37:38], v38
	v_fma_f64 v[35:36], v[41:42], v[50:51], v[35:36]
	v_fma_f64 v[41:42], v[39:40], v[44:45], v[62:63]
	;; [unrolled: 1-line block ×3, first 2 shown]
	v_fma_f64 v[76:77], -v[37:38], v[46:47], v[41:42]
	v_fma_f64 v[78:79], v[39:40], v[46:47], v[35:36]
	v_cvt_f64_f32_e32 v[35:36], v31
	v_cvt_f64_f32_e32 v[31:32], v32
	v_fma_f64 v[37:38], v[35:36], v[56:57], v[64:65]
	v_fma_f64 v[37:38], -v[31:32], v[58:59], v[37:38]
	v_fma_f64 v[31:32], v[31:32], v[56:57], v[60:61]
	v_fma_f64 v[31:32], v[35:36], v[58:59], v[31:32]
	v_cvt_f64_f32_e32 v[35:36], v33
	v_cvt_f64_f32_e32 v[33:34], v34
	v_fma_f64 v[37:38], v[35:36], v[52:53], v[37:38]
	v_fma_f64 v[31:32], v[33:34], v[52:53], v[31:32]
	v_fma_f64 v[37:38], -v[33:34], v[54:55], v[37:38]
	v_cvt_f64_f32_e32 v[33:34], v27
	v_cvt_f64_f32_e32 v[27:28], v28
	v_fma_f64 v[31:32], v[35:36], v[54:55], v[31:32]
	v_fma_f64 v[35:36], v[33:34], v[48:49], v[37:38]
	v_fma_f64 v[35:36], -v[27:28], v[50:51], v[35:36]
	v_fma_f64 v[27:28], v[27:28], v[48:49], v[31:32]
	v_cvt_f64_f32_e32 v[31:32], v29
	v_cvt_f64_f32_e32 v[29:30], v30
	v_fma_f64 v[27:28], v[33:34], v[50:51], v[27:28]
	v_fma_f64 v[33:34], v[31:32], v[44:45], v[35:36]
	;; [unrolled: 1-line block ×3, first 2 shown]
	v_fma_f64 v[80:81], -v[29:30], v[46:47], v[33:34]
	v_fma_f64 v[82:83], v[31:32], v[46:47], v[27:28]
	global_load_dwordx2 v[27:28], v[25:26], off
	s_waitcnt vmcnt(0)
	v_sub_co_u32_e32 v44, vcc, v27, v9
	v_subb_co_u32_e32 v45, vcc, v28, v10, vcc
	v_lshlrev_b64 v[44:45], 6, v[44:45]
	global_load_dwordx4 v[27:30], v[68:69], off
	global_load_dwordx4 v[31:34], v[68:69], off offset:48
	global_load_dwordx4 v[39:42], v[68:69], off offset:32
	global_load_dwordx4 v[35:38], v[68:69], off offset:16
	v_add_co_u32_e32 v62, vcc, s6, v44
	v_addc_co_u32_e32 v63, vcc, v43, v45, vcc
	global_load_dwordx4 v[44:47], v[62:63], off offset:48
	global_load_dwordx4 v[48:51], v[62:63], off offset:32
	;; [unrolled: 1-line block ×3, first 2 shown]
	global_load_dwordx4 v[56:59], v[62:63], off
	s_waitcnt vmcnt(7)
	v_cvt_f64_f32_e32 v[60:61], v27
	v_cvt_f64_f32_e32 v[27:28], v28
	s_waitcnt vmcnt(0)
	v_fma_f64 v[62:63], v[60:61], v[56:57], v[66:67]
	v_fma_f64 v[62:63], -v[27:28], v[58:59], v[62:63]
	v_fma_f64 v[27:28], v[27:28], v[56:57], v[70:71]
	v_fma_f64 v[27:28], v[60:61], v[58:59], v[27:28]
	v_cvt_f64_f32_e32 v[60:61], v29
	v_cvt_f64_f32_e32 v[29:30], v30
	v_fma_f64 v[62:63], v[60:61], v[52:53], v[62:63]
	v_fma_f64 v[27:28], v[29:30], v[52:53], v[27:28]
	v_fma_f64 v[62:63], -v[29:30], v[54:55], v[62:63]
	v_cvt_f64_f32_e32 v[29:30], v35
	v_cvt_f64_f32_e32 v[35:36], v36
	v_fma_f64 v[27:28], v[60:61], v[54:55], v[27:28]
	v_fma_f64 v[60:61], v[29:30], v[48:49], v[62:63]
	;; [unrolled: 1-line block ×3, first 2 shown]
	v_fma_f64 v[60:61], -v[35:36], v[50:51], v[60:61]
	v_fma_f64 v[27:28], v[29:30], v[50:51], v[27:28]
	v_cvt_f64_f32_e32 v[29:30], v37
	v_cvt_f64_f32_e32 v[37:38], v38
	v_fma_f64 v[35:36], v[29:30], v[44:45], v[60:61]
	v_fma_f64 v[27:28], v[37:38], v[44:45], v[27:28]
	v_fma_f64 v[35:36], -v[37:38], v[46:47], v[35:36]
	v_fma_f64 v[37:38], v[29:30], v[46:47], v[27:28]
	v_cvt_f64_f32_e32 v[27:28], v39
	v_cvt_f64_f32_e32 v[29:30], v40
	v_fma_f64 v[39:40], v[27:28], v[56:57], v[72:73]
	v_fma_f64 v[39:40], -v[29:30], v[58:59], v[39:40]
	v_fma_f64 v[29:30], v[29:30], v[56:57], v[74:75]
	v_fma_f64 v[27:28], v[27:28], v[58:59], v[29:30]
	v_cvt_f64_f32_e32 v[29:30], v41
	v_cvt_f64_f32_e32 v[41:42], v42
	v_fma_f64 v[39:40], v[29:30], v[52:53], v[39:40]
	v_fma_f64 v[27:28], v[41:42], v[52:53], v[27:28]
	v_fma_f64 v[39:40], -v[41:42], v[54:55], v[39:40]
	v_fma_f64 v[27:28], v[29:30], v[54:55], v[27:28]
	v_cvt_f64_f32_e32 v[29:30], v31
	v_cvt_f64_f32_e32 v[31:32], v32
	v_fma_f64 v[39:40], v[29:30], v[48:49], v[39:40]
	v_fma_f64 v[27:28], v[31:32], v[48:49], v[27:28]
	v_fma_f64 v[39:40], -v[31:32], v[50:51], v[39:40]
	v_cvt_f64_f32_e32 v[31:32], v34
	v_fma_f64 v[27:28], v[29:30], v[50:51], v[27:28]
	v_cvt_f64_f32_e32 v[29:30], v33
	v_fma_f64 v[33:34], v[29:30], v[44:45], v[39:40]
	v_fma_f64 v[27:28], v[31:32], v[44:45], v[27:28]
	v_fma_f64 v[39:40], -v[31:32], v[46:47], v[33:34]
	v_fma_f64 v[41:42], v[29:30], v[46:47], v[27:28]
	global_load_dwordx4 v[60:63], v[68:69], off offset:112
	global_load_dwordx4 v[64:67], v[68:69], off offset:96
	;; [unrolled: 1-line block ×4, first 2 shown]
	s_waitcnt vmcnt(0)
	v_cvt_f64_f32_e32 v[68:69], v31
	v_cvt_f64_f32_e32 v[31:32], v32
	v_fma_f64 v[70:71], v[68:69], v[56:57], v[76:77]
	v_fma_f64 v[70:71], -v[31:32], v[58:59], v[70:71]
	v_fma_f64 v[31:32], v[31:32], v[56:57], v[78:79]
	v_fma_f64 v[31:32], v[68:69], v[58:59], v[31:32]
	v_cvt_f64_f32_e32 v[68:69], v33
	v_cvt_f64_f32_e32 v[33:34], v34
	v_fma_f64 v[70:71], v[68:69], v[52:53], v[70:71]
	v_fma_f64 v[31:32], v[33:34], v[52:53], v[31:32]
	v_fma_f64 v[70:71], -v[33:34], v[54:55], v[70:71]
	v_cvt_f64_f32_e32 v[33:34], v27
	v_cvt_f64_f32_e32 v[27:28], v28
	v_fma_f64 v[31:32], v[68:69], v[54:55], v[31:32]
	v_fma_f64 v[68:69], v[33:34], v[48:49], v[70:71]
	v_fma_f64 v[68:69], -v[27:28], v[50:51], v[68:69]
	v_fma_f64 v[27:28], v[27:28], v[48:49], v[31:32]
	v_fma_f64 v[31:32], v[33:34], v[50:51], v[27:28]
	v_cvt_f64_f32_e32 v[33:34], v29
	v_cvt_f64_f32_e32 v[29:30], v30
	v_fma_f64 v[27:28], v[33:34], v[44:45], v[68:69]
	v_fma_f64 v[27:28], -v[29:30], v[46:47], v[27:28]
	v_fma_f64 v[29:30], v[29:30], v[44:45], v[31:32]
	v_fma_f64 v[31:32], v[33:34], v[46:47], v[29:30]
	v_cvt_f64_f32_e32 v[29:30], v64
	v_cvt_f64_f32_e32 v[33:34], v65
	v_fma_f64 v[64:65], v[29:30], v[56:57], v[80:81]
	v_fma_f64 v[64:65], -v[33:34], v[58:59], v[64:65]
	v_fma_f64 v[33:34], v[33:34], v[56:57], v[82:83]
	v_cvt_f64_f32_e32 v[56:57], v67
	v_fma_f64 v[29:30], v[29:30], v[58:59], v[33:34]
	v_cvt_f64_f32_e32 v[33:34], v66
	v_fma_f64 v[58:59], v[33:34], v[52:53], v[64:65]
	v_fma_f64 v[29:30], v[56:57], v[52:53], v[29:30]
	v_cvt_f64_f32_e32 v[52:53], v61
	v_fma_f64 v[58:59], -v[56:57], v[54:55], v[58:59]
	v_fma_f64 v[29:30], v[33:34], v[54:55], v[29:30]
	v_cvt_f64_f32_e32 v[33:34], v60
	v_fma_f64 v[54:55], v[33:34], v[48:49], v[58:59]
	v_fma_f64 v[29:30], v[52:53], v[48:49], v[29:30]
	v_cvt_f64_f32_e32 v[48:49], v62
	v_fma_f64 v[54:55], -v[52:53], v[50:51], v[54:55]
	v_fma_f64 v[33:34], v[33:34], v[50:51], v[29:30]
	v_cvt_f64_f32_e32 v[50:51], v63
	v_fma_f64 v[29:30], v[48:49], v[44:45], v[54:55]
	v_fma_f64 v[33:34], v[50:51], v[44:45], v[33:34]
	global_load_dwordx2 v[44:45], v[25:26], off offset:256
	v_fma_f64 v[29:30], -v[50:51], v[46:47], v[29:30]
	v_fma_f64 v[33:34], v[48:49], v[46:47], v[33:34]
	s_waitcnt vmcnt(0)
	v_sub_co_u32_e32 v60, vcc, v44, v9
	v_subb_co_u32_e32 v61, vcc, v45, v10, vcc
	v_add_co_u32_e32 v76, vcc, s18, v23
	v_lshlrev_b64 v[60:61], 6, v[60:61]
	v_addc_co_u32_e32 v77, vcc, 0, v24, vcc
	v_add_co_u32_e32 v80, vcc, s6, v60
	global_load_dwordx4 v[44:47], v[76:77], off
	global_load_dwordx4 v[48:51], v[76:77], off offset:48
	global_load_dwordx4 v[52:55], v[76:77], off offset:32
	;; [unrolled: 1-line block ×3, first 2 shown]
	v_addc_co_u32_e32 v81, vcc, v43, v61, vcc
	global_load_dwordx4 v[60:63], v[80:81], off offset:48
	global_load_dwordx4 v[64:67], v[80:81], off offset:32
	;; [unrolled: 1-line block ×3, first 2 shown]
	global_load_dwordx4 v[72:75], v[80:81], off
	v_add_co_u32_e32 v19, vcc, 0x80, v19
	v_addc_co_u32_e32 v20, vcc, 0, v20, vcc
	v_add_co_u32_e32 v25, vcc, 0x400, v25
	v_addc_co_u32_e32 v26, vcc, 0, v26, vcc
	v_cmp_ge_i64_e64 s[2:3], v[19:20], v[13:14]
	v_add_co_u32_e32 v23, vcc, 0x4000, v23
	v_addc_co_u32_e32 v24, vcc, 0, v24, vcc
	s_or_b64 s[14:15], s[2:3], s[14:15]
	s_waitcnt vmcnt(7)
	v_cvt_f64_f32_e32 v[78:79], v44
	v_cvt_f64_f32_e32 v[44:45], v45
	s_waitcnt vmcnt(0)
	v_fma_f64 v[37:38], v[44:45], v[72:73], v[37:38]
	v_fma_f64 v[35:36], v[78:79], v[72:73], v[35:36]
	v_fma_f64 v[37:38], v[78:79], v[74:75], v[37:38]
	v_fma_f64 v[35:36], -v[44:45], v[74:75], v[35:36]
	v_cvt_f64_f32_e32 v[44:45], v46
	v_cvt_f64_f32_e32 v[46:47], v47
	v_fma_f64 v[37:38], v[46:47], v[68:69], v[37:38]
	v_fma_f64 v[35:36], v[44:45], v[68:69], v[35:36]
	v_fma_f64 v[37:38], v[44:45], v[70:71], v[37:38]
	v_fma_f64 v[35:36], -v[46:47], v[70:71], v[35:36]
	v_cvt_f64_f32_e32 v[46:47], v57
	v_cvt_f64_f32_e32 v[44:45], v56
	;; [unrolled: 6-line block ×3, first 2 shown]
	v_fma_f64 v[37:38], v[46:47], v[60:61], v[37:38]
	v_fma_f64 v[35:36], v[44:45], v[60:61], v[35:36]
	;; [unrolled: 1-line block ×3, first 2 shown]
	v_cvt_f64_f32_e32 v[44:45], v52
	v_fma_f64 v[35:36], -v[46:47], v[62:63], v[35:36]
	v_cvt_f64_f32_e32 v[46:47], v53
	v_fma_f64 v[39:40], v[44:45], v[72:73], v[39:40]
	v_fma_f64 v[41:42], v[46:47], v[72:73], v[41:42]
	v_fma_f64 v[39:40], -v[46:47], v[74:75], v[39:40]
	v_cvt_f64_f32_e32 v[46:47], v55
	v_fma_f64 v[41:42], v[44:45], v[74:75], v[41:42]
	v_cvt_f64_f32_e32 v[44:45], v54
	v_fma_f64 v[39:40], v[44:45], v[68:69], v[39:40]
	v_fma_f64 v[41:42], v[46:47], v[68:69], v[41:42]
	v_fma_f64 v[39:40], -v[46:47], v[70:71], v[39:40]
	v_cvt_f64_f32_e32 v[46:47], v49
	v_fma_f64 v[41:42], v[44:45], v[70:71], v[41:42]
	v_cvt_f64_f32_e32 v[44:45], v48
	v_cvt_f64_f32_e32 v[48:49], v51
	v_fma_f64 v[39:40], v[44:45], v[64:65], v[39:40]
	v_fma_f64 v[41:42], v[46:47], v[64:65], v[41:42]
	v_fma_f64 v[39:40], -v[46:47], v[66:67], v[39:40]
	v_cvt_f64_f32_e32 v[46:47], v50
	v_fma_f64 v[44:45], v[44:45], v[66:67], v[41:42]
	v_fma_f64 v[39:40], v[46:47], v[60:61], v[39:40]
	v_fma_f64 v[41:42], -v[48:49], v[62:63], v[39:40]
	v_fma_f64 v[39:40], v[48:49], v[60:61], v[44:45]
	v_fma_f64 v[39:40], v[46:47], v[62:63], v[39:40]
	global_load_dwordx4 v[44:47], v[76:77], off offset:112
	global_load_dwordx4 v[48:51], v[76:77], off offset:96
	;; [unrolled: 1-line block ×4, first 2 shown]
	s_waitcnt vmcnt(0)
	v_cvt_f64_f32_e32 v[76:77], v56
	v_cvt_f64_f32_e32 v[56:57], v57
	v_fma_f64 v[27:28], v[76:77], v[72:73], v[27:28]
	v_fma_f64 v[31:32], v[56:57], v[72:73], v[31:32]
	v_fma_f64 v[27:28], -v[56:57], v[74:75], v[27:28]
	v_fma_f64 v[31:32], v[76:77], v[74:75], v[31:32]
	v_cvt_f64_f32_e32 v[56:57], v58
	v_cvt_f64_f32_e32 v[58:59], v59
	v_fma_f64 v[27:28], v[56:57], v[68:69], v[27:28]
	v_fma_f64 v[31:32], v[58:59], v[68:69], v[31:32]
	v_fma_f64 v[27:28], -v[58:59], v[70:71], v[27:28]
	v_fma_f64 v[31:32], v[56:57], v[70:71], v[31:32]
	;; [unrolled: 6-line block ×3, first 2 shown]
	v_cvt_f64_f32_e32 v[56:57], v54
	v_cvt_f64_f32_e32 v[54:55], v55
	v_fma_f64 v[27:28], v[56:57], v[60:61], v[27:28]
	v_fma_f64 v[31:32], -v[54:55], v[62:63], v[27:28]
	v_fma_f64 v[27:28], v[54:55], v[60:61], v[52:53]
	v_cvt_f64_f32_e32 v[52:53], v48
	v_cvt_f64_f32_e32 v[48:49], v49
	v_fma_f64 v[29:30], v[52:53], v[72:73], v[29:30]
	v_fma_f64 v[33:34], v[48:49], v[72:73], v[33:34]
	;; [unrolled: 1-line block ×3, first 2 shown]
	v_fma_f64 v[29:30], -v[48:49], v[74:75], v[29:30]
	v_fma_f64 v[33:34], v[52:53], v[74:75], v[33:34]
	v_cvt_f64_f32_e32 v[48:49], v50
	v_cvt_f64_f32_e32 v[50:51], v51
	v_fma_f64 v[29:30], v[48:49], v[68:69], v[29:30]
	v_fma_f64 v[33:34], v[50:51], v[68:69], v[33:34]
	v_fma_f64 v[29:30], -v[50:51], v[70:71], v[29:30]
	v_fma_f64 v[33:34], v[48:49], v[70:71], v[33:34]
	v_cvt_f64_f32_e32 v[48:49], v44
	v_cvt_f64_f32_e32 v[44:45], v45
	v_fma_f64 v[29:30], v[48:49], v[64:65], v[29:30]
	v_fma_f64 v[33:34], v[44:45], v[64:65], v[33:34]
	v_fma_f64 v[29:30], -v[44:45], v[66:67], v[29:30]
	v_fma_f64 v[44:45], v[48:49], v[66:67], v[33:34]
	v_cvt_f64_f32_e32 v[48:49], v46
	v_cvt_f64_f32_e32 v[46:47], v47
	v_fma_f64 v[29:30], v[48:49], v[60:61], v[29:30]
	v_fma_f64 v[33:34], -v[46:47], v[62:63], v[29:30]
	v_fma_f64 v[29:30], v[46:47], v[60:61], v[44:45]
	v_fma_f64 v[29:30], v[48:49], v[62:63], v[29:30]
	s_andn2_b64 exec, exec, s[14:15]
	s_cbranch_execnz .LBB178_21
; %bb.22:
	s_or_b64 exec, exec, s[14:15]
.LBB178_23:
	s_or_b64 exec, exec, s[10:11]
.LBB178_24:
	s_or_b64 exec, exec, s[8:9]
	s_cbranch_execz .LBB178_26
	s_branch .LBB178_37
.LBB178_25:
                                        ; implicit-def: $vgpr37_vgpr38
                                        ; implicit-def: $vgpr35_vgpr36
                                        ; implicit-def: $vgpr39_vgpr40
                                        ; implicit-def: $vgpr41_vgpr42
                                        ; implicit-def: $vgpr27_vgpr28
                                        ; implicit-def: $vgpr31_vgpr32
                                        ; implicit-def: $vgpr29_vgpr30
                                        ; implicit-def: $vgpr33_vgpr34
.LBB178_26:
	v_mov_b32_e32 v37, 0
	v_mov_b32_e32 v35, 0
	;; [unrolled: 1-line block ×16, first 2 shown]
	s_and_saveexec_b64 s[2:3], s[0:1]
	s_cbranch_execz .LBB178_36
; %bb.27:
	v_or_b32_e32 v19, 32, v0
	v_sub_co_u32_e32 v19, vcc, v19, v9
	v_subb_co_u32_e32 v20, vcc, 0, v10, vcc
	v_add_co_u32_e32 v19, vcc, v19, v17
	v_addc_co_u32_e32 v20, vcc, v20, v18, vcc
	v_cmp_gt_i64_e32 vcc, v[19:20], v[13:14]
	v_not_b32_e32 v17, v17
	v_cndmask_b32_e32 v20, v14, v20, vcc
	v_cndmask_b32_e32 v19, v13, v19, vcc
	v_sub_co_u32_e32 v23, vcc, v9, v0
	v_subbrev_co_u32_e32 v24, vcc, 0, v10, vcc
	v_not_b32_e32 v18, v18
	v_add_co_u32_e32 v17, vcc, v23, v17
	v_addc_co_u32_e32 v18, vcc, v24, v18, vcc
	v_add_co_u32_e32 v17, vcc, v17, v19
	v_addc_co_u32_e32 v18, vcc, v18, v20, vcc
	v_and_b32_e32 v19, 0x60, v17
	v_mov_b32_e32 v20, 0
	s_mov_b64 s[0:1], 0x60
	v_cmp_ne_u64_e32 vcc, s[0:1], v[19:20]
	v_mov_b32_e32 v33, 0
	v_mov_b32_e32 v29, 0
	;; [unrolled: 1-line block ×16, first 2 shown]
	s_and_saveexec_b64 s[0:1], vcc
	s_cbranch_execz .LBB178_31
; %bb.28:
	v_lshrrev_b32_e32 v19, 5, v17
	v_add_u32_e32 v19, 1, v19
	v_and_b32_e32 v23, 3, v19
	v_lshlrev_b64 v[19:20], 3, v[11:12]
	v_mov_b32_e32 v24, s13
	v_add_co_u32_e32 v19, vcc, s12, v19
	v_addc_co_u32_e32 v20, vcc, v24, v20, vcc
	v_sub_co_u32_e32 v23, vcc, 0, v23
	v_subb_co_u32_e64 v24, s[10:11], 0, 0, vcc
	v_mov_b32_e32 v37, 0
	v_mov_b32_e32 v35, 0
	;; [unrolled: 1-line block ×8, first 2 shown]
	s_mov_b64 s[8:9], 0
	v_mov_b32_e32 v38, 0
	v_mov_b32_e32 v36, 0
	;; [unrolled: 1-line block ×8, first 2 shown]
	s_movk_i32 s10, 0x1000
.LBB178_29:                             ; =>This Inner Loop Header: Depth=1
	global_load_dwordx2 v[25:26], v[19:20], off
	global_load_dwordx4 v[43:46], v[15:16], off offset:48
	global_load_dwordx4 v[47:50], v[15:16], off offset:32
	;; [unrolled: 1-line block ×3, first 2 shown]
	global_load_dwordx4 v[55:58], v[15:16], off
	v_mov_b32_e32 v59, s7
	s_waitcnt vmcnt(4)
	v_sub_co_u32_e32 v25, vcc, v25, v9
	v_subb_co_u32_e32 v26, vcc, v26, v10, vcc
	v_lshlrev_b64 v[25:26], 6, v[25:26]
	s_waitcnt vmcnt(0)
	v_cvt_f64_f32_e32 v[75:76], v55
	v_add_co_u32_e32 v25, vcc, s6, v25
	v_addc_co_u32_e32 v26, vcc, v59, v26, vcc
	global_load_dwordx4 v[59:62], v[25:26], off offset:48
	global_load_dwordx4 v[63:66], v[25:26], off offset:32
	;; [unrolled: 1-line block ×3, first 2 shown]
	global_load_dwordx4 v[71:74], v[25:26], off
	v_cvt_f64_f32_e32 v[55:56], v56
	s_waitcnt vmcnt(0)
	v_fma_f64 v[25:26], v[75:76], v[71:72], v[35:36]
	v_fma_f64 v[35:36], v[55:56], v[71:72], v[37:38]
	v_cvt_f64_f32_e32 v[37:38], v57
	v_fma_f64 v[41:42], v[37:38], v[71:72], v[41:42]
	v_fma_f64 v[25:26], -v[55:56], v[73:74], v[25:26]
	v_cvt_f64_f32_e32 v[55:56], v58
	v_fma_f64 v[35:36], v[75:76], v[73:74], v[35:36]
	v_fma_f64 v[39:40], v[55:56], v[71:72], v[39:40]
	v_fma_f64 v[41:42], -v[55:56], v[73:74], v[41:42]
	v_fma_f64 v[37:38], v[37:38], v[73:74], v[39:40]
	v_cvt_f64_f32_e32 v[39:40], v51
	v_cvt_f64_f32_e32 v[51:52], v52
	v_fma_f64 v[31:32], v[39:40], v[71:72], v[31:32]
	v_fma_f64 v[27:28], v[51:52], v[71:72], v[27:28]
	v_fma_f64 v[31:32], -v[51:52], v[73:74], v[31:32]
	v_cvt_f64_f32_e32 v[51:52], v54
	v_fma_f64 v[27:28], v[39:40], v[73:74], v[27:28]
	v_cvt_f64_f32_e32 v[39:40], v53
	v_fma_f64 v[29:30], v[51:52], v[71:72], v[29:30]
	v_fma_f64 v[33:34], v[39:40], v[71:72], v[33:34]
	;; [unrolled: 1-line block ×3, first 2 shown]
	v_cvt_f64_f32_e32 v[39:40], v47
	v_cvt_f64_f32_e32 v[47:48], v48
	v_fma_f64 v[33:34], -v[51:52], v[73:74], v[33:34]
	v_fma_f64 v[25:26], v[39:40], v[67:68], v[25:26]
	v_fma_f64 v[35:36], v[47:48], v[67:68], v[35:36]
	v_fma_f64 v[25:26], -v[47:48], v[69:70], v[25:26]
	v_fma_f64 v[47:48], v[39:40], v[69:70], v[35:36]
	v_cvt_f64_f32_e32 v[39:40], v50
	v_cvt_f64_f32_e32 v[35:36], v49
	v_fma_f64 v[37:38], v[39:40], v[67:68], v[37:38]
	v_fma_f64 v[41:42], v[35:36], v[67:68], v[41:42]
	;; [unrolled: 1-line block ×3, first 2 shown]
	v_cvt_f64_f32_e32 v[35:36], v43
	v_cvt_f64_f32_e32 v[37:38], v44
	v_fma_f64 v[49:50], -v[39:40], v[69:70], v[41:42]
	v_fma_f64 v[31:32], v[35:36], v[67:68], v[31:32]
	v_fma_f64 v[27:28], v[37:38], v[67:68], v[27:28]
	v_fma_f64 v[43:44], -v[37:38], v[69:70], v[31:32]
	v_fma_f64 v[53:54], v[35:36], v[69:70], v[27:28]
	v_cvt_f64_f32_e32 v[27:28], v45
	v_cvt_f64_f32_e32 v[31:32], v46
	v_fma_f64 v[33:34], v[27:28], v[67:68], v[33:34]
	v_fma_f64 v[29:30], v[31:32], v[67:68], v[29:30]
	v_fma_f64 v[45:46], -v[31:32], v[69:70], v[33:34]
	v_fma_f64 v[55:56], v[27:28], v[69:70], v[29:30]
	global_load_dwordx4 v[27:30], v[15:16], off offset:112
	global_load_dwordx4 v[31:34], v[15:16], off offset:96
	;; [unrolled: 1-line block ×4, first 2 shown]
	v_add_co_u32_e32 v15, vcc, s10, v15
	v_addc_co_u32_e32 v16, vcc, 0, v16, vcc
	v_add_co_u32_e32 v11, vcc, 32, v11
	v_addc_co_u32_e32 v12, vcc, 0, v12, vcc
	;; [unrolled: 2-line block ×4, first 2 shown]
	v_cmp_eq_u64_e32 vcc, 0, v[23:24]
	s_or_b64 s[8:9], vcc, s[8:9]
	s_waitcnt vmcnt(0)
	v_cvt_f64_f32_e32 v[57:58], v39
	v_cvt_f64_f32_e32 v[39:40], v40
	v_fma_f64 v[25:26], v[57:58], v[63:64], v[25:26]
	v_fma_f64 v[25:26], -v[39:40], v[65:66], v[25:26]
	v_fma_f64 v[39:40], v[39:40], v[63:64], v[47:48]
	v_cvt_f64_f32_e32 v[47:48], v41
	v_cvt_f64_f32_e32 v[41:42], v42
	v_fma_f64 v[49:50], v[47:48], v[63:64], v[49:50]
	v_fma_f64 v[39:40], v[57:58], v[65:66], v[39:40]
	v_fma_f64 v[49:50], -v[41:42], v[65:66], v[49:50]
	v_fma_f64 v[41:42], v[41:42], v[63:64], v[51:52]
	v_fma_f64 v[47:48], v[47:48], v[65:66], v[41:42]
	v_cvt_f64_f32_e32 v[41:42], v35
	v_cvt_f64_f32_e32 v[35:36], v36
	v_fma_f64 v[43:44], v[41:42], v[63:64], v[43:44]
	v_fma_f64 v[43:44], -v[35:36], v[65:66], v[43:44]
	v_fma_f64 v[35:36], v[35:36], v[63:64], v[53:54]
	v_fma_f64 v[51:52], v[41:42], v[65:66], v[35:36]
	v_cvt_f64_f32_e32 v[35:36], v37
	v_cvt_f64_f32_e32 v[37:38], v38
	;; [unrolled: 6-line block ×3, first 2 shown]
	v_fma_f64 v[25:26], v[37:38], v[59:60], v[25:26]
	v_fma_f64 v[35:36], -v[31:32], v[61:62], v[25:26]
	v_fma_f64 v[25:26], v[31:32], v[59:60], v[39:40]
	v_cvt_f64_f32_e32 v[31:32], v34
	v_fma_f64 v[37:38], v[37:38], v[61:62], v[25:26]
	v_cvt_f64_f32_e32 v[25:26], v33
	v_fma_f64 v[33:34], v[25:26], v[59:60], v[49:50]
	v_fma_f64 v[41:42], -v[31:32], v[61:62], v[33:34]
	v_fma_f64 v[31:32], v[31:32], v[59:60], v[47:48]
	v_fma_f64 v[39:40], v[25:26], v[61:62], v[31:32]
	v_cvt_f64_f32_e32 v[25:26], v27
	v_cvt_f64_f32_e32 v[27:28], v28
	v_fma_f64 v[31:32], v[25:26], v[59:60], v[43:44]
	v_fma_f64 v[31:32], -v[27:28], v[61:62], v[31:32]
	v_fma_f64 v[27:28], v[27:28], v[59:60], v[51:52]
	v_fma_f64 v[27:28], v[25:26], v[61:62], v[27:28]
	v_cvt_f64_f32_e32 v[25:26], v29
	v_cvt_f64_f32_e32 v[29:30], v30
	v_fma_f64 v[33:34], v[25:26], v[59:60], v[45:46]
	v_fma_f64 v[33:34], -v[29:30], v[61:62], v[33:34]
	v_fma_f64 v[29:30], v[29:30], v[59:60], v[53:54]
	v_fma_f64 v[29:30], v[25:26], v[61:62], v[29:30]
	s_andn2_b64 exec, exec, s[8:9]
	s_cbranch_execnz .LBB178_29
; %bb.30:
	s_or_b64 exec, exec, s[8:9]
.LBB178_31:
	s_or_b64 exec, exec, s[0:1]
	s_mov_b64 s[0:1], 0x5f
	v_cmp_lt_u64_e32 vcc, s[0:1], v[17:18]
	s_and_saveexec_b64 s[8:9], vcc
	s_cbranch_execz .LBB178_35
; %bb.32:
	v_lshlrev_b64 v[17:18], 3, v[11:12]
	v_mov_b32_e32 v19, s13
	v_add_co_u32_e32 v17, vcc, s12, v17
	v_addc_co_u32_e32 v18, vcc, v19, v18, vcc
	v_add_co_u32_e32 v17, vcc, 0x200, v17
	v_addc_co_u32_e32 v18, vcc, 0, v18, vcc
	s_mov_b64 s[10:11], 0
	v_mov_b32_e32 v43, s7
	s_movk_i32 s7, 0x1000
	s_movk_i32 s12, 0x2000
	;; [unrolled: 1-line block ×3, first 2 shown]
.LBB178_33:                             ; =>This Inner Loop Header: Depth=1
	global_load_dwordx2 v[19:20], v[17:18], off offset:-512
	global_load_dwordx4 v[23:26], v[15:16], off offset:48
	global_load_dwordx4 v[44:47], v[15:16], off offset:32
	;; [unrolled: 1-line block ×3, first 2 shown]
	global_load_dwordx4 v[52:55], v[15:16], off
	s_waitcnt vmcnt(4)
	v_sub_co_u32_e32 v19, vcc, v19, v9
	v_subb_co_u32_e32 v20, vcc, v20, v10, vcc
	v_lshlrev_b64 v[19:20], 6, v[19:20]
	s_waitcnt vmcnt(0)
	v_cvt_f64_f32_e32 v[72:73], v52
	v_add_co_u32_e32 v19, vcc, s6, v19
	v_addc_co_u32_e32 v20, vcc, v43, v20, vcc
	global_load_dwordx4 v[56:59], v[19:20], off offset:48
	global_load_dwordx4 v[60:63], v[19:20], off offset:32
	;; [unrolled: 1-line block ×3, first 2 shown]
	global_load_dwordx4 v[68:71], v[19:20], off
	v_cvt_f64_f32_e32 v[52:53], v53
	s_waitcnt vmcnt(0)
	v_fma_f64 v[19:20], v[72:73], v[68:69], v[35:36]
	v_fma_f64 v[35:36], v[52:53], v[68:69], v[37:38]
	v_cvt_f64_f32_e32 v[37:38], v54
	v_fma_f64 v[41:42], v[37:38], v[68:69], v[41:42]
	v_fma_f64 v[19:20], -v[52:53], v[70:71], v[19:20]
	v_cvt_f64_f32_e32 v[52:53], v55
	v_fma_f64 v[35:36], v[72:73], v[70:71], v[35:36]
	v_fma_f64 v[39:40], v[52:53], v[68:69], v[39:40]
	v_fma_f64 v[41:42], -v[52:53], v[70:71], v[41:42]
	v_fma_f64 v[37:38], v[37:38], v[70:71], v[39:40]
	v_cvt_f64_f32_e32 v[39:40], v48
	v_cvt_f64_f32_e32 v[48:49], v49
	v_fma_f64 v[31:32], v[39:40], v[68:69], v[31:32]
	v_fma_f64 v[27:28], v[48:49], v[68:69], v[27:28]
	v_fma_f64 v[31:32], -v[48:49], v[70:71], v[31:32]
	v_cvt_f64_f32_e32 v[48:49], v51
	v_fma_f64 v[27:28], v[39:40], v[70:71], v[27:28]
	v_cvt_f64_f32_e32 v[39:40], v50
	v_fma_f64 v[29:30], v[48:49], v[68:69], v[29:30]
	v_fma_f64 v[33:34], v[39:40], v[68:69], v[33:34]
	;; [unrolled: 1-line block ×3, first 2 shown]
	v_cvt_f64_f32_e32 v[39:40], v44
	v_cvt_f64_f32_e32 v[44:45], v45
	v_fma_f64 v[33:34], -v[48:49], v[70:71], v[33:34]
	v_fma_f64 v[19:20], v[39:40], v[64:65], v[19:20]
	v_fma_f64 v[35:36], v[44:45], v[64:65], v[35:36]
	v_fma_f64 v[19:20], -v[44:45], v[66:67], v[19:20]
	v_fma_f64 v[39:40], v[39:40], v[66:67], v[35:36]
	v_cvt_f64_f32_e32 v[35:36], v46
	v_cvt_f64_f32_e32 v[44:45], v47
	v_fma_f64 v[41:42], v[35:36], v[64:65], v[41:42]
	v_fma_f64 v[37:38], v[44:45], v[64:65], v[37:38]
	v_fma_f64 v[41:42], -v[44:45], v[66:67], v[41:42]
	v_fma_f64 v[44:45], v[35:36], v[66:67], v[37:38]
	v_cvt_f64_f32_e32 v[35:36], v23
	v_cvt_f64_f32_e32 v[23:24], v24
	v_fma_f64 v[31:32], v[35:36], v[64:65], v[31:32]
	v_fma_f64 v[46:47], -v[23:24], v[66:67], v[31:32]
	v_fma_f64 v[23:24], v[23:24], v[64:65], v[27:28]
	v_fma_f64 v[48:49], v[35:36], v[66:67], v[23:24]
	v_cvt_f64_f32_e32 v[23:24], v25
	v_cvt_f64_f32_e32 v[25:26], v26
	v_fma_f64 v[27:28], v[23:24], v[64:65], v[33:34]
	v_fma_f64 v[50:51], -v[25:26], v[66:67], v[27:28]
	v_fma_f64 v[25:26], v[25:26], v[64:65], v[29:30]
	v_fma_f64 v[52:53], v[23:24], v[66:67], v[25:26]
	global_load_dwordx4 v[23:26], v[15:16], off offset:112
	global_load_dwordx4 v[27:30], v[15:16], off offset:96
	global_load_dwordx4 v[31:34], v[15:16], off offset:80
	global_load_dwordx4 v[35:38], v[15:16], off offset:64
	s_waitcnt vmcnt(0)
	v_cvt_f64_f32_e32 v[54:55], v35
	v_cvt_f64_f32_e32 v[35:36], v36
	v_fma_f64 v[19:20], v[54:55], v[60:61], v[19:20]
	v_fma_f64 v[19:20], -v[35:36], v[62:63], v[19:20]
	v_fma_f64 v[35:36], v[35:36], v[60:61], v[39:40]
	v_cvt_f64_f32_e32 v[39:40], v37
	v_cvt_f64_f32_e32 v[37:38], v38
	v_fma_f64 v[41:42], v[39:40], v[60:61], v[41:42]
	v_fma_f64 v[35:36], v[54:55], v[62:63], v[35:36]
	v_fma_f64 v[41:42], -v[37:38], v[62:63], v[41:42]
	v_fma_f64 v[37:38], v[37:38], v[60:61], v[44:45]
	v_fma_f64 v[37:38], v[39:40], v[62:63], v[37:38]
	v_cvt_f64_f32_e32 v[39:40], v31
	v_cvt_f64_f32_e32 v[31:32], v32
	v_fma_f64 v[44:45], v[39:40], v[60:61], v[46:47]
	v_fma_f64 v[44:45], -v[31:32], v[62:63], v[44:45]
	v_fma_f64 v[31:32], v[31:32], v[60:61], v[48:49]
	v_fma_f64 v[31:32], v[39:40], v[62:63], v[31:32]
	v_cvt_f64_f32_e32 v[39:40], v33
	v_cvt_f64_f32_e32 v[33:34], v34
	v_fma_f64 v[46:47], v[39:40], v[60:61], v[50:51]
	v_fma_f64 v[46:47], -v[33:34], v[62:63], v[46:47]
	v_fma_f64 v[33:34], v[33:34], v[60:61], v[52:53]
	v_fma_f64 v[33:34], v[39:40], v[62:63], v[33:34]
	v_cvt_f64_f32_e32 v[39:40], v27
	v_cvt_f64_f32_e32 v[27:28], v28
	v_fma_f64 v[19:20], v[39:40], v[56:57], v[19:20]
	v_fma_f64 v[19:20], -v[27:28], v[58:59], v[19:20]
	v_fma_f64 v[27:28], v[27:28], v[56:57], v[35:36]
	v_fma_f64 v[60:61], v[39:40], v[58:59], v[27:28]
	v_cvt_f64_f32_e32 v[27:28], v29
	v_cvt_f64_f32_e32 v[29:30], v30
	v_fma_f64 v[35:36], v[27:28], v[56:57], v[41:42]
	v_fma_f64 v[62:63], -v[29:30], v[58:59], v[35:36]
	v_fma_f64 v[29:30], v[29:30], v[56:57], v[37:38]
	v_fma_f64 v[64:65], v[27:28], v[58:59], v[29:30]
	v_cvt_f64_f32_e32 v[27:28], v23
	v_cvt_f64_f32_e32 v[23:24], v24
	v_fma_f64 v[29:30], v[27:28], v[56:57], v[44:45]
	v_fma_f64 v[66:67], -v[23:24], v[58:59], v[29:30]
	v_fma_f64 v[23:24], v[23:24], v[56:57], v[31:32]
	v_fma_f64 v[68:69], v[27:28], v[58:59], v[23:24]
	v_cvt_f64_f32_e32 v[23:24], v25
	v_cvt_f64_f32_e32 v[25:26], v26
	v_fma_f64 v[27:28], v[23:24], v[56:57], v[46:47]
	v_fma_f64 v[70:71], -v[25:26], v[58:59], v[27:28]
	v_fma_f64 v[25:26], v[25:26], v[56:57], v[33:34]
	v_fma_f64 v[56:57], v[23:24], v[58:59], v[25:26]
	global_load_dwordx2 v[23:24], v[17:18], off offset:-256
	v_add_co_u32_e32 v58, vcc, s7, v15
	v_addc_co_u32_e32 v59, vcc, 0, v16, vcc
	s_waitcnt vmcnt(0)
	v_sub_co_u32_e32 v39, vcc, v23, v9
	v_subb_co_u32_e32 v40, vcc, v24, v10, vcc
	v_add_co_u32_e32 v72, vcc, s12, v15
	v_lshlrev_b64 v[39:40], 6, v[39:40]
	v_addc_co_u32_e32 v73, vcc, 0, v16, vcc
	v_add_co_u32_e32 v76, vcc, s6, v39
	global_load_dwordx4 v[23:26], v[72:73], off offset:-4096
	global_load_dwordx4 v[27:30], v[58:59], off offset:48
	global_load_dwordx4 v[31:34], v[58:59], off offset:32
	;; [unrolled: 1-line block ×3, first 2 shown]
	v_addc_co_u32_e32 v77, vcc, v43, v40, vcc
	global_load_dwordx4 v[39:42], v[76:77], off offset:48
	global_load_dwordx4 v[44:47], v[76:77], off offset:32
	;; [unrolled: 1-line block ×3, first 2 shown]
	global_load_dwordx4 v[52:55], v[76:77], off
	s_waitcnt vmcnt(7)
	v_cvt_f64_f32_e32 v[74:75], v23
	v_cvt_f64_f32_e32 v[23:24], v24
	s_waitcnt vmcnt(0)
	v_fma_f64 v[19:20], v[74:75], v[52:53], v[19:20]
	v_fma_f64 v[19:20], -v[23:24], v[54:55], v[19:20]
	v_fma_f64 v[23:24], v[23:24], v[52:53], v[60:61]
	v_cvt_f64_f32_e32 v[60:61], v25
	v_cvt_f64_f32_e32 v[25:26], v26
	v_fma_f64 v[62:63], v[60:61], v[52:53], v[62:63]
	v_fma_f64 v[23:24], v[74:75], v[54:55], v[23:24]
	v_fma_f64 v[62:63], -v[25:26], v[54:55], v[62:63]
	v_fma_f64 v[25:26], v[25:26], v[52:53], v[64:65]
	v_fma_f64 v[25:26], v[60:61], v[54:55], v[25:26]
	v_cvt_f64_f32_e32 v[60:61], v35
	v_cvt_f64_f32_e32 v[35:36], v36
	v_fma_f64 v[64:65], v[60:61], v[52:53], v[66:67]
	v_fma_f64 v[64:65], -v[35:36], v[54:55], v[64:65]
	v_fma_f64 v[35:36], v[35:36], v[52:53], v[68:69]
	v_fma_f64 v[35:36], v[60:61], v[54:55], v[35:36]
	v_cvt_f64_f32_e32 v[60:61], v37
	v_cvt_f64_f32_e32 v[37:38], v38
	v_fma_f64 v[66:67], v[60:61], v[52:53], v[70:71]
	v_fma_f64 v[66:67], -v[37:38], v[54:55], v[66:67]
	v_fma_f64 v[37:38], v[37:38], v[52:53], v[56:57]
	v_cvt_f64_f32_e32 v[52:53], v31
	v_cvt_f64_f32_e32 v[31:32], v32
	v_fma_f64 v[19:20], v[52:53], v[48:49], v[19:20]
	v_fma_f64 v[23:24], v[31:32], v[48:49], v[23:24]
	v_fma_f64 v[37:38], v[60:61], v[54:55], v[37:38]
	v_fma_f64 v[19:20], -v[31:32], v[50:51], v[19:20]
	v_cvt_f64_f32_e32 v[31:32], v34
	v_fma_f64 v[52:53], v[52:53], v[50:51], v[23:24]
	v_cvt_f64_f32_e32 v[23:24], v33
	v_fma_f64 v[25:26], v[31:32], v[48:49], v[25:26]
	v_fma_f64 v[33:34], v[23:24], v[48:49], v[62:63]
	;; [unrolled: 1-line block ×3, first 2 shown]
	v_cvt_f64_f32_e32 v[23:24], v27
	v_cvt_f64_f32_e32 v[25:26], v28
	v_fma_f64 v[54:55], -v[31:32], v[50:51], v[33:34]
	v_fma_f64 v[27:28], v[23:24], v[48:49], v[64:65]
	v_fma_f64 v[60:61], -v[25:26], v[50:51], v[27:28]
	v_fma_f64 v[25:26], v[25:26], v[48:49], v[35:36]
	v_fma_f64 v[62:63], v[23:24], v[50:51], v[25:26]
	v_cvt_f64_f32_e32 v[23:24], v29
	v_cvt_f64_f32_e32 v[25:26], v30
	v_fma_f64 v[27:28], v[23:24], v[48:49], v[66:67]
	v_fma_f64 v[64:65], -v[25:26], v[50:51], v[27:28]
	v_fma_f64 v[25:26], v[25:26], v[48:49], v[37:38]
	v_fma_f64 v[48:49], v[23:24], v[50:51], v[25:26]
	global_load_dwordx4 v[23:26], v[58:59], off offset:112
	global_load_dwordx4 v[27:30], v[58:59], off offset:96
	;; [unrolled: 1-line block ×4, first 2 shown]
	s_waitcnt vmcnt(0)
	v_cvt_f64_f32_e32 v[50:51], v35
	v_cvt_f64_f32_e32 v[35:36], v36
	v_fma_f64 v[19:20], v[50:51], v[44:45], v[19:20]
	v_fma_f64 v[19:20], -v[35:36], v[46:47], v[19:20]
	v_fma_f64 v[35:36], v[35:36], v[44:45], v[52:53]
	v_fma_f64 v[35:36], v[50:51], v[46:47], v[35:36]
	v_cvt_f64_f32_e32 v[50:51], v37
	v_cvt_f64_f32_e32 v[37:38], v38
	v_fma_f64 v[52:53], v[50:51], v[44:45], v[54:55]
	v_fma_f64 v[52:53], -v[37:38], v[46:47], v[52:53]
	v_fma_f64 v[37:38], v[37:38], v[44:45], v[56:57]
	v_fma_f64 v[37:38], v[50:51], v[46:47], v[37:38]
	;; [unrolled: 6-line block ×3, first 2 shown]
	v_cvt_f64_f32_e32 v[50:51], v33
	v_cvt_f64_f32_e32 v[33:34], v34
	v_fma_f64 v[56:57], v[50:51], v[44:45], v[64:65]
	v_fma_f64 v[56:57], -v[33:34], v[46:47], v[56:57]
	v_fma_f64 v[33:34], v[33:34], v[44:45], v[48:49]
	v_cvt_f64_f32_e32 v[44:45], v27
	v_cvt_f64_f32_e32 v[27:28], v28
	v_fma_f64 v[19:20], v[44:45], v[39:40], v[19:20]
	v_fma_f64 v[33:34], v[50:51], v[46:47], v[33:34]
	v_fma_f64 v[19:20], -v[27:28], v[41:42], v[19:20]
	v_fma_f64 v[27:28], v[27:28], v[39:40], v[35:36]
	v_fma_f64 v[58:59], v[44:45], v[41:42], v[27:28]
	v_cvt_f64_f32_e32 v[27:28], v29
	v_cvt_f64_f32_e32 v[29:30], v30
	v_fma_f64 v[35:36], v[27:28], v[39:40], v[52:53]
	v_fma_f64 v[60:61], -v[29:30], v[41:42], v[35:36]
	v_fma_f64 v[29:30], v[29:30], v[39:40], v[37:38]
	v_fma_f64 v[62:63], v[27:28], v[41:42], v[29:30]
	v_cvt_f64_f32_e32 v[27:28], v23
	v_cvt_f64_f32_e32 v[23:24], v24
	;; [unrolled: 6-line block ×3, first 2 shown]
	v_fma_f64 v[27:28], v[23:24], v[39:40], v[56:57]
	v_fma_f64 v[56:57], -v[25:26], v[41:42], v[27:28]
	v_fma_f64 v[25:26], v[25:26], v[39:40], v[33:34]
	v_fma_f64 v[68:69], v[23:24], v[41:42], v[25:26]
	global_load_dwordx2 v[23:24], v[17:18], off
	s_waitcnt vmcnt(0)
	v_sub_co_u32_e32 v39, vcc, v23, v9
	v_subb_co_u32_e32 v40, vcc, v24, v10, vcc
	v_lshlrev_b64 v[39:40], 6, v[39:40]
	global_load_dwordx4 v[23:26], v[72:73], off
	global_load_dwordx4 v[27:30], v[72:73], off offset:48
	global_load_dwordx4 v[31:34], v[72:73], off offset:32
	;; [unrolled: 1-line block ×3, first 2 shown]
	v_add_co_u32_e32 v74, vcc, s6, v39
	v_addc_co_u32_e32 v75, vcc, v43, v40, vcc
	global_load_dwordx4 v[39:42], v[74:75], off offset:48
	global_load_dwordx4 v[44:47], v[74:75], off offset:32
	;; [unrolled: 1-line block ×3, first 2 shown]
	global_load_dwordx4 v[52:55], v[74:75], off
	s_waitcnt vmcnt(7)
	v_cvt_f64_f32_e32 v[70:71], v23
	v_cvt_f64_f32_e32 v[23:24], v24
	s_waitcnt vmcnt(0)
	v_fma_f64 v[19:20], v[70:71], v[52:53], v[19:20]
	v_fma_f64 v[19:20], -v[23:24], v[54:55], v[19:20]
	v_fma_f64 v[23:24], v[23:24], v[52:53], v[58:59]
	v_cvt_f64_f32_e32 v[58:59], v25
	v_cvt_f64_f32_e32 v[25:26], v26
	v_fma_f64 v[60:61], v[58:59], v[52:53], v[60:61]
	v_fma_f64 v[23:24], v[70:71], v[54:55], v[23:24]
	v_fma_f64 v[60:61], -v[25:26], v[54:55], v[60:61]
	v_fma_f64 v[25:26], v[25:26], v[52:53], v[62:63]
	v_fma_f64 v[25:26], v[58:59], v[54:55], v[25:26]
	v_cvt_f64_f32_e32 v[58:59], v35
	v_cvt_f64_f32_e32 v[35:36], v36
	v_fma_f64 v[62:63], v[58:59], v[52:53], v[64:65]
	v_fma_f64 v[62:63], -v[35:36], v[54:55], v[62:63]
	v_fma_f64 v[35:36], v[35:36], v[52:53], v[66:67]
	v_fma_f64 v[35:36], v[58:59], v[54:55], v[35:36]
	v_cvt_f64_f32_e32 v[58:59], v37
	v_cvt_f64_f32_e32 v[37:38], v38
	v_fma_f64 v[56:57], v[58:59], v[52:53], v[56:57]
	v_fma_f64 v[56:57], -v[37:38], v[54:55], v[56:57]
	v_fma_f64 v[37:38], v[37:38], v[52:53], v[68:69]
	v_cvt_f64_f32_e32 v[52:53], v31
	v_cvt_f64_f32_e32 v[31:32], v32
	v_fma_f64 v[19:20], v[52:53], v[48:49], v[19:20]
	v_fma_f64 v[23:24], v[31:32], v[48:49], v[23:24]
	;; [unrolled: 1-line block ×3, first 2 shown]
	v_fma_f64 v[19:20], -v[31:32], v[50:51], v[19:20]
	v_cvt_f64_f32_e32 v[31:32], v34
	v_fma_f64 v[52:53], v[52:53], v[50:51], v[23:24]
	v_cvt_f64_f32_e32 v[23:24], v33
	v_fma_f64 v[25:26], v[31:32], v[48:49], v[25:26]
	v_fma_f64 v[33:34], v[23:24], v[48:49], v[60:61]
	;; [unrolled: 1-line block ×3, first 2 shown]
	v_cvt_f64_f32_e32 v[23:24], v27
	v_cvt_f64_f32_e32 v[25:26], v28
	v_fma_f64 v[54:55], -v[31:32], v[50:51], v[33:34]
	v_fma_f64 v[27:28], v[23:24], v[48:49], v[62:63]
	v_fma_f64 v[60:61], -v[25:26], v[50:51], v[27:28]
	v_fma_f64 v[25:26], v[25:26], v[48:49], v[35:36]
	v_fma_f64 v[35:36], v[23:24], v[50:51], v[25:26]
	v_cvt_f64_f32_e32 v[23:24], v29
	v_cvt_f64_f32_e32 v[25:26], v30
	v_fma_f64 v[27:28], v[23:24], v[48:49], v[56:57]
	v_fma_f64 v[56:57], -v[25:26], v[50:51], v[27:28]
	v_fma_f64 v[25:26], v[25:26], v[48:49], v[37:38]
	v_fma_f64 v[37:38], v[23:24], v[50:51], v[25:26]
	global_load_dwordx4 v[48:51], v[72:73], off offset:112
	global_load_dwordx4 v[23:26], v[72:73], off offset:96
	;; [unrolled: 1-line block ×4, first 2 shown]
	s_waitcnt vmcnt(0)
	v_cvt_f64_f32_e32 v[62:63], v31
	v_cvt_f64_f32_e32 v[31:32], v32
	v_fma_f64 v[19:20], v[62:63], v[44:45], v[19:20]
	v_fma_f64 v[19:20], -v[31:32], v[46:47], v[19:20]
	v_fma_f64 v[31:32], v[31:32], v[44:45], v[52:53]
	v_cvt_f64_f32_e32 v[52:53], v33
	v_cvt_f64_f32_e32 v[33:34], v34
	v_fma_f64 v[54:55], v[52:53], v[44:45], v[54:55]
	v_fma_f64 v[31:32], v[62:63], v[46:47], v[31:32]
	v_fma_f64 v[54:55], -v[33:34], v[46:47], v[54:55]
	v_fma_f64 v[33:34], v[33:34], v[44:45], v[58:59]
	v_fma_f64 v[52:53], v[52:53], v[46:47], v[33:34]
	v_cvt_f64_f32_e32 v[33:34], v27
	v_cvt_f64_f32_e32 v[27:28], v28
	v_fma_f64 v[58:59], v[33:34], v[44:45], v[60:61]
	v_fma_f64 v[58:59], -v[27:28], v[46:47], v[58:59]
	v_fma_f64 v[27:28], v[27:28], v[44:45], v[35:36]
	v_fma_f64 v[27:28], v[33:34], v[46:47], v[27:28]
	v_cvt_f64_f32_e32 v[33:34], v29
	v_cvt_f64_f32_e32 v[29:30], v30
	v_fma_f64 v[35:36], v[33:34], v[44:45], v[56:57]
	v_fma_f64 v[56:57], -v[29:30], v[46:47], v[35:36]
	v_fma_f64 v[29:30], v[29:30], v[44:45], v[37:38]
	v_cvt_f64_f32_e32 v[44:45], v51
	v_fma_f64 v[37:38], v[33:34], v[46:47], v[29:30]
	v_cvt_f64_f32_e32 v[29:30], v23
	v_cvt_f64_f32_e32 v[23:24], v24
	v_fma_f64 v[19:20], v[29:30], v[39:40], v[19:20]
	v_fma_f64 v[37:38], v[44:45], v[39:40], v[37:38]
	v_fma_f64 v[33:34], -v[23:24], v[41:42], v[19:20]
	v_fma_f64 v[19:20], v[23:24], v[39:40], v[31:32]
	v_cvt_f64_f32_e32 v[23:24], v26
	v_fma_f64 v[35:36], v[29:30], v[41:42], v[19:20]
	v_cvt_f64_f32_e32 v[19:20], v25
	v_fma_f64 v[25:26], v[19:20], v[39:40], v[54:55]
	v_fma_f64 v[29:30], -v[23:24], v[41:42], v[25:26]
	v_fma_f64 v[23:24], v[23:24], v[39:40], v[52:53]
	v_fma_f64 v[31:32], v[19:20], v[41:42], v[23:24]
	v_cvt_f64_f32_e32 v[19:20], v48
	v_cvt_f64_f32_e32 v[23:24], v49
	v_fma_f64 v[25:26], v[19:20], v[39:40], v[58:59]
	v_fma_f64 v[25:26], -v[23:24], v[41:42], v[25:26]
	v_fma_f64 v[23:24], v[23:24], v[39:40], v[27:28]
	v_fma_f64 v[27:28], v[19:20], v[41:42], v[23:24]
	v_cvt_f64_f32_e32 v[23:24], v50
	v_fma_f64 v[19:20], v[23:24], v[39:40], v[56:57]
	v_fma_f64 v[23:24], v[23:24], v[41:42], v[37:38]
	global_load_dwordx2 v[37:38], v[17:18], off offset:256
	v_fma_f64 v[19:20], -v[44:45], v[41:42], v[19:20]
	s_waitcnt vmcnt(0)
	v_sub_co_u32_e32 v41, vcc, v37, v9
	v_subb_co_u32_e32 v42, vcc, v38, v10, vcc
	v_add_co_u32_e32 v72, vcc, s13, v15
	v_lshlrev_b64 v[41:42], 6, v[41:42]
	v_addc_co_u32_e32 v73, vcc, 0, v16, vcc
	v_add_co_u32_e32 v41, vcc, s6, v41
	global_load_dwordx4 v[37:40], v[72:73], off
	global_load_dwordx4 v[44:47], v[72:73], off offset:48
	global_load_dwordx4 v[48:51], v[72:73], off offset:32
	;; [unrolled: 1-line block ×3, first 2 shown]
	v_addc_co_u32_e32 v42, vcc, v43, v42, vcc
	global_load_dwordx4 v[56:59], v[41:42], off offset:48
	global_load_dwordx4 v[60:63], v[41:42], off offset:32
	;; [unrolled: 1-line block ×3, first 2 shown]
	global_load_dwordx4 v[68:71], v[41:42], off
	v_add_co_u32_e32 v11, vcc, 0x80, v11
	v_addc_co_u32_e32 v12, vcc, 0, v12, vcc
	v_add_co_u32_e32 v17, vcc, 0x400, v17
	v_addc_co_u32_e32 v18, vcc, 0, v18, vcc
	v_cmp_ge_i64_e64 s[0:1], v[11:12], v[13:14]
	v_add_co_u32_e32 v15, vcc, 0x4000, v15
	v_addc_co_u32_e32 v16, vcc, 0, v16, vcc
	s_or_b64 s[10:11], s[0:1], s[10:11]
	s_waitcnt vmcnt(7)
	v_cvt_f64_f32_e32 v[74:75], v37
	v_cvt_f64_f32_e32 v[37:38], v38
	s_waitcnt vmcnt(0)
	v_fma_f64 v[33:34], v[74:75], v[68:69], v[33:34]
	v_fma_f64 v[35:36], v[37:38], v[68:69], v[35:36]
	v_fma_f64 v[33:34], -v[37:38], v[70:71], v[33:34]
	v_cvt_f64_f32_e32 v[37:38], v39
	v_cvt_f64_f32_e32 v[39:40], v40
	v_fma_f64 v[35:36], v[74:75], v[70:71], v[35:36]
	v_fma_f64 v[29:30], v[37:38], v[68:69], v[29:30]
	;; [unrolled: 1-line block ×3, first 2 shown]
	v_fma_f64 v[29:30], -v[39:40], v[70:71], v[29:30]
	v_fma_f64 v[31:32], v[37:38], v[70:71], v[31:32]
	v_cvt_f64_f32_e32 v[37:38], v52
	v_cvt_f64_f32_e32 v[39:40], v53
	v_fma_f64 v[25:26], v[37:38], v[68:69], v[25:26]
	v_fma_f64 v[27:28], v[39:40], v[68:69], v[27:28]
	v_fma_f64 v[25:26], -v[39:40], v[70:71], v[25:26]
	v_cvt_f64_f32_e32 v[39:40], v55
	v_fma_f64 v[27:28], v[37:38], v[70:71], v[27:28]
	v_cvt_f64_f32_e32 v[37:38], v54
	v_fma_f64 v[23:24], v[39:40], v[68:69], v[23:24]
	v_fma_f64 v[19:20], v[37:38], v[68:69], v[19:20]
	;; [unrolled: 1-line block ×3, first 2 shown]
	v_cvt_f64_f32_e32 v[37:38], v48
	v_fma_f64 v[19:20], -v[39:40], v[70:71], v[19:20]
	v_cvt_f64_f32_e32 v[39:40], v49
	v_fma_f64 v[33:34], v[37:38], v[64:65], v[33:34]
	v_fma_f64 v[41:42], -v[39:40], v[66:67], v[33:34]
	v_fma_f64 v[33:34], v[39:40], v[64:65], v[35:36]
	v_cvt_f64_f32_e32 v[35:36], v51
	v_fma_f64 v[39:40], v[37:38], v[66:67], v[33:34]
	v_cvt_f64_f32_e32 v[33:34], v50
	v_fma_f64 v[29:30], v[33:34], v[64:65], v[29:30]
	v_fma_f64 v[48:49], -v[35:36], v[66:67], v[29:30]
	v_fma_f64 v[29:30], v[35:36], v[64:65], v[31:32]
	v_cvt_f64_f32_e32 v[31:32], v45
	v_fma_f64 v[50:51], v[33:34], v[66:67], v[29:30]
	;; [unrolled: 6-line block ×3, first 2 shown]
	v_fma_f64 v[52:53], v[29:30], v[66:67], v[25:26]
	v_cvt_f64_f32_e32 v[25:26], v46
	v_fma_f64 v[19:20], v[25:26], v[64:65], v[19:20]
	v_fma_f64 v[46:47], v[25:26], v[66:67], v[23:24]
	v_fma_f64 v[19:20], -v[27:28], v[66:67], v[19:20]
	global_load_dwordx4 v[23:26], v[72:73], off offset:112
	global_load_dwordx4 v[27:30], v[72:73], off offset:96
	;; [unrolled: 1-line block ×4, first 2 shown]
	s_waitcnt vmcnt(0)
	v_cvt_f64_f32_e32 v[54:55], v35
	v_cvt_f64_f32_e32 v[35:36], v36
	v_fma_f64 v[41:42], v[54:55], v[60:61], v[41:42]
	v_fma_f64 v[41:42], -v[35:36], v[62:63], v[41:42]
	v_fma_f64 v[35:36], v[35:36], v[60:61], v[39:40]
	v_fma_f64 v[39:40], v[54:55], v[62:63], v[35:36]
	v_cvt_f64_f32_e32 v[35:36], v37
	v_cvt_f64_f32_e32 v[37:38], v38
	v_fma_f64 v[48:49], v[35:36], v[60:61], v[48:49]
	v_fma_f64 v[48:49], -v[37:38], v[62:63], v[48:49]
	v_fma_f64 v[37:38], v[37:38], v[60:61], v[50:51]
	v_fma_f64 v[50:51], v[35:36], v[62:63], v[37:38]
	;; [unrolled: 6-line block ×8, first 2 shown]
	s_andn2_b64 exec, exec, s[10:11]
	s_cbranch_execnz .LBB178_33
; %bb.34:
	s_or_b64 exec, exec, s[10:11]
.LBB178_35:
	s_or_b64 exec, exec, s[8:9]
.LBB178_36:
	s_or_b64 exec, exec, s[2:3]
.LBB178_37:
	v_mov_b32_dpp v9, v35 row_shr:1 row_mask:0xf bank_mask:0xf
	v_mov_b32_dpp v10, v36 row_shr:1 row_mask:0xf bank_mask:0xf
	v_add_f64 v[9:10], v[35:36], v[9:10]
	v_mov_b32_dpp v11, v37 row_shr:1 row_mask:0xf bank_mask:0xf
	v_mov_b32_dpp v12, v38 row_shr:1 row_mask:0xf bank_mask:0xf
	v_add_f64 v[11:12], v[37:38], v[11:12]
	v_mov_b32_dpp v13, v41 row_shr:1 row_mask:0xf bank_mask:0xf
	v_cmp_eq_u32_e32 vcc, 31, v0
	v_mov_b32_dpp v14, v9 row_shr:2 row_mask:0xf bank_mask:0xf
	v_mov_b32_dpp v15, v10 row_shr:2 row_mask:0xf bank_mask:0xf
	v_add_f64 v[9:10], v[9:10], v[14:15]
	v_mov_b32_dpp v14, v42 row_shr:1 row_mask:0xf bank_mask:0xf
	v_mov_b32_dpp v16, v11 row_shr:2 row_mask:0xf bank_mask:0xf
	;; [unrolled: 1-line block ×4, first 2 shown]
	v_add_f64 v[13:14], v[41:42], v[13:14]
	v_add_f64 v[11:12], v[11:12], v[16:17]
	v_mov_b32_dpp v16, v40 row_shr:1 row_mask:0xf bank_mask:0xf
	v_add_f64 v[15:16], v[39:40], v[15:16]
	v_mov_b32_dpp v17, v9 row_shr:4 row_mask:0xf bank_mask:0xe
	v_mov_b32_dpp v18, v10 row_shr:4 row_mask:0xf bank_mask:0xe
	v_add_f64 v[9:10], v[9:10], v[17:18]
	v_mov_b32_dpp v17, v13 row_shr:2 row_mask:0xf bank_mask:0xf
	v_mov_b32_dpp v18, v14 row_shr:2 row_mask:0xf bank_mask:0xf
	;; [unrolled: 1-line block ×4, first 2 shown]
	v_add_f64 v[11:12], v[11:12], v[19:20]
	v_add_f64 v[13:14], v[13:14], v[17:18]
	v_mov_b32_dpp v18, v15 row_shr:2 row_mask:0xf bank_mask:0xf
	v_mov_b32_dpp v19, v16 row_shr:2 row_mask:0xf bank_mask:0xf
	v_add_f64 v[15:16], v[15:16], v[18:19]
	v_mov_b32_dpp v17, v9 row_shr:8 row_mask:0xf bank_mask:0xc
	v_mov_b32_dpp v18, v10 row_shr:8 row_mask:0xf bank_mask:0xc
	;; [unrolled: 3-line block ×3, first 2 shown]
	v_mov_b32_dpp v20, v14 row_shr:4 row_mask:0xf bank_mask:0xe
	v_add_f64 v[13:14], v[13:14], v[19:20]
	v_mov_b32_dpp v19, v15 row_shr:4 row_mask:0xf bank_mask:0xe
	v_mov_b32_dpp v20, v16 row_shr:4 row_mask:0xf bank_mask:0xe
	v_add_f64 v[15:16], v[15:16], v[19:20]
	v_mov_b32_dpp v19, v31 row_shr:1 row_mask:0xf bank_mask:0xf
	;; [unrolled: 3-line block ×3, first 2 shown]
	v_add_f64 v[11:12], v[11:12], v[17:18]
	v_mov_b32_dpp v17, v13 row_shr:8 row_mask:0xf bank_mask:0xc
	v_mov_b32_dpp v18, v14 row_shr:8 row_mask:0xf bank_mask:0xc
	v_add_f64 v[13:14], v[13:14], v[17:18]
	v_mov_b32_dpp v17, v15 row_shr:8 row_mask:0xf bank_mask:0xc
	v_mov_b32_dpp v18, v16 row_shr:8 row_mask:0xf bank_mask:0xc
	;; [unrolled: 3-line block ×3, first 2 shown]
	v_add_f64 v[31:32], v[19:20], v[17:18]
	v_mov_b32_dpp v25, v9 row_bcast:15 row_mask:0xa bank_mask:0xf
	v_mov_b32_dpp v26, v10 row_bcast:15 row_mask:0xa bank_mask:0xf
	;; [unrolled: 1-line block ×7, first 2 shown]
	v_mov_b32_dpp v35, v31 row_shr:4 row_mask:0xf bank_mask:0xe
	v_mov_b32_dpp v36, v32 row_shr:4 row_mask:0xf bank_mask:0xe
	v_add_f64 v[31:32], v[31:32], v[35:36]
	v_mov_b32_dpp v35, v27 row_shr:1 row_mask:0xf bank_mask:0xf
	v_mov_b32_dpp v36, v28 row_shr:1 row_mask:0xf bank_mask:0xf
	v_add_f64 v[27:28], v[27:28], v[35:36]
	;; [unrolled: 3-line block ×4, first 2 shown]
	v_mov_b32_dpp v35, v31 row_shr:8 row_mask:0xf bank_mask:0xc
	v_mov_b32_dpp v36, v27 row_shr:2 row_mask:0xf bank_mask:0xf
	;; [unrolled: 1-line block ×3, first 2 shown]
	v_add_f64 v[27:28], v[27:28], v[36:37]
	v_mov_b32_dpp v36, v33 row_shr:2 row_mask:0xf bank_mask:0xf
	v_mov_b32_dpp v37, v34 row_shr:2 row_mask:0xf bank_mask:0xf
	v_add_f64 v[33:34], v[33:34], v[36:37]
	v_mov_b32_dpp v36, v29 row_shr:2 row_mask:0xf bank_mask:0xf
	v_mov_b32_dpp v37, v30 row_shr:2 row_mask:0xf bank_mask:0xf
	;; [unrolled: 3-line block ×3, first 2 shown]
	v_mov_b32_dpp v38, v28 row_shr:4 row_mask:0xf bank_mask:0xe
	v_add_f64 v[37:38], v[27:28], v[37:38]
	v_mov_b32_dpp v27, v33 row_shr:4 row_mask:0xf bank_mask:0xe
	v_mov_b32_dpp v28, v34 row_shr:4 row_mask:0xf bank_mask:0xe
	v_add_f64 v[33:34], v[33:34], v[27:28]
	v_mov_b32_dpp v27, v29 row_shr:4 row_mask:0xf bank_mask:0xe
	v_mov_b32_dpp v28, v30 row_shr:4 row_mask:0xf bank_mask:0xe
	v_add_f64 v[39:40], v[29:30], v[27:28]
	v_add_f64 v[27:28], v[31:32], v[35:36]
	v_mov_b32_dpp v29, v37 row_shr:8 row_mask:0xf bank_mask:0xc
	v_mov_b32_dpp v30, v38 row_shr:8 row_mask:0xf bank_mask:0xc
	v_add_f64 v[29:30], v[37:38], v[29:30]
	v_mov_b32_dpp v31, v33 row_shr:8 row_mask:0xf bank_mask:0xc
	v_mov_b32_dpp v32, v34 row_shr:8 row_mask:0xf bank_mask:0xc
	;; [unrolled: 3-line block ×3, first 2 shown]
	v_add_f64 v[33:34], v[39:40], v[33:34]
	v_mov_b32_dpp v18, v16 row_bcast:15 row_mask:0xa bank_mask:0xf
	v_mov_b32_dpp v41, v27 row_bcast:15 row_mask:0xa bank_mask:0xf
	;; [unrolled: 1-line block ×9, first 2 shown]
	s_and_b64 exec, exec, vcc
	s_cbranch_execz .LBB178_8
; %bb.38:
	v_add_f64 v[11:12], v[11:12], v[23:24]
	v_add_f64 v[23:24], v[13:14], v[19:20]
	;; [unrolled: 1-line block ×8, first 2 shown]
	v_mul_f64 v[19:20], v[11:12], -v[7:8]
	v_mul_f64 v[11:12], v[5:6], v[11:12]
	v_mul_f64 v[29:30], v[13:14], -v[7:8]
	v_mul_f64 v[31:32], v[5:6], v[13:14]
	;; [unrolled: 2-line block ×4, first 2 shown]
	v_cmp_eq_f64_e32 vcc, 0, v[1:2]
	v_cmp_eq_f64_e64 s[0:1], 0, v[3:4]
	v_fma_f64 v[17:18], v[5:6], v[9:10], v[19:20]
	v_fma_f64 v[19:20], v[7:8], v[9:10], v[11:12]
	;; [unrolled: 1-line block ×8, first 2 shown]
	s_load_dwordx2 s[2:3], s[4:5], 0x68
	v_lshlrev_b64 v[21:22], 6, v[21:22]
	s_and_b64 s[0:1], vcc, s[0:1]
	s_and_saveexec_b64 s[4:5], s[0:1]
	s_xor_b64 s[0:1], exec, s[4:5]
	s_cbranch_execz .LBB178_40
; %bb.39:
	s_waitcnt lgkmcnt(0)
	v_mov_b32_e32 v1, s3
	v_add_co_u32_e32 v0, vcc, s2, v21
	v_addc_co_u32_e32 v1, vcc, v1, v22, vcc
	global_store_dwordx4 v[0:1], v[17:20], off
	global_store_dwordx4 v[0:1], v[13:16], off offset:16
	global_store_dwordx4 v[0:1], v[9:12], off offset:32
	;; [unrolled: 1-line block ×3, first 2 shown]
                                        ; implicit-def: $vgpr3_vgpr4
                                        ; implicit-def: $vgpr17_vgpr18
                                        ; implicit-def: $vgpr21_vgpr22
                                        ; implicit-def: $vgpr13_vgpr14
                                        ; implicit-def: $vgpr9_vgpr10
                                        ; implicit-def: $vgpr5_vgpr6
.LBB178_40:
	s_andn2_saveexec_b64 s[0:1], s[0:1]
	s_cbranch_execz .LBB178_8
; %bb.41:
	s_waitcnt lgkmcnt(0)
	v_mov_b32_e32 v0, s3
	v_add_co_u32_e32 v37, vcc, s2, v21
	v_addc_co_u32_e32 v38, vcc, v0, v22, vcc
	global_load_dwordx4 v[21:24], v[37:38], off
	global_load_dwordx4 v[25:28], v[37:38], off offset:16
	global_load_dwordx4 v[29:32], v[37:38], off offset:32
	;; [unrolled: 1-line block ×3, first 2 shown]
	s_waitcnt vmcnt(3)
	v_fma_f64 v[17:18], v[1:2], v[21:22], v[17:18]
	v_fma_f64 v[19:20], v[3:4], v[21:22], v[19:20]
	s_waitcnt vmcnt(2)
	v_fma_f64 v[13:14], v[1:2], v[25:26], v[13:14]
	v_fma_f64 v[15:16], v[3:4], v[25:26], v[15:16]
	;; [unrolled: 3-line block ×4, first 2 shown]
	v_fma_f64 v[5:6], -v[3:4], v[23:24], v[17:18]
	v_fma_f64 v[7:8], v[1:2], v[23:24], v[19:20]
	v_fma_f64 v[9:10], -v[3:4], v[27:28], v[13:14]
	v_fma_f64 v[11:12], v[1:2], v[27:28], v[15:16]
	;; [unrolled: 2-line block ×4, first 2 shown]
	global_store_dwordx4 v[37:38], v[5:8], off
	global_store_dwordx4 v[37:38], v[9:12], off offset:16
	global_store_dwordx4 v[37:38], v[13:16], off offset:32
	global_store_dwordx4 v[37:38], v[17:20], off offset:48
	s_endpgm
	.section	.rodata,"a",@progbits
	.p2align	6, 0x0
	.amdhsa_kernel _ZN9rocsparseL18bsrxmvn_4x4_kernelILj128ELj32E21rocsparse_complex_numIdEllS1_IfES2_S2_EEvT3_20rocsparse_direction_NS_24const_host_device_scalarIT1_EES4_PKS4_PKT2_SD_SA_PKT4_PKT5_S8_PT6_21rocsparse_index_base_b
		.amdhsa_group_segment_fixed_size 0
		.amdhsa_private_segment_fixed_size 0
		.amdhsa_kernarg_size 120
		.amdhsa_user_sgpr_count 6
		.amdhsa_user_sgpr_private_segment_buffer 1
		.amdhsa_user_sgpr_dispatch_ptr 0
		.amdhsa_user_sgpr_queue_ptr 0
		.amdhsa_user_sgpr_kernarg_segment_ptr 1
		.amdhsa_user_sgpr_dispatch_id 0
		.amdhsa_user_sgpr_flat_scratch_init 0
		.amdhsa_user_sgpr_private_segment_size 0
		.amdhsa_uses_dynamic_stack 0
		.amdhsa_system_sgpr_private_segment_wavefront_offset 0
		.amdhsa_system_sgpr_workgroup_id_x 1
		.amdhsa_system_sgpr_workgroup_id_y 0
		.amdhsa_system_sgpr_workgroup_id_z 0
		.amdhsa_system_sgpr_workgroup_info 0
		.amdhsa_system_vgpr_workitem_id 0
		.amdhsa_next_free_vgpr 88
		.amdhsa_next_free_sgpr 19
		.amdhsa_reserve_vcc 1
		.amdhsa_reserve_flat_scratch 0
		.amdhsa_float_round_mode_32 0
		.amdhsa_float_round_mode_16_64 0
		.amdhsa_float_denorm_mode_32 3
		.amdhsa_float_denorm_mode_16_64 3
		.amdhsa_dx10_clamp 1
		.amdhsa_ieee_mode 1
		.amdhsa_fp16_overflow 0
		.amdhsa_exception_fp_ieee_invalid_op 0
		.amdhsa_exception_fp_denorm_src 0
		.amdhsa_exception_fp_ieee_div_zero 0
		.amdhsa_exception_fp_ieee_overflow 0
		.amdhsa_exception_fp_ieee_underflow 0
		.amdhsa_exception_fp_ieee_inexact 0
		.amdhsa_exception_int_div_zero 0
	.end_amdhsa_kernel
	.section	.text._ZN9rocsparseL18bsrxmvn_4x4_kernelILj128ELj32E21rocsparse_complex_numIdEllS1_IfES2_S2_EEvT3_20rocsparse_direction_NS_24const_host_device_scalarIT1_EES4_PKS4_PKT2_SD_SA_PKT4_PKT5_S8_PT6_21rocsparse_index_base_b,"axG",@progbits,_ZN9rocsparseL18bsrxmvn_4x4_kernelILj128ELj32E21rocsparse_complex_numIdEllS1_IfES2_S2_EEvT3_20rocsparse_direction_NS_24const_host_device_scalarIT1_EES4_PKS4_PKT2_SD_SA_PKT4_PKT5_S8_PT6_21rocsparse_index_base_b,comdat
.Lfunc_end178:
	.size	_ZN9rocsparseL18bsrxmvn_4x4_kernelILj128ELj32E21rocsparse_complex_numIdEllS1_IfES2_S2_EEvT3_20rocsparse_direction_NS_24const_host_device_scalarIT1_EES4_PKS4_PKT2_SD_SA_PKT4_PKT5_S8_PT6_21rocsparse_index_base_b, .Lfunc_end178-_ZN9rocsparseL18bsrxmvn_4x4_kernelILj128ELj32E21rocsparse_complex_numIdEllS1_IfES2_S2_EEvT3_20rocsparse_direction_NS_24const_host_device_scalarIT1_EES4_PKS4_PKT2_SD_SA_PKT4_PKT5_S8_PT6_21rocsparse_index_base_b
                                        ; -- End function
	.set _ZN9rocsparseL18bsrxmvn_4x4_kernelILj128ELj32E21rocsparse_complex_numIdEllS1_IfES2_S2_EEvT3_20rocsparse_direction_NS_24const_host_device_scalarIT1_EES4_PKS4_PKT2_SD_SA_PKT4_PKT5_S8_PT6_21rocsparse_index_base_b.num_vgpr, 88
	.set _ZN9rocsparseL18bsrxmvn_4x4_kernelILj128ELj32E21rocsparse_complex_numIdEllS1_IfES2_S2_EEvT3_20rocsparse_direction_NS_24const_host_device_scalarIT1_EES4_PKS4_PKT2_SD_SA_PKT4_PKT5_S8_PT6_21rocsparse_index_base_b.num_agpr, 0
	.set _ZN9rocsparseL18bsrxmvn_4x4_kernelILj128ELj32E21rocsparse_complex_numIdEllS1_IfES2_S2_EEvT3_20rocsparse_direction_NS_24const_host_device_scalarIT1_EES4_PKS4_PKT2_SD_SA_PKT4_PKT5_S8_PT6_21rocsparse_index_base_b.numbered_sgpr, 19
	.set _ZN9rocsparseL18bsrxmvn_4x4_kernelILj128ELj32E21rocsparse_complex_numIdEllS1_IfES2_S2_EEvT3_20rocsparse_direction_NS_24const_host_device_scalarIT1_EES4_PKS4_PKT2_SD_SA_PKT4_PKT5_S8_PT6_21rocsparse_index_base_b.num_named_barrier, 0
	.set _ZN9rocsparseL18bsrxmvn_4x4_kernelILj128ELj32E21rocsparse_complex_numIdEllS1_IfES2_S2_EEvT3_20rocsparse_direction_NS_24const_host_device_scalarIT1_EES4_PKS4_PKT2_SD_SA_PKT4_PKT5_S8_PT6_21rocsparse_index_base_b.private_seg_size, 0
	.set _ZN9rocsparseL18bsrxmvn_4x4_kernelILj128ELj32E21rocsparse_complex_numIdEllS1_IfES2_S2_EEvT3_20rocsparse_direction_NS_24const_host_device_scalarIT1_EES4_PKS4_PKT2_SD_SA_PKT4_PKT5_S8_PT6_21rocsparse_index_base_b.uses_vcc, 1
	.set _ZN9rocsparseL18bsrxmvn_4x4_kernelILj128ELj32E21rocsparse_complex_numIdEllS1_IfES2_S2_EEvT3_20rocsparse_direction_NS_24const_host_device_scalarIT1_EES4_PKS4_PKT2_SD_SA_PKT4_PKT5_S8_PT6_21rocsparse_index_base_b.uses_flat_scratch, 0
	.set _ZN9rocsparseL18bsrxmvn_4x4_kernelILj128ELj32E21rocsparse_complex_numIdEllS1_IfES2_S2_EEvT3_20rocsparse_direction_NS_24const_host_device_scalarIT1_EES4_PKS4_PKT2_SD_SA_PKT4_PKT5_S8_PT6_21rocsparse_index_base_b.has_dyn_sized_stack, 0
	.set _ZN9rocsparseL18bsrxmvn_4x4_kernelILj128ELj32E21rocsparse_complex_numIdEllS1_IfES2_S2_EEvT3_20rocsparse_direction_NS_24const_host_device_scalarIT1_EES4_PKS4_PKT2_SD_SA_PKT4_PKT5_S8_PT6_21rocsparse_index_base_b.has_recursion, 0
	.set _ZN9rocsparseL18bsrxmvn_4x4_kernelILj128ELj32E21rocsparse_complex_numIdEllS1_IfES2_S2_EEvT3_20rocsparse_direction_NS_24const_host_device_scalarIT1_EES4_PKS4_PKT2_SD_SA_PKT4_PKT5_S8_PT6_21rocsparse_index_base_b.has_indirect_call, 0
	.section	.AMDGPU.csdata,"",@progbits
; Kernel info:
; codeLenInByte = 11060
; TotalNumSgprs: 23
; NumVgprs: 88
; ScratchSize: 0
; MemoryBound: 0
; FloatMode: 240
; IeeeMode: 1
; LDSByteSize: 0 bytes/workgroup (compile time only)
; SGPRBlocks: 2
; VGPRBlocks: 21
; NumSGPRsForWavesPerEU: 23
; NumVGPRsForWavesPerEU: 88
; Occupancy: 2
; WaveLimiterHint : 1
; COMPUTE_PGM_RSRC2:SCRATCH_EN: 0
; COMPUTE_PGM_RSRC2:USER_SGPR: 6
; COMPUTE_PGM_RSRC2:TRAP_HANDLER: 0
; COMPUTE_PGM_RSRC2:TGID_X_EN: 1
; COMPUTE_PGM_RSRC2:TGID_Y_EN: 0
; COMPUTE_PGM_RSRC2:TGID_Z_EN: 0
; COMPUTE_PGM_RSRC2:TIDIG_COMP_CNT: 0
	.section	.text._ZN9rocsparseL18bsrxmvn_4x4_kernelILj128ELj64E21rocsparse_complex_numIdEllS1_IfES2_S2_EEvT3_20rocsparse_direction_NS_24const_host_device_scalarIT1_EES4_PKS4_PKT2_SD_SA_PKT4_PKT5_S8_PT6_21rocsparse_index_base_b,"axG",@progbits,_ZN9rocsparseL18bsrxmvn_4x4_kernelILj128ELj64E21rocsparse_complex_numIdEllS1_IfES2_S2_EEvT3_20rocsparse_direction_NS_24const_host_device_scalarIT1_EES4_PKS4_PKT2_SD_SA_PKT4_PKT5_S8_PT6_21rocsparse_index_base_b,comdat
	.globl	_ZN9rocsparseL18bsrxmvn_4x4_kernelILj128ELj64E21rocsparse_complex_numIdEllS1_IfES2_S2_EEvT3_20rocsparse_direction_NS_24const_host_device_scalarIT1_EES4_PKS4_PKT2_SD_SA_PKT4_PKT5_S8_PT6_21rocsparse_index_base_b ; -- Begin function _ZN9rocsparseL18bsrxmvn_4x4_kernelILj128ELj64E21rocsparse_complex_numIdEllS1_IfES2_S2_EEvT3_20rocsparse_direction_NS_24const_host_device_scalarIT1_EES4_PKS4_PKT2_SD_SA_PKT4_PKT5_S8_PT6_21rocsparse_index_base_b
	.p2align	8
	.type	_ZN9rocsparseL18bsrxmvn_4x4_kernelILj128ELj64E21rocsparse_complex_numIdEllS1_IfES2_S2_EEvT3_20rocsparse_direction_NS_24const_host_device_scalarIT1_EES4_PKS4_PKT2_SD_SA_PKT4_PKT5_S8_PT6_21rocsparse_index_base_b,@function
_ZN9rocsparseL18bsrxmvn_4x4_kernelILj128ELj64E21rocsparse_complex_numIdEllS1_IfES2_S2_EEvT3_20rocsparse_direction_NS_24const_host_device_scalarIT1_EES4_PKS4_PKT2_SD_SA_PKT4_PKT5_S8_PT6_21rocsparse_index_base_b: ; @_ZN9rocsparseL18bsrxmvn_4x4_kernelILj128ELj64E21rocsparse_complex_numIdEllS1_IfES2_S2_EEvT3_20rocsparse_direction_NS_24const_host_device_scalarIT1_EES4_PKS4_PKT2_SD_SA_PKT4_PKT5_S8_PT6_21rocsparse_index_base_b
; %bb.0:
	s_load_dwordx2 s[0:1], s[4:5], 0x10
	s_load_dwordx2 s[2:3], s[4:5], 0x70
	s_add_u32 s7, s4, 16
	s_addc_u32 s10, s5, 0
	s_add_u32 s11, s4, 0x58
	s_addc_u32 s12, s5, 0
	s_waitcnt lgkmcnt(0)
	s_bitcmp1_b32 s3, 0
	s_cselect_b32 s1, s10, s1
	s_cselect_b32 s0, s7, s0
	v_mov_b32_e32 v1, s0
	v_mov_b32_e32 v2, s1
	flat_load_dwordx4 v[5:8], v[1:2]
	s_load_dwordx2 s[8:9], s[4:5], 0x58
	s_waitcnt lgkmcnt(0)
	s_cselect_b32 s0, s12, s9
	s_cselect_b32 s1, s11, s8
	v_mov_b32_e32 v1, s1
	v_mov_b32_e32 v2, s0
	flat_load_dwordx4 v[1:4], v[1:2]
	s_waitcnt vmcnt(0)
	v_cmp_eq_f64_e32 vcc, 0, v[5:6]
	v_cmp_eq_f64_e64 s[0:1], 0, v[7:8]
	s_and_b64 s[10:11], vcc, s[0:1]
	s_mov_b64 s[0:1], -1
	s_and_saveexec_b64 s[8:9], s[10:11]
	s_cbranch_execz .LBB179_2
; %bb.1:
	s_waitcnt lgkmcnt(0)
	v_cmp_neq_f64_e32 vcc, 1.0, v[1:2]
	v_cmp_neq_f64_e64 s[0:1], 0, v[3:4]
	s_or_b64 s[0:1], vcc, s[0:1]
	s_orn2_b64 s[0:1], s[0:1], exec
.LBB179_2:
	s_or_b64 exec, exec, s[8:9]
	s_and_saveexec_b64 s[8:9], s[0:1]
	s_cbranch_execz .LBB179_8
; %bb.3:
	s_load_dwordx2 s[8:9], s[4:5], 0x28
	v_lshrrev_b32_e32 v9, 6, v0
	v_lshl_or_b32 v11, s6, 1, v9
	v_mov_b32_e32 v12, 0
	s_mov_b64 s[0:1], 0
	s_waitcnt lgkmcnt(0)
	s_cmp_lg_u64 s[8:9], 0
	s_cbranch_scc0 .LBB179_9
; %bb.4:
	s_load_dwordx2 s[6:7], s[4:5], 0x20
                                        ; implicit-def: $vgpr21_vgpr22
                                        ; implicit-def: $vgpr9_vgpr10
	s_waitcnt lgkmcnt(0)
	v_cmp_gt_i64_e32 vcc, s[6:7], v[11:12]
	s_and_saveexec_b64 s[6:7], vcc
	s_xor_b64 s[6:7], exec, s[6:7]
	s_cbranch_execz .LBB179_6
; %bb.5:
	v_lshlrev_b64 v[9:10], 3, v[11:12]
	v_mov_b32_e32 v13, s9
	v_add_co_u32_e32 v9, vcc, s8, v9
	v_addc_co_u32_e32 v10, vcc, v13, v10, vcc
	global_load_dwordx2 v[9:10], v[9:10], off
	s_mov_b32 s3, 0
	s_mov_b64 s[0:1], exec
	s_waitcnt vmcnt(0)
	v_subrev_co_u32_e32 v21, vcc, s2, v9
	v_subbrev_co_u32_e32 v22, vcc, 0, v10, vcc
	v_mov_b32_e32 v10, s3
	v_mov_b32_e32 v9, s2
.LBB179_6:
	s_or_b64 exec, exec, s[6:7]
.LBB179_7:
	s_and_b64 exec, exec, s[0:1]
	s_cbranch_execnz .LBB179_13
.LBB179_8:
	s_endpgm
.LBB179_9:
                                        ; implicit-def: $vgpr21_vgpr22
                                        ; implicit-def: $vgpr9_vgpr10
	s_cbranch_execz .LBB179_7
; %bb.10:
	s_load_dwordx2 s[6:7], s[4:5], 0x0
	s_waitcnt lgkmcnt(0)
	v_cmp_gt_i64_e32 vcc, s[6:7], v[11:12]
	s_and_saveexec_b64 s[6:7], vcc
; %bb.11:
	s_mov_b32 s3, 0
	s_or_b64 s[0:1], s[0:1], exec
; %bb.12:
	s_or_b64 exec, exec, s[6:7]
	v_mov_b32_e32 v10, s3
	v_mov_b32_e32 v22, v12
	v_mov_b32_e32 v9, s2
	v_mov_b32_e32 v21, v11
	s_and_b64 exec, exec, s[0:1]
	s_cbranch_execz .LBB179_8
.LBB179_13:
	s_load_dwordx8 s[8:15], s[4:5], 0x30
	v_lshlrev_b64 v[11:12], 3, v[21:22]
	v_and_b32_e32 v0, 63, v0
	s_waitcnt lgkmcnt(0)
	v_mov_b32_e32 v14, s9
	v_add_co_u32_e32 v13, vcc, s8, v11
	v_addc_co_u32_e32 v14, vcc, v14, v12, vcc
	global_load_dwordx2 v[17:18], v[13:14], off
	v_add_co_u32_e32 v13, vcc, 8, v13
	v_addc_co_u32_e32 v14, vcc, 0, v14, vcc
	v_mov_b32_e32 v15, s11
	v_add_co_u32_e32 v11, vcc, s10, v11
	s_cmp_eq_u64 s[10:11], 0
	v_addc_co_u32_e32 v12, vcc, v15, v12, vcc
	s_cselect_b64 vcc, -1, 0
	v_cndmask_b32_e32 v12, v12, v14, vcc
	v_cndmask_b32_e32 v11, v11, v13, vcc
	global_load_dwordx2 v[13:14], v[11:12], off
	s_load_dword s0, s[4:5], 0x8
	s_load_dwordx2 s[6:7], s[4:5], 0x50
	v_mov_b32_e32 v19, s15
	s_waitcnt lgkmcnt(0)
	s_cmp_eq_u32 s0, 1
	s_waitcnt vmcnt(1)
	v_sub_co_u32_e32 v11, vcc, v17, v9
	v_subb_co_u32_e32 v12, vcc, v18, v10, vcc
	v_add_co_u32_e32 v11, vcc, v11, v0
	v_addc_co_u32_e32 v12, vcc, 0, v12, vcc
	v_lshlrev_b64 v[15:16], 7, v[11:12]
	s_waitcnt vmcnt(0)
	v_sub_co_u32_e32 v13, vcc, v13, v9
	v_subb_co_u32_e32 v14, vcc, v14, v10, vcc
	v_cmp_lt_i64_e64 s[0:1], v[11:12], v[13:14]
	v_add_co_u32_e32 v15, vcc, s14, v15
	v_addc_co_u32_e32 v16, vcc, v19, v16, vcc
	s_cbranch_scc1 .LBB179_25
; %bb.14:
	v_mov_b32_e32 v37, 0
	v_mov_b32_e32 v35, 0
	;; [unrolled: 1-line block ×16, first 2 shown]
	s_and_saveexec_b64 s[8:9], s[0:1]
	s_cbranch_execz .LBB179_24
; %bb.15:
	v_or_b32_e32 v19, 64, v0
	v_sub_co_u32_e32 v19, vcc, v19, v9
	v_subb_co_u32_e32 v20, vcc, 0, v10, vcc
	v_add_co_u32_e32 v19, vcc, v19, v17
	v_addc_co_u32_e32 v20, vcc, v20, v18, vcc
	v_cmp_gt_i64_e32 vcc, v[19:20], v[13:14]
	v_not_b32_e32 v24, v17
	v_cndmask_b32_e32 v20, v14, v20, vcc
	v_cndmask_b32_e32 v19, v13, v19, vcc
	v_sub_co_u32_e32 v25, vcc, v9, v0
	v_subbrev_co_u32_e32 v26, vcc, 0, v10, vcc
	v_not_b32_e32 v23, v18
	v_add_co_u32_e32 v24, vcc, v25, v24
	v_addc_co_u32_e32 v23, vcc, v26, v23, vcc
	v_add_co_u32_e32 v25, vcc, v24, v19
	v_addc_co_u32_e32 v26, vcc, v23, v20, vcc
	v_and_b32_e32 v19, 0xc0, v25
	v_mov_b32_e32 v20, 0
	s_mov_b64 s[2:3], 0xc0
	v_cmp_ne_u64_e32 vcc, s[2:3], v[19:20]
	v_mov_b32_e32 v31, 0
	v_mov_b32_e32 v29, 0
	v_mov_b32_e32 v33, 0
	v_mov_b32_e32 v27, 0
	v_mov_b32_e32 v41, 0
	v_mov_b32_e32 v39, 0
	v_mov_b32_e32 v35, 0
	v_mov_b32_e32 v37, 0
	v_mov_b32_e32 v24, v16
	v_mov_b32_e32 v20, v12
	v_mov_b32_e32 v32, 0
	v_mov_b32_e32 v30, 0
	v_mov_b32_e32 v34, 0
	v_mov_b32_e32 v28, 0
	v_mov_b32_e32 v42, 0
	v_mov_b32_e32 v40, 0
	v_mov_b32_e32 v36, 0
	v_mov_b32_e32 v38, 0
	v_mov_b32_e32 v23, v15
	v_mov_b32_e32 v19, v11
	s_and_saveexec_b64 s[10:11], vcc
	s_cbranch_execz .LBB179_19
; %bb.16:
	v_lshrrev_b32_e32 v19, 6, v25
	v_add_u32_e32 v19, 1, v19
	v_and_b32_e32 v23, 3, v19
	v_lshlrev_b64 v[19:20], 3, v[11:12]
	v_mov_b32_e32 v24, s13
	v_add_co_u32_e32 v43, vcc, s12, v19
	v_addc_co_u32_e32 v44, vcc, v24, v20, vcc
	v_sub_co_u32_e32 v45, vcc, 0, v23
	v_mov_b32_e32 v37, 0
	v_mov_b32_e32 v20, v12
	;; [unrolled: 1-line block ×10, first 2 shown]
	s_mov_b64 s[14:15], 0
	v_subb_co_u32_e64 v46, s[2:3], 0, 0, vcc
	v_mov_b32_e32 v38, 0
	s_movk_i32 s16, 0x2000
	v_mov_b32_e32 v19, v11
	v_mov_b32_e32 v36, 0
	;; [unrolled: 1-line block ×9, first 2 shown]
.LBB179_17:                             ; =>This Inner Loop Header: Depth=1
	global_load_dwordx2 v[55:56], v[43:44], off
	global_load_dwordx4 v[47:50], v[23:24], off
	global_load_dwordx4 v[51:54], v[23:24], off offset:32
	v_mov_b32_e32 v57, s7
	v_add_co_u32_e64 v19, s[2:3], 64, v19
	v_addc_co_u32_e64 v20, s[2:3], 0, v20, s[2:3]
	v_add_co_u32_e64 v45, s[2:3], 1, v45
	v_addc_co_u32_e64 v46, s[2:3], 0, v46, s[2:3]
	v_cmp_eq_u64_e64 s[2:3], 0, v[45:46]
	s_or_b64 s[14:15], s[2:3], s[14:15]
	s_waitcnt vmcnt(2)
	v_sub_co_u32_e32 v55, vcc, v55, v9
	v_subb_co_u32_e32 v56, vcc, v56, v10, vcc
	v_lshlrev_b64 v[55:56], 6, v[55:56]
	s_waitcnt vmcnt(1)
	v_cvt_f64_f32_e32 v[59:60], v47
	v_add_co_u32_e32 v61, vcc, s6, v55
	v_addc_co_u32_e32 v62, vcc, v57, v56, vcc
	global_load_dwordx4 v[55:58], v[61:62], off
	v_cvt_f64_f32_e32 v[47:48], v48
	s_waitcnt vmcnt(0)
	v_fma_f64 v[35:36], v[59:60], v[55:56], v[35:36]
	v_fma_f64 v[37:38], v[47:48], v[55:56], v[37:38]
	v_fma_f64 v[47:48], -v[47:48], v[57:58], v[35:36]
	v_cvt_f64_f32_e32 v[35:36], v51
	v_fma_f64 v[59:60], v[59:60], v[57:58], v[37:38]
	v_cvt_f64_f32_e32 v[37:38], v52
	v_fma_f64 v[41:42], v[35:36], v[55:56], v[41:42]
	v_fma_f64 v[39:40], v[37:38], v[55:56], v[39:40]
	v_fma_f64 v[41:42], -v[37:38], v[57:58], v[41:42]
	v_fma_f64 v[39:40], v[35:36], v[57:58], v[39:40]
	global_load_dwordx4 v[35:38], v[23:24], off offset:64
	s_waitcnt vmcnt(0)
	v_cvt_f64_f32_e32 v[51:52], v35
	v_cvt_f64_f32_e32 v[35:36], v36
	;; [unrolled: 1-line block ×4, first 2 shown]
	v_fma_f64 v[33:34], v[51:52], v[55:56], v[33:34]
	v_fma_f64 v[27:28], v[35:36], v[55:56], v[27:28]
	v_fma_f64 v[63:64], -v[35:36], v[57:58], v[33:34]
	global_load_dwordx4 v[33:36], v[23:24], off offset:96
	v_fma_f64 v[51:52], v[51:52], v[57:58], v[27:28]
	s_waitcnt vmcnt(0)
	v_cvt_f64_f32_e32 v[27:28], v33
	v_cvt_f64_f32_e32 v[33:34], v34
	v_cvt_f64_f32_e32 v[67:68], v35
	v_cvt_f64_f32_e32 v[69:70], v36
	v_fma_f64 v[31:32], v[27:28], v[55:56], v[31:32]
	v_fma_f64 v[29:30], v[33:34], v[55:56], v[29:30]
	v_fma_f64 v[55:56], -v[33:34], v[57:58], v[31:32]
	v_fma_f64 v[57:58], v[27:28], v[57:58], v[29:30]
	global_load_dwordx4 v[27:30], v[61:62], off offset:16
	v_cvt_f64_f32_e32 v[31:32], v49
	v_cvt_f64_f32_e32 v[33:34], v50
	;; [unrolled: 1-line block ×4, first 2 shown]
	s_waitcnt vmcnt(0)
	v_fma_f64 v[35:36], v[31:32], v[27:28], v[47:48]
	v_fma_f64 v[47:48], v[33:34], v[27:28], v[59:60]
	v_fma_f64 v[59:60], -v[33:34], v[29:30], v[35:36]
	v_fma_f64 v[47:48], v[31:32], v[29:30], v[47:48]
	v_fma_f64 v[31:32], v[49:50], v[27:28], v[41:42]
	;; [unrolled: 1-line block ×4, first 2 shown]
	v_fma_f64 v[39:40], -v[53:54], v[29:30], v[31:32]
	v_fma_f64 v[41:42], v[49:50], v[29:30], v[33:34]
	v_fma_f64 v[49:50], v[37:38], v[27:28], v[51:52]
	;; [unrolled: 1-line block ×4, first 2 shown]
	global_load_dwordx4 v[31:34], v[23:24], off offset:16
	v_fma_f64 v[51:52], -v[37:38], v[29:30], v[35:36]
	global_load_dwordx4 v[35:38], v[23:24], off offset:48
	v_fma_f64 v[49:50], v[65:66], v[29:30], v[49:50]
	v_fma_f64 v[53:54], -v[69:70], v[29:30], v[53:54]
	v_fma_f64 v[57:58], v[67:68], v[29:30], v[27:28]
	global_load_dwordx4 v[27:30], v[61:62], off offset:32
	s_waitcnt vmcnt(2)
	v_cvt_f64_f32_e32 v[55:56], v31
	v_cvt_f64_f32_e32 v[31:32], v32
	s_waitcnt vmcnt(1)
	v_cvt_f64_f32_e32 v[65:66], v37
	v_cvt_f64_f32_e32 v[67:68], v38
	s_waitcnt vmcnt(0)
	v_fma_f64 v[59:60], v[55:56], v[27:28], v[59:60]
	v_fma_f64 v[47:48], v[31:32], v[27:28], v[47:48]
	v_fma_f64 v[31:32], -v[31:32], v[29:30], v[59:60]
	v_cvt_f64_f32_e32 v[59:60], v35
	v_cvt_f64_f32_e32 v[35:36], v36
	v_fma_f64 v[55:56], v[55:56], v[29:30], v[47:48]
	v_fma_f64 v[39:40], v[59:60], v[27:28], v[39:40]
	;; [unrolled: 1-line block ×3, first 2 shown]
	v_fma_f64 v[63:64], -v[35:36], v[29:30], v[39:40]
	v_fma_f64 v[59:60], v[59:60], v[29:30], v[41:42]
	global_load_dwordx4 v[39:42], v[23:24], off offset:80
	s_waitcnt vmcnt(0)
	v_cvt_f64_f32_e32 v[35:36], v39
	v_cvt_f64_f32_e32 v[39:40], v40
	;; [unrolled: 1-line block ×4, first 2 shown]
	v_fma_f64 v[47:48], v[35:36], v[27:28], v[51:52]
	v_fma_f64 v[49:50], v[39:40], v[27:28], v[49:50]
	v_fma_f64 v[39:40], -v[39:40], v[29:30], v[47:48]
	v_fma_f64 v[51:52], v[35:36], v[29:30], v[49:50]
	global_load_dwordx4 v[47:50], v[23:24], off offset:112
	v_add_co_u32_e32 v23, vcc, s16, v23
	v_addc_co_u32_e32 v24, vcc, 0, v24, vcc
	v_add_co_u32_e32 v43, vcc, 0x200, v43
	v_addc_co_u32_e32 v44, vcc, 0, v44, vcc
	s_waitcnt vmcnt(0)
	v_cvt_f64_f32_e32 v[35:36], v47
	v_cvt_f64_f32_e32 v[47:48], v48
	;; [unrolled: 1-line block ×4, first 2 shown]
	v_fma_f64 v[53:54], v[35:36], v[27:28], v[53:54]
	v_fma_f64 v[27:28], v[47:48], v[27:28], v[57:58]
	v_cvt_f64_f32_e32 v[57:58], v33
	v_cvt_f64_f32_e32 v[33:34], v34
	v_fma_f64 v[47:48], -v[47:48], v[29:30], v[53:54]
	v_fma_f64 v[53:54], v[35:36], v[29:30], v[27:28]
	global_load_dwordx4 v[27:30], v[61:62], off offset:48
	s_waitcnt vmcnt(0)
	v_fma_f64 v[31:32], v[57:58], v[27:28], v[31:32]
	v_fma_f64 v[37:38], v[33:34], v[27:28], v[55:56]
	;; [unrolled: 1-line block ×6, first 2 shown]
	v_fma_f64 v[35:36], -v[33:34], v[29:30], v[31:32]
	v_fma_f64 v[31:32], v[65:66], v[27:28], v[63:64]
	v_fma_f64 v[33:34], v[67:68], v[27:28], v[59:60]
	;; [unrolled: 1-line block ×4, first 2 shown]
	v_fma_f64 v[41:42], -v[67:68], v[29:30], v[31:32]
	v_fma_f64 v[39:40], v[65:66], v[29:30], v[33:34]
	v_fma_f64 v[33:34], -v[71:72], v[29:30], v[55:56]
	v_fma_f64 v[31:32], -v[49:50], v[29:30], v[47:48]
	v_fma_f64 v[29:30], v[73:74], v[29:30], v[53:54]
	s_andn2_b64 exec, exec, s[14:15]
	s_cbranch_execnz .LBB179_17
; %bb.18:
	s_or_b64 exec, exec, s[14:15]
.LBB179_19:
	s_or_b64 exec, exec, s[10:11]
	s_mov_b64 s[2:3], 0xbf
	v_cmp_lt_u64_e32 vcc, s[2:3], v[25:26]
	s_and_saveexec_b64 s[10:11], vcc
	s_cbranch_execz .LBB179_23
; %bb.20:
	v_lshlrev_b64 v[25:26], 3, v[19:20]
	v_mov_b32_e32 v43, s13
	v_add_co_u32_e32 v25, vcc, s12, v25
	v_addc_co_u32_e32 v26, vcc, v43, v26, vcc
	v_add_co_u32_e32 v25, vcc, 0x400, v25
	v_addc_co_u32_e32 v26, vcc, 0, v26, vcc
	s_mov_b64 s[14:15], 0
	v_mov_b32_e32 v43, s7
	s_movk_i32 s16, 0x2000
	s_movk_i32 s17, 0x4000
	;; [unrolled: 1-line block ×3, first 2 shown]
.LBB179_21:                             ; =>This Inner Loop Header: Depth=1
	global_load_dwordx2 v[44:45], v[25:26], off offset:-1024
	s_waitcnt vmcnt(0)
	v_sub_co_u32_e32 v60, vcc, v44, v9
	v_subb_co_u32_e32 v61, vcc, v45, v10, vcc
	global_load_dwordx4 v[44:47], v[23:24], off offset:48
	global_load_dwordx4 v[48:51], v[23:24], off offset:32
	;; [unrolled: 1-line block ×3, first 2 shown]
	global_load_dwordx4 v[56:59], v[23:24], off
	v_lshlrev_b64 v[60:61], 6, v[60:61]
	v_add_co_u32_e32 v78, vcc, s6, v60
	v_addc_co_u32_e32 v79, vcc, v43, v61, vcc
	global_load_dwordx4 v[60:63], v[78:79], off offset:48
	global_load_dwordx4 v[64:67], v[78:79], off offset:32
	;; [unrolled: 1-line block ×3, first 2 shown]
	global_load_dwordx4 v[72:75], v[78:79], off
	s_waitcnt vmcnt(4)
	v_cvt_f64_f32_e32 v[76:77], v56
	v_cvt_f64_f32_e32 v[56:57], v57
	s_waitcnt vmcnt(0)
	v_fma_f64 v[35:36], v[76:77], v[72:73], v[35:36]
	v_fma_f64 v[37:38], v[56:57], v[72:73], v[37:38]
	v_fma_f64 v[35:36], -v[56:57], v[74:75], v[35:36]
	v_fma_f64 v[37:38], v[76:77], v[74:75], v[37:38]
	v_cvt_f64_f32_e32 v[56:57], v58
	v_cvt_f64_f32_e32 v[58:59], v59
	v_fma_f64 v[35:36], v[56:57], v[68:69], v[35:36]
	v_fma_f64 v[37:38], v[58:59], v[68:69], v[37:38]
	v_fma_f64 v[35:36], -v[58:59], v[70:71], v[35:36]
	v_fma_f64 v[37:38], v[56:57], v[70:71], v[37:38]
	v_cvt_f64_f32_e32 v[56:57], v52
	v_cvt_f64_f32_e32 v[52:53], v53
	v_fma_f64 v[35:36], v[56:57], v[64:65], v[35:36]
	v_fma_f64 v[37:38], v[52:53], v[64:65], v[37:38]
	v_fma_f64 v[35:36], -v[52:53], v[66:67], v[35:36]
	v_cvt_f64_f32_e32 v[52:53], v54
	v_fma_f64 v[37:38], v[56:57], v[66:67], v[37:38]
	v_cvt_f64_f32_e32 v[54:55], v55
	v_fma_f64 v[35:36], v[52:53], v[60:61], v[35:36]
	v_fma_f64 v[76:77], -v[54:55], v[62:63], v[35:36]
	v_fma_f64 v[35:36], v[54:55], v[60:61], v[37:38]
	v_cvt_f64_f32_e32 v[37:38], v49
	v_fma_f64 v[78:79], v[52:53], v[62:63], v[35:36]
	v_cvt_f64_f32_e32 v[35:36], v48
	v_fma_f64 v[41:42], v[35:36], v[72:73], v[41:42]
	v_fma_f64 v[41:42], -v[37:38], v[74:75], v[41:42]
	v_fma_f64 v[37:38], v[37:38], v[72:73], v[39:40]
	v_cvt_f64_f32_e32 v[39:40], v51
	v_fma_f64 v[35:36], v[35:36], v[74:75], v[37:38]
	v_cvt_f64_f32_e32 v[37:38], v50
	v_fma_f64 v[41:42], v[37:38], v[68:69], v[41:42]
	v_fma_f64 v[35:36], v[39:40], v[68:69], v[35:36]
	v_fma_f64 v[41:42], -v[39:40], v[70:71], v[41:42]
	v_cvt_f64_f32_e32 v[39:40], v45
	v_fma_f64 v[35:36], v[37:38], v[70:71], v[35:36]
	v_cvt_f64_f32_e32 v[37:38], v44
	v_fma_f64 v[41:42], v[37:38], v[64:65], v[41:42]
	v_fma_f64 v[35:36], v[39:40], v[64:65], v[35:36]
	v_fma_f64 v[41:42], -v[39:40], v[66:67], v[41:42]
	v_cvt_f64_f32_e32 v[39:40], v47
	v_fma_f64 v[35:36], v[37:38], v[66:67], v[35:36]
	v_cvt_f64_f32_e32 v[37:38], v46
	v_fma_f64 v[41:42], v[37:38], v[60:61], v[41:42]
	v_fma_f64 v[35:36], v[39:40], v[60:61], v[35:36]
	v_fma_f64 v[80:81], -v[39:40], v[62:63], v[41:42]
	v_fma_f64 v[82:83], v[37:38], v[62:63], v[35:36]
	global_load_dwordx4 v[35:38], v[23:24], off offset:112
	global_load_dwordx4 v[39:42], v[23:24], off offset:96
	global_load_dwordx4 v[44:47], v[23:24], off offset:80
	global_load_dwordx4 v[48:51], v[23:24], off offset:64
	s_waitcnt vmcnt(0)
	v_cvt_f64_f32_e32 v[52:53], v48
	v_cvt_f64_f32_e32 v[48:49], v49
	v_fma_f64 v[33:34], v[52:53], v[72:73], v[33:34]
	v_fma_f64 v[27:28], v[48:49], v[72:73], v[27:28]
	v_fma_f64 v[33:34], -v[48:49], v[74:75], v[33:34]
	v_fma_f64 v[27:28], v[52:53], v[74:75], v[27:28]
	v_cvt_f64_f32_e32 v[48:49], v50
	v_cvt_f64_f32_e32 v[50:51], v51
	v_fma_f64 v[33:34], v[48:49], v[68:69], v[33:34]
	v_fma_f64 v[27:28], v[50:51], v[68:69], v[27:28]
	v_fma_f64 v[33:34], -v[50:51], v[70:71], v[33:34]
	v_fma_f64 v[27:28], v[48:49], v[70:71], v[27:28]
	;; [unrolled: 6-line block ×3, first 2 shown]
	v_cvt_f64_f32_e32 v[44:45], v46
	v_cvt_f64_f32_e32 v[46:47], v47
	v_fma_f64 v[33:34], v[44:45], v[60:61], v[33:34]
	v_fma_f64 v[27:28], v[46:47], v[60:61], v[27:28]
	v_fma_f64 v[84:85], -v[46:47], v[62:63], v[33:34]
	v_cvt_f64_f32_e32 v[33:34], v40
	v_fma_f64 v[86:87], v[44:45], v[62:63], v[27:28]
	v_cvt_f64_f32_e32 v[27:28], v39
	v_fma_f64 v[29:30], v[33:34], v[72:73], v[29:30]
	v_fma_f64 v[31:32], v[27:28], v[72:73], v[31:32]
	v_fma_f64 v[27:28], v[27:28], v[74:75], v[29:30]
	v_cvt_f64_f32_e32 v[29:30], v41
	v_fma_f64 v[31:32], -v[33:34], v[74:75], v[31:32]
	v_cvt_f64_f32_e32 v[33:34], v42
	v_fma_f64 v[27:28], v[33:34], v[68:69], v[27:28]
	v_fma_f64 v[31:32], v[29:30], v[68:69], v[31:32]
	v_fma_f64 v[27:28], v[29:30], v[70:71], v[27:28]
	v_cvt_f64_f32_e32 v[29:30], v35
	v_fma_f64 v[31:32], -v[33:34], v[70:71], v[31:32]
	;; [unrolled: 6-line block ×3, first 2 shown]
	v_cvt_f64_f32_e32 v[33:34], v38
	v_fma_f64 v[27:28], v[33:34], v[60:61], v[27:28]
	v_fma_f64 v[31:32], v[29:30], v[60:61], v[31:32]
	;; [unrolled: 1-line block ×3, first 2 shown]
	global_load_dwordx2 v[27:28], v[25:26], off offset:-512
	v_fma_f64 v[64:65], -v[33:34], v[62:63], v[31:32]
	v_add_co_u32_e32 v62, vcc, s16, v23
	v_addc_co_u32_e32 v63, vcc, 0, v24, vcc
	s_waitcnt vmcnt(0)
	v_sub_co_u32_e32 v44, vcc, v27, v9
	v_subb_co_u32_e32 v45, vcc, v28, v10, vcc
	v_lshlrev_b64 v[44:45], 6, v[44:45]
	global_load_dwordx4 v[27:30], v[62:63], off
	global_load_dwordx4 v[31:34], v[62:63], off offset:48
	global_load_dwordx4 v[35:38], v[62:63], off offset:32
	;; [unrolled: 1-line block ×3, first 2 shown]
	v_add_co_u32_e32 v68, vcc, s6, v44
	v_addc_co_u32_e32 v69, vcc, v43, v45, vcc
	global_load_dwordx4 v[44:47], v[68:69], off offset:48
	global_load_dwordx4 v[48:51], v[68:69], off offset:32
	global_load_dwordx4 v[52:55], v[68:69], off offset:16
	global_load_dwordx4 v[56:59], v[68:69], off
	s_waitcnt vmcnt(7)
	v_cvt_f64_f32_e32 v[66:67], v27
	v_cvt_f64_f32_e32 v[27:28], v28
	s_waitcnt vmcnt(0)
	v_fma_f64 v[68:69], v[66:67], v[56:57], v[76:77]
	v_fma_f64 v[68:69], -v[27:28], v[58:59], v[68:69]
	v_fma_f64 v[27:28], v[27:28], v[56:57], v[78:79]
	v_fma_f64 v[27:28], v[66:67], v[58:59], v[27:28]
	v_cvt_f64_f32_e32 v[66:67], v29
	v_cvt_f64_f32_e32 v[29:30], v30
	v_fma_f64 v[68:69], v[66:67], v[52:53], v[68:69]
	v_fma_f64 v[27:28], v[29:30], v[52:53], v[27:28]
	v_fma_f64 v[68:69], -v[29:30], v[54:55], v[68:69]
	v_cvt_f64_f32_e32 v[29:30], v39
	v_cvt_f64_f32_e32 v[39:40], v40
	v_fma_f64 v[27:28], v[66:67], v[54:55], v[27:28]
	v_fma_f64 v[66:67], v[29:30], v[48:49], v[68:69]
	;; [unrolled: 1-line block ×3, first 2 shown]
	v_fma_f64 v[66:67], -v[39:40], v[50:51], v[66:67]
	v_cvt_f64_f32_e32 v[39:40], v42
	v_fma_f64 v[27:28], v[29:30], v[50:51], v[27:28]
	v_cvt_f64_f32_e32 v[29:30], v41
	v_fma_f64 v[41:42], v[29:30], v[44:45], v[66:67]
	v_fma_f64 v[27:28], v[39:40], v[44:45], v[27:28]
	v_fma_f64 v[66:67], -v[39:40], v[46:47], v[41:42]
	v_fma_f64 v[68:69], v[29:30], v[46:47], v[27:28]
	v_cvt_f64_f32_e32 v[27:28], v35
	v_cvt_f64_f32_e32 v[29:30], v36
	v_fma_f64 v[35:36], v[27:28], v[56:57], v[80:81]
	v_fma_f64 v[35:36], -v[29:30], v[58:59], v[35:36]
	v_fma_f64 v[29:30], v[29:30], v[56:57], v[82:83]
	v_fma_f64 v[27:28], v[27:28], v[58:59], v[29:30]
	v_cvt_f64_f32_e32 v[29:30], v37
	v_cvt_f64_f32_e32 v[37:38], v38
	v_fma_f64 v[35:36], v[29:30], v[52:53], v[35:36]
	v_fma_f64 v[27:28], v[37:38], v[52:53], v[27:28]
	v_fma_f64 v[35:36], -v[37:38], v[54:55], v[35:36]
	v_fma_f64 v[27:28], v[29:30], v[54:55], v[27:28]
	v_cvt_f64_f32_e32 v[29:30], v31
	v_cvt_f64_f32_e32 v[31:32], v32
	v_fma_f64 v[35:36], v[29:30], v[48:49], v[35:36]
	v_fma_f64 v[27:28], v[31:32], v[48:49], v[27:28]
	v_fma_f64 v[35:36], -v[31:32], v[50:51], v[35:36]
	v_cvt_f64_f32_e32 v[31:32], v34
	v_fma_f64 v[27:28], v[29:30], v[50:51], v[27:28]
	v_cvt_f64_f32_e32 v[29:30], v33
	v_fma_f64 v[33:34], v[29:30], v[44:45], v[35:36]
	v_fma_f64 v[27:28], v[31:32], v[44:45], v[27:28]
	v_fma_f64 v[70:71], -v[31:32], v[46:47], v[33:34]
	v_fma_f64 v[72:73], v[29:30], v[46:47], v[27:28]
	global_load_dwordx4 v[27:30], v[62:63], off offset:112
	global_load_dwordx4 v[31:34], v[62:63], off offset:96
	;; [unrolled: 1-line block ×4, first 2 shown]
	s_waitcnt vmcnt(0)
	v_cvt_f64_f32_e32 v[62:63], v39
	v_cvt_f64_f32_e32 v[39:40], v40
	v_fma_f64 v[74:75], v[62:63], v[56:57], v[84:85]
	v_fma_f64 v[74:75], -v[39:40], v[58:59], v[74:75]
	v_fma_f64 v[39:40], v[39:40], v[56:57], v[86:87]
	v_fma_f64 v[39:40], v[62:63], v[58:59], v[39:40]
	v_cvt_f64_f32_e32 v[62:63], v41
	v_cvt_f64_f32_e32 v[41:42], v42
	v_fma_f64 v[74:75], v[62:63], v[52:53], v[74:75]
	v_fma_f64 v[39:40], v[41:42], v[52:53], v[39:40]
	v_fma_f64 v[74:75], -v[41:42], v[54:55], v[74:75]
	v_cvt_f64_f32_e32 v[41:42], v35
	v_cvt_f64_f32_e32 v[35:36], v36
	v_fma_f64 v[39:40], v[62:63], v[54:55], v[39:40]
	v_fma_f64 v[62:63], v[41:42], v[48:49], v[74:75]
	v_fma_f64 v[62:63], -v[35:36], v[50:51], v[62:63]
	v_fma_f64 v[35:36], v[35:36], v[48:49], v[39:40]
	v_cvt_f64_f32_e32 v[39:40], v37
	v_cvt_f64_f32_e32 v[37:38], v38
	v_fma_f64 v[35:36], v[41:42], v[50:51], v[35:36]
	v_fma_f64 v[41:42], v[39:40], v[44:45], v[62:63]
	;; [unrolled: 1-line block ×3, first 2 shown]
	v_fma_f64 v[74:75], -v[37:38], v[46:47], v[41:42]
	v_fma_f64 v[76:77], v[39:40], v[46:47], v[35:36]
	v_cvt_f64_f32_e32 v[35:36], v31
	v_cvt_f64_f32_e32 v[31:32], v32
	v_fma_f64 v[37:38], v[35:36], v[56:57], v[64:65]
	v_fma_f64 v[37:38], -v[31:32], v[58:59], v[37:38]
	v_fma_f64 v[31:32], v[31:32], v[56:57], v[60:61]
	v_fma_f64 v[31:32], v[35:36], v[58:59], v[31:32]
	v_cvt_f64_f32_e32 v[35:36], v33
	v_cvt_f64_f32_e32 v[33:34], v34
	v_fma_f64 v[37:38], v[35:36], v[52:53], v[37:38]
	v_fma_f64 v[31:32], v[33:34], v[52:53], v[31:32]
	v_fma_f64 v[37:38], -v[33:34], v[54:55], v[37:38]
	v_cvt_f64_f32_e32 v[33:34], v27
	v_cvt_f64_f32_e32 v[27:28], v28
	v_fma_f64 v[31:32], v[35:36], v[54:55], v[31:32]
	v_fma_f64 v[35:36], v[33:34], v[48:49], v[37:38]
	v_fma_f64 v[35:36], -v[27:28], v[50:51], v[35:36]
	v_fma_f64 v[27:28], v[27:28], v[48:49], v[31:32]
	v_cvt_f64_f32_e32 v[31:32], v29
	v_cvt_f64_f32_e32 v[29:30], v30
	v_fma_f64 v[27:28], v[33:34], v[50:51], v[27:28]
	v_fma_f64 v[33:34], v[31:32], v[44:45], v[35:36]
	;; [unrolled: 1-line block ×3, first 2 shown]
	v_fma_f64 v[78:79], -v[29:30], v[46:47], v[33:34]
	v_fma_f64 v[80:81], v[31:32], v[46:47], v[27:28]
	global_load_dwordx2 v[27:28], v[25:26], off
	s_waitcnt vmcnt(0)
	v_sub_co_u32_e32 v44, vcc, v27, v9
	v_subb_co_u32_e32 v45, vcc, v28, v10, vcc
	v_add_co_u32_e32 v82, vcc, s17, v23
	v_lshlrev_b64 v[44:45], 6, v[44:45]
	v_addc_co_u32_e32 v83, vcc, 0, v24, vcc
	v_add_co_u32_e32 v62, vcc, s6, v44
	global_load_dwordx4 v[27:30], v[82:83], off
	global_load_dwordx4 v[31:34], v[82:83], off offset:48
	global_load_dwordx4 v[39:42], v[82:83], off offset:32
	;; [unrolled: 1-line block ×3, first 2 shown]
	v_addc_co_u32_e32 v63, vcc, v43, v45, vcc
	global_load_dwordx4 v[44:47], v[62:63], off offset:48
	global_load_dwordx4 v[48:51], v[62:63], off offset:32
	;; [unrolled: 1-line block ×3, first 2 shown]
	global_load_dwordx4 v[56:59], v[62:63], off
	s_waitcnt vmcnt(7)
	v_cvt_f64_f32_e32 v[60:61], v27
	v_cvt_f64_f32_e32 v[27:28], v28
	s_waitcnt vmcnt(0)
	v_fma_f64 v[62:63], v[60:61], v[56:57], v[66:67]
	v_fma_f64 v[62:63], -v[27:28], v[58:59], v[62:63]
	v_fma_f64 v[27:28], v[27:28], v[56:57], v[68:69]
	v_fma_f64 v[27:28], v[60:61], v[58:59], v[27:28]
	v_cvt_f64_f32_e32 v[60:61], v29
	v_cvt_f64_f32_e32 v[29:30], v30
	v_fma_f64 v[62:63], v[60:61], v[52:53], v[62:63]
	v_fma_f64 v[27:28], v[29:30], v[52:53], v[27:28]
	v_fma_f64 v[62:63], -v[29:30], v[54:55], v[62:63]
	v_cvt_f64_f32_e32 v[29:30], v35
	v_cvt_f64_f32_e32 v[35:36], v36
	v_fma_f64 v[27:28], v[60:61], v[54:55], v[27:28]
	v_fma_f64 v[60:61], v[29:30], v[48:49], v[62:63]
	;; [unrolled: 1-line block ×3, first 2 shown]
	v_fma_f64 v[60:61], -v[35:36], v[50:51], v[60:61]
	v_fma_f64 v[27:28], v[29:30], v[50:51], v[27:28]
	v_cvt_f64_f32_e32 v[29:30], v37
	v_cvt_f64_f32_e32 v[37:38], v38
	v_fma_f64 v[35:36], v[29:30], v[44:45], v[60:61]
	v_fma_f64 v[27:28], v[37:38], v[44:45], v[27:28]
	v_fma_f64 v[35:36], -v[37:38], v[46:47], v[35:36]
	v_fma_f64 v[37:38], v[29:30], v[46:47], v[27:28]
	v_cvt_f64_f32_e32 v[27:28], v39
	v_cvt_f64_f32_e32 v[29:30], v40
	v_fma_f64 v[39:40], v[27:28], v[56:57], v[70:71]
	v_fma_f64 v[39:40], -v[29:30], v[58:59], v[39:40]
	v_fma_f64 v[29:30], v[29:30], v[56:57], v[72:73]
	v_fma_f64 v[27:28], v[27:28], v[58:59], v[29:30]
	v_cvt_f64_f32_e32 v[29:30], v41
	v_cvt_f64_f32_e32 v[41:42], v42
	v_fma_f64 v[39:40], v[29:30], v[52:53], v[39:40]
	v_fma_f64 v[27:28], v[41:42], v[52:53], v[27:28]
	v_fma_f64 v[39:40], -v[41:42], v[54:55], v[39:40]
	v_fma_f64 v[27:28], v[29:30], v[54:55], v[27:28]
	v_cvt_f64_f32_e32 v[29:30], v31
	v_cvt_f64_f32_e32 v[31:32], v32
	v_fma_f64 v[39:40], v[29:30], v[48:49], v[39:40]
	v_fma_f64 v[27:28], v[31:32], v[48:49], v[27:28]
	v_fma_f64 v[39:40], -v[31:32], v[50:51], v[39:40]
	v_cvt_f64_f32_e32 v[31:32], v34
	v_fma_f64 v[27:28], v[29:30], v[50:51], v[27:28]
	v_cvt_f64_f32_e32 v[29:30], v33
	v_fma_f64 v[33:34], v[29:30], v[44:45], v[39:40]
	v_fma_f64 v[27:28], v[31:32], v[44:45], v[27:28]
	v_fma_f64 v[39:40], -v[31:32], v[46:47], v[33:34]
	v_fma_f64 v[41:42], v[29:30], v[46:47], v[27:28]
	global_load_dwordx4 v[29:32], v[82:83], off offset:112
	global_load_dwordx4 v[60:63], v[82:83], off offset:96
	;; [unrolled: 1-line block ×4, first 2 shown]
	s_waitcnt vmcnt(0)
	v_cvt_f64_f32_e32 v[27:28], v68
	v_cvt_f64_f32_e32 v[33:34], v69
	v_fma_f64 v[68:69], v[27:28], v[56:57], v[74:75]
	v_fma_f64 v[68:69], -v[33:34], v[58:59], v[68:69]
	v_fma_f64 v[33:34], v[33:34], v[56:57], v[76:77]
	v_fma_f64 v[27:28], v[27:28], v[58:59], v[33:34]
	v_cvt_f64_f32_e32 v[33:34], v70
	v_cvt_f64_f32_e32 v[70:71], v71
	v_fma_f64 v[68:69], v[33:34], v[52:53], v[68:69]
	v_fma_f64 v[27:28], v[70:71], v[52:53], v[27:28]
	v_fma_f64 v[68:69], -v[70:71], v[54:55], v[68:69]
	v_fma_f64 v[27:28], v[33:34], v[54:55], v[27:28]
	v_cvt_f64_f32_e32 v[33:34], v64
	v_cvt_f64_f32_e32 v[64:65], v65
	v_fma_f64 v[68:69], v[33:34], v[48:49], v[68:69]
	v_fma_f64 v[27:28], v[64:65], v[48:49], v[27:28]
	v_fma_f64 v[68:69], -v[64:65], v[50:51], v[68:69]
	v_cvt_f64_f32_e32 v[64:65], v66
	v_cvt_f64_f32_e32 v[66:67], v67
	v_fma_f64 v[33:34], v[33:34], v[50:51], v[27:28]
	v_fma_f64 v[27:28], v[64:65], v[44:45], v[68:69]
	;; [unrolled: 1-line block ×3, first 2 shown]
	v_fma_f64 v[27:28], -v[66:67], v[46:47], v[27:28]
	v_fma_f64 v[33:34], v[64:65], v[46:47], v[33:34]
	v_cvt_f64_f32_e32 v[64:65], v60
	v_cvt_f64_f32_e32 v[60:61], v61
	v_fma_f64 v[66:67], v[64:65], v[56:57], v[78:79]
	v_fma_f64 v[56:57], v[60:61], v[56:57], v[80:81]
	v_fma_f64 v[66:67], -v[60:61], v[58:59], v[66:67]
	v_fma_f64 v[56:57], v[64:65], v[58:59], v[56:57]
	v_cvt_f64_f32_e32 v[58:59], v62
	v_cvt_f64_f32_e32 v[60:61], v63
	v_fma_f64 v[62:63], v[58:59], v[52:53], v[66:67]
	v_fma_f64 v[52:53], v[60:61], v[52:53], v[56:57]
	v_fma_f64 v[62:63], -v[60:61], v[54:55], v[62:63]
	v_fma_f64 v[52:53], v[58:59], v[54:55], v[52:53]
	v_cvt_f64_f32_e32 v[54:55], v29
	v_cvt_f64_f32_e32 v[29:30], v30
	v_fma_f64 v[56:57], v[54:55], v[48:49], v[62:63]
	v_fma_f64 v[56:57], -v[29:30], v[50:51], v[56:57]
	v_fma_f64 v[29:30], v[29:30], v[48:49], v[52:53]
	v_fma_f64 v[48:49], v[54:55], v[50:51], v[29:30]
	v_cvt_f64_f32_e32 v[50:51], v31
	v_cvt_f64_f32_e32 v[31:32], v32
	v_fma_f64 v[29:30], v[50:51], v[44:45], v[56:57]
	v_fma_f64 v[29:30], -v[31:32], v[46:47], v[29:30]
	v_fma_f64 v[31:32], v[31:32], v[44:45], v[48:49]
	global_load_dwordx2 v[44:45], v[25:26], off offset:512
	v_fma_f64 v[31:32], v[50:51], v[46:47], v[31:32]
	s_waitcnt vmcnt(0)
	v_sub_co_u32_e32 v60, vcc, v44, v9
	v_subb_co_u32_e32 v61, vcc, v45, v10, vcc
	v_add_co_u32_e32 v76, vcc, s18, v23
	v_lshlrev_b64 v[60:61], 6, v[60:61]
	v_addc_co_u32_e32 v77, vcc, 0, v24, vcc
	v_add_co_u32_e32 v80, vcc, s6, v60
	global_load_dwordx4 v[44:47], v[76:77], off
	global_load_dwordx4 v[48:51], v[76:77], off offset:48
	global_load_dwordx4 v[52:55], v[76:77], off offset:32
	;; [unrolled: 1-line block ×3, first 2 shown]
	v_addc_co_u32_e32 v81, vcc, v43, v61, vcc
	global_load_dwordx4 v[60:63], v[80:81], off offset:48
	global_load_dwordx4 v[64:67], v[80:81], off offset:32
	global_load_dwordx4 v[68:71], v[80:81], off offset:16
	global_load_dwordx4 v[72:75], v[80:81], off
	v_add_co_u32_e32 v19, vcc, 0x100, v19
	v_addc_co_u32_e32 v20, vcc, 0, v20, vcc
	v_add_co_u32_e32 v25, vcc, 0x800, v25
	v_addc_co_u32_e32 v26, vcc, 0, v26, vcc
	v_cmp_ge_i64_e64 s[2:3], v[19:20], v[13:14]
	v_add_co_u32_e32 v23, vcc, 0x8000, v23
	v_addc_co_u32_e32 v24, vcc, 0, v24, vcc
	s_or_b64 s[14:15], s[2:3], s[14:15]
	s_waitcnt vmcnt(7)
	v_cvt_f64_f32_e32 v[78:79], v44
	v_cvt_f64_f32_e32 v[44:45], v45
	s_waitcnt vmcnt(0)
	v_fma_f64 v[37:38], v[44:45], v[72:73], v[37:38]
	v_fma_f64 v[35:36], v[78:79], v[72:73], v[35:36]
	v_fma_f64 v[37:38], v[78:79], v[74:75], v[37:38]
	v_fma_f64 v[35:36], -v[44:45], v[74:75], v[35:36]
	v_cvt_f64_f32_e32 v[44:45], v46
	v_cvt_f64_f32_e32 v[46:47], v47
	v_fma_f64 v[37:38], v[46:47], v[68:69], v[37:38]
	v_fma_f64 v[35:36], v[44:45], v[68:69], v[35:36]
	v_fma_f64 v[37:38], v[44:45], v[70:71], v[37:38]
	v_fma_f64 v[35:36], -v[46:47], v[70:71], v[35:36]
	v_cvt_f64_f32_e32 v[46:47], v57
	v_cvt_f64_f32_e32 v[44:45], v56
	;; [unrolled: 6-line block ×3, first 2 shown]
	v_fma_f64 v[37:38], v[46:47], v[60:61], v[37:38]
	v_fma_f64 v[35:36], v[44:45], v[60:61], v[35:36]
	v_fma_f64 v[37:38], v[44:45], v[62:63], v[37:38]
	v_cvt_f64_f32_e32 v[44:45], v52
	v_fma_f64 v[35:36], -v[46:47], v[62:63], v[35:36]
	v_cvt_f64_f32_e32 v[46:47], v53
	v_fma_f64 v[39:40], v[44:45], v[72:73], v[39:40]
	v_fma_f64 v[41:42], v[46:47], v[72:73], v[41:42]
	v_fma_f64 v[39:40], -v[46:47], v[74:75], v[39:40]
	v_cvt_f64_f32_e32 v[46:47], v55
	v_fma_f64 v[41:42], v[44:45], v[74:75], v[41:42]
	v_cvt_f64_f32_e32 v[44:45], v54
	v_fma_f64 v[39:40], v[44:45], v[68:69], v[39:40]
	v_fma_f64 v[41:42], v[46:47], v[68:69], v[41:42]
	v_fma_f64 v[39:40], -v[46:47], v[70:71], v[39:40]
	v_cvt_f64_f32_e32 v[46:47], v49
	v_fma_f64 v[41:42], v[44:45], v[70:71], v[41:42]
	v_cvt_f64_f32_e32 v[44:45], v48
	v_cvt_f64_f32_e32 v[48:49], v51
	v_fma_f64 v[39:40], v[44:45], v[64:65], v[39:40]
	v_fma_f64 v[41:42], v[46:47], v[64:65], v[41:42]
	v_fma_f64 v[39:40], -v[46:47], v[66:67], v[39:40]
	v_cvt_f64_f32_e32 v[46:47], v50
	v_fma_f64 v[44:45], v[44:45], v[66:67], v[41:42]
	v_fma_f64 v[39:40], v[46:47], v[60:61], v[39:40]
	v_fma_f64 v[41:42], -v[48:49], v[62:63], v[39:40]
	v_fma_f64 v[39:40], v[48:49], v[60:61], v[44:45]
	v_fma_f64 v[39:40], v[46:47], v[62:63], v[39:40]
	global_load_dwordx4 v[44:47], v[76:77], off offset:112
	global_load_dwordx4 v[48:51], v[76:77], off offset:96
	;; [unrolled: 1-line block ×4, first 2 shown]
	s_waitcnt vmcnt(0)
	v_cvt_f64_f32_e32 v[76:77], v56
	v_cvt_f64_f32_e32 v[56:57], v57
	v_fma_f64 v[27:28], v[76:77], v[72:73], v[27:28]
	v_fma_f64 v[33:34], v[56:57], v[72:73], v[33:34]
	v_fma_f64 v[27:28], -v[56:57], v[74:75], v[27:28]
	v_fma_f64 v[33:34], v[76:77], v[74:75], v[33:34]
	v_cvt_f64_f32_e32 v[56:57], v58
	v_cvt_f64_f32_e32 v[58:59], v59
	v_fma_f64 v[27:28], v[56:57], v[68:69], v[27:28]
	v_fma_f64 v[33:34], v[58:59], v[68:69], v[33:34]
	v_fma_f64 v[27:28], -v[58:59], v[70:71], v[27:28]
	v_fma_f64 v[33:34], v[56:57], v[70:71], v[33:34]
	;; [unrolled: 6-line block ×3, first 2 shown]
	v_cvt_f64_f32_e32 v[56:57], v54
	v_cvt_f64_f32_e32 v[54:55], v55
	v_fma_f64 v[27:28], v[56:57], v[60:61], v[27:28]
	v_fma_f64 v[33:34], -v[54:55], v[62:63], v[27:28]
	v_fma_f64 v[27:28], v[54:55], v[60:61], v[52:53]
	v_cvt_f64_f32_e32 v[52:53], v48
	v_cvt_f64_f32_e32 v[48:49], v49
	v_fma_f64 v[29:30], v[52:53], v[72:73], v[29:30]
	v_fma_f64 v[31:32], v[48:49], v[72:73], v[31:32]
	;; [unrolled: 1-line block ×3, first 2 shown]
	v_fma_f64 v[29:30], -v[48:49], v[74:75], v[29:30]
	v_fma_f64 v[31:32], v[52:53], v[74:75], v[31:32]
	v_cvt_f64_f32_e32 v[48:49], v50
	v_cvt_f64_f32_e32 v[50:51], v51
	v_fma_f64 v[29:30], v[48:49], v[68:69], v[29:30]
	v_fma_f64 v[31:32], v[50:51], v[68:69], v[31:32]
	v_fma_f64 v[29:30], -v[50:51], v[70:71], v[29:30]
	v_fma_f64 v[31:32], v[48:49], v[70:71], v[31:32]
	v_cvt_f64_f32_e32 v[48:49], v44
	v_cvt_f64_f32_e32 v[44:45], v45
	v_fma_f64 v[29:30], v[48:49], v[64:65], v[29:30]
	v_fma_f64 v[31:32], v[44:45], v[64:65], v[31:32]
	v_fma_f64 v[29:30], -v[44:45], v[66:67], v[29:30]
	v_fma_f64 v[44:45], v[48:49], v[66:67], v[31:32]
	v_cvt_f64_f32_e32 v[48:49], v46
	v_cvt_f64_f32_e32 v[46:47], v47
	v_fma_f64 v[29:30], v[48:49], v[60:61], v[29:30]
	v_fma_f64 v[31:32], -v[46:47], v[62:63], v[29:30]
	v_fma_f64 v[29:30], v[46:47], v[60:61], v[44:45]
	v_fma_f64 v[29:30], v[48:49], v[62:63], v[29:30]
	s_andn2_b64 exec, exec, s[14:15]
	s_cbranch_execnz .LBB179_21
; %bb.22:
	s_or_b64 exec, exec, s[14:15]
.LBB179_23:
	s_or_b64 exec, exec, s[10:11]
.LBB179_24:
	s_or_b64 exec, exec, s[8:9]
	s_cbranch_execz .LBB179_26
	s_branch .LBB179_37
.LBB179_25:
                                        ; implicit-def: $vgpr37_vgpr38
                                        ; implicit-def: $vgpr35_vgpr36
                                        ; implicit-def: $vgpr39_vgpr40
                                        ; implicit-def: $vgpr41_vgpr42
                                        ; implicit-def: $vgpr27_vgpr28
                                        ; implicit-def: $vgpr33_vgpr34
                                        ; implicit-def: $vgpr29_vgpr30
                                        ; implicit-def: $vgpr31_vgpr32
.LBB179_26:
	v_mov_b32_e32 v37, 0
	v_mov_b32_e32 v35, 0
	;; [unrolled: 1-line block ×16, first 2 shown]
	s_and_saveexec_b64 s[2:3], s[0:1]
	s_cbranch_execz .LBB179_36
; %bb.27:
	v_or_b32_e32 v19, 64, v0
	v_sub_co_u32_e32 v19, vcc, v19, v9
	v_subb_co_u32_e32 v20, vcc, 0, v10, vcc
	v_add_co_u32_e32 v19, vcc, v19, v17
	v_addc_co_u32_e32 v20, vcc, v20, v18, vcc
	v_cmp_gt_i64_e32 vcc, v[19:20], v[13:14]
	v_not_b32_e32 v17, v17
	v_cndmask_b32_e32 v20, v14, v20, vcc
	v_cndmask_b32_e32 v19, v13, v19, vcc
	v_sub_co_u32_e32 v23, vcc, v9, v0
	v_subbrev_co_u32_e32 v24, vcc, 0, v10, vcc
	v_not_b32_e32 v18, v18
	v_add_co_u32_e32 v17, vcc, v23, v17
	v_addc_co_u32_e32 v18, vcc, v24, v18, vcc
	v_add_co_u32_e32 v17, vcc, v17, v19
	v_addc_co_u32_e32 v18, vcc, v18, v20, vcc
	v_and_b32_e32 v19, 0xc0, v17
	v_mov_b32_e32 v20, 0
	s_mov_b64 s[0:1], 0xc0
	v_cmp_ne_u64_e32 vcc, s[0:1], v[19:20]
	v_mov_b32_e32 v31, 0
	v_mov_b32_e32 v29, 0
	;; [unrolled: 1-line block ×16, first 2 shown]
	s_and_saveexec_b64 s[0:1], vcc
	s_cbranch_execz .LBB179_31
; %bb.28:
	v_lshrrev_b32_e32 v19, 6, v17
	v_add_u32_e32 v19, 1, v19
	v_and_b32_e32 v23, 3, v19
	v_lshlrev_b64 v[19:20], 3, v[11:12]
	v_mov_b32_e32 v24, s13
	v_add_co_u32_e32 v19, vcc, s12, v19
	v_addc_co_u32_e32 v20, vcc, v24, v20, vcc
	v_sub_co_u32_e32 v23, vcc, 0, v23
	v_subb_co_u32_e64 v24, s[10:11], 0, 0, vcc
	v_mov_b32_e32 v37, 0
	v_mov_b32_e32 v35, 0
	;; [unrolled: 1-line block ×8, first 2 shown]
	s_mov_b64 s[8:9], 0
	v_mov_b32_e32 v38, 0
	v_mov_b32_e32 v36, 0
	;; [unrolled: 1-line block ×8, first 2 shown]
	s_movk_i32 s10, 0x2000
.LBB179_29:                             ; =>This Inner Loop Header: Depth=1
	global_load_dwordx2 v[25:26], v[19:20], off
	global_load_dwordx4 v[43:46], v[15:16], off offset:48
	global_load_dwordx4 v[47:50], v[15:16], off offset:32
	;; [unrolled: 1-line block ×3, first 2 shown]
	global_load_dwordx4 v[55:58], v[15:16], off
	v_mov_b32_e32 v59, s7
	s_waitcnt vmcnt(4)
	v_sub_co_u32_e32 v25, vcc, v25, v9
	v_subb_co_u32_e32 v26, vcc, v26, v10, vcc
	v_lshlrev_b64 v[25:26], 6, v[25:26]
	s_waitcnt vmcnt(0)
	v_cvt_f64_f32_e32 v[75:76], v55
	v_add_co_u32_e32 v25, vcc, s6, v25
	v_addc_co_u32_e32 v26, vcc, v59, v26, vcc
	global_load_dwordx4 v[59:62], v[25:26], off offset:48
	global_load_dwordx4 v[63:66], v[25:26], off offset:32
	;; [unrolled: 1-line block ×3, first 2 shown]
	global_load_dwordx4 v[71:74], v[25:26], off
	v_cvt_f64_f32_e32 v[55:56], v56
	s_waitcnt vmcnt(0)
	v_fma_f64 v[25:26], v[75:76], v[71:72], v[35:36]
	v_fma_f64 v[35:36], v[55:56], v[71:72], v[37:38]
	v_cvt_f64_f32_e32 v[37:38], v57
	v_fma_f64 v[41:42], v[37:38], v[71:72], v[41:42]
	v_fma_f64 v[25:26], -v[55:56], v[73:74], v[25:26]
	v_cvt_f64_f32_e32 v[55:56], v58
	v_fma_f64 v[35:36], v[75:76], v[73:74], v[35:36]
	v_fma_f64 v[39:40], v[55:56], v[71:72], v[39:40]
	v_fma_f64 v[41:42], -v[55:56], v[73:74], v[41:42]
	v_fma_f64 v[37:38], v[37:38], v[73:74], v[39:40]
	v_cvt_f64_f32_e32 v[39:40], v51
	v_cvt_f64_f32_e32 v[51:52], v52
	v_fma_f64 v[33:34], v[39:40], v[71:72], v[33:34]
	v_fma_f64 v[27:28], v[51:52], v[71:72], v[27:28]
	v_fma_f64 v[33:34], -v[51:52], v[73:74], v[33:34]
	v_cvt_f64_f32_e32 v[51:52], v54
	v_fma_f64 v[27:28], v[39:40], v[73:74], v[27:28]
	v_cvt_f64_f32_e32 v[39:40], v53
	v_fma_f64 v[29:30], v[51:52], v[71:72], v[29:30]
	v_fma_f64 v[31:32], v[39:40], v[71:72], v[31:32]
	;; [unrolled: 1-line block ×3, first 2 shown]
	v_cvt_f64_f32_e32 v[39:40], v47
	v_cvt_f64_f32_e32 v[47:48], v48
	v_fma_f64 v[31:32], -v[51:52], v[73:74], v[31:32]
	v_fma_f64 v[25:26], v[39:40], v[67:68], v[25:26]
	v_fma_f64 v[35:36], v[47:48], v[67:68], v[35:36]
	v_fma_f64 v[25:26], -v[47:48], v[69:70], v[25:26]
	v_fma_f64 v[47:48], v[39:40], v[69:70], v[35:36]
	v_cvt_f64_f32_e32 v[39:40], v50
	v_cvt_f64_f32_e32 v[35:36], v49
	v_fma_f64 v[37:38], v[39:40], v[67:68], v[37:38]
	v_fma_f64 v[41:42], v[35:36], v[67:68], v[41:42]
	;; [unrolled: 1-line block ×3, first 2 shown]
	v_cvt_f64_f32_e32 v[35:36], v43
	v_cvt_f64_f32_e32 v[37:38], v44
	v_fma_f64 v[49:50], -v[39:40], v[69:70], v[41:42]
	v_fma_f64 v[33:34], v[35:36], v[67:68], v[33:34]
	v_fma_f64 v[27:28], v[37:38], v[67:68], v[27:28]
	v_fma_f64 v[43:44], -v[37:38], v[69:70], v[33:34]
	v_fma_f64 v[53:54], v[35:36], v[69:70], v[27:28]
	v_cvt_f64_f32_e32 v[27:28], v45
	v_cvt_f64_f32_e32 v[33:34], v46
	v_fma_f64 v[31:32], v[27:28], v[67:68], v[31:32]
	v_fma_f64 v[29:30], v[33:34], v[67:68], v[29:30]
	v_fma_f64 v[45:46], -v[33:34], v[69:70], v[31:32]
	v_fma_f64 v[55:56], v[27:28], v[69:70], v[29:30]
	global_load_dwordx4 v[27:30], v[15:16], off offset:112
	global_load_dwordx4 v[31:34], v[15:16], off offset:96
	;; [unrolled: 1-line block ×4, first 2 shown]
	v_add_co_u32_e32 v15, vcc, s10, v15
	v_addc_co_u32_e32 v16, vcc, 0, v16, vcc
	v_add_co_u32_e32 v11, vcc, 64, v11
	v_addc_co_u32_e32 v12, vcc, 0, v12, vcc
	;; [unrolled: 2-line block ×4, first 2 shown]
	v_cmp_eq_u64_e32 vcc, 0, v[23:24]
	s_or_b64 s[8:9], vcc, s[8:9]
	s_waitcnt vmcnt(0)
	v_cvt_f64_f32_e32 v[57:58], v39
	v_cvt_f64_f32_e32 v[39:40], v40
	v_fma_f64 v[25:26], v[57:58], v[63:64], v[25:26]
	v_fma_f64 v[25:26], -v[39:40], v[65:66], v[25:26]
	v_fma_f64 v[39:40], v[39:40], v[63:64], v[47:48]
	v_cvt_f64_f32_e32 v[47:48], v41
	v_cvt_f64_f32_e32 v[41:42], v42
	v_fma_f64 v[49:50], v[47:48], v[63:64], v[49:50]
	v_fma_f64 v[39:40], v[57:58], v[65:66], v[39:40]
	v_fma_f64 v[49:50], -v[41:42], v[65:66], v[49:50]
	v_fma_f64 v[41:42], v[41:42], v[63:64], v[51:52]
	v_fma_f64 v[47:48], v[47:48], v[65:66], v[41:42]
	v_cvt_f64_f32_e32 v[41:42], v35
	v_cvt_f64_f32_e32 v[35:36], v36
	v_fma_f64 v[43:44], v[41:42], v[63:64], v[43:44]
	v_fma_f64 v[43:44], -v[35:36], v[65:66], v[43:44]
	v_fma_f64 v[35:36], v[35:36], v[63:64], v[53:54]
	v_fma_f64 v[51:52], v[41:42], v[65:66], v[35:36]
	v_cvt_f64_f32_e32 v[35:36], v37
	v_cvt_f64_f32_e32 v[37:38], v38
	;; [unrolled: 6-line block ×3, first 2 shown]
	v_fma_f64 v[25:26], v[37:38], v[59:60], v[25:26]
	v_fma_f64 v[35:36], -v[31:32], v[61:62], v[25:26]
	v_fma_f64 v[25:26], v[31:32], v[59:60], v[39:40]
	v_cvt_f64_f32_e32 v[31:32], v34
	v_fma_f64 v[37:38], v[37:38], v[61:62], v[25:26]
	v_cvt_f64_f32_e32 v[25:26], v33
	v_fma_f64 v[33:34], v[25:26], v[59:60], v[49:50]
	v_fma_f64 v[41:42], -v[31:32], v[61:62], v[33:34]
	v_fma_f64 v[31:32], v[31:32], v[59:60], v[47:48]
	v_fma_f64 v[39:40], v[25:26], v[61:62], v[31:32]
	v_cvt_f64_f32_e32 v[25:26], v27
	v_cvt_f64_f32_e32 v[27:28], v28
	v_fma_f64 v[31:32], v[25:26], v[59:60], v[43:44]
	v_fma_f64 v[33:34], -v[27:28], v[61:62], v[31:32]
	v_fma_f64 v[27:28], v[27:28], v[59:60], v[51:52]
	v_fma_f64 v[27:28], v[25:26], v[61:62], v[27:28]
	v_cvt_f64_f32_e32 v[25:26], v29
	v_cvt_f64_f32_e32 v[29:30], v30
	v_fma_f64 v[31:32], v[25:26], v[59:60], v[45:46]
	v_fma_f64 v[31:32], -v[29:30], v[61:62], v[31:32]
	v_fma_f64 v[29:30], v[29:30], v[59:60], v[53:54]
	v_fma_f64 v[29:30], v[25:26], v[61:62], v[29:30]
	s_andn2_b64 exec, exec, s[8:9]
	s_cbranch_execnz .LBB179_29
; %bb.30:
	s_or_b64 exec, exec, s[8:9]
.LBB179_31:
	s_or_b64 exec, exec, s[0:1]
	s_mov_b64 s[0:1], 0xbf
	v_cmp_lt_u64_e32 vcc, s[0:1], v[17:18]
	s_and_saveexec_b64 s[8:9], vcc
	s_cbranch_execz .LBB179_35
; %bb.32:
	v_lshlrev_b64 v[17:18], 3, v[11:12]
	v_mov_b32_e32 v19, s13
	v_add_co_u32_e32 v17, vcc, s12, v17
	v_addc_co_u32_e32 v18, vcc, v19, v18, vcc
	v_add_co_u32_e32 v17, vcc, 0x400, v17
	v_addc_co_u32_e32 v18, vcc, 0, v18, vcc
	s_mov_b64 s[10:11], 0
	v_mov_b32_e32 v43, s7
	s_movk_i32 s7, 0x2000
	s_movk_i32 s12, 0x4000
	;; [unrolled: 1-line block ×3, first 2 shown]
.LBB179_33:                             ; =>This Inner Loop Header: Depth=1
	global_load_dwordx2 v[19:20], v[17:18], off offset:-1024
	global_load_dwordx4 v[23:26], v[15:16], off offset:48
	global_load_dwordx4 v[44:47], v[15:16], off offset:32
	;; [unrolled: 1-line block ×3, first 2 shown]
	global_load_dwordx4 v[52:55], v[15:16], off
	s_waitcnt vmcnt(4)
	v_sub_co_u32_e32 v19, vcc, v19, v9
	v_subb_co_u32_e32 v20, vcc, v20, v10, vcc
	v_lshlrev_b64 v[19:20], 6, v[19:20]
	s_waitcnt vmcnt(0)
	v_cvt_f64_f32_e32 v[72:73], v52
	v_add_co_u32_e32 v19, vcc, s6, v19
	v_addc_co_u32_e32 v20, vcc, v43, v20, vcc
	global_load_dwordx4 v[56:59], v[19:20], off offset:48
	global_load_dwordx4 v[60:63], v[19:20], off offset:32
	;; [unrolled: 1-line block ×3, first 2 shown]
	global_load_dwordx4 v[68:71], v[19:20], off
	v_cvt_f64_f32_e32 v[52:53], v53
	s_waitcnt vmcnt(0)
	v_fma_f64 v[19:20], v[72:73], v[68:69], v[35:36]
	v_fma_f64 v[35:36], v[52:53], v[68:69], v[37:38]
	v_cvt_f64_f32_e32 v[37:38], v54
	v_fma_f64 v[41:42], v[37:38], v[68:69], v[41:42]
	v_fma_f64 v[19:20], -v[52:53], v[70:71], v[19:20]
	v_cvt_f64_f32_e32 v[52:53], v55
	v_fma_f64 v[35:36], v[72:73], v[70:71], v[35:36]
	v_fma_f64 v[39:40], v[52:53], v[68:69], v[39:40]
	v_fma_f64 v[41:42], -v[52:53], v[70:71], v[41:42]
	v_fma_f64 v[37:38], v[37:38], v[70:71], v[39:40]
	v_cvt_f64_f32_e32 v[39:40], v48
	v_cvt_f64_f32_e32 v[48:49], v49
	v_fma_f64 v[33:34], v[39:40], v[68:69], v[33:34]
	v_fma_f64 v[27:28], v[48:49], v[68:69], v[27:28]
	v_fma_f64 v[33:34], -v[48:49], v[70:71], v[33:34]
	v_cvt_f64_f32_e32 v[48:49], v51
	v_fma_f64 v[27:28], v[39:40], v[70:71], v[27:28]
	v_cvt_f64_f32_e32 v[39:40], v50
	v_fma_f64 v[29:30], v[48:49], v[68:69], v[29:30]
	v_fma_f64 v[31:32], v[39:40], v[68:69], v[31:32]
	;; [unrolled: 1-line block ×3, first 2 shown]
	v_cvt_f64_f32_e32 v[39:40], v44
	v_cvt_f64_f32_e32 v[44:45], v45
	v_fma_f64 v[31:32], -v[48:49], v[70:71], v[31:32]
	v_fma_f64 v[19:20], v[39:40], v[64:65], v[19:20]
	v_fma_f64 v[35:36], v[44:45], v[64:65], v[35:36]
	v_fma_f64 v[19:20], -v[44:45], v[66:67], v[19:20]
	v_fma_f64 v[39:40], v[39:40], v[66:67], v[35:36]
	v_cvt_f64_f32_e32 v[35:36], v46
	v_cvt_f64_f32_e32 v[44:45], v47
	v_fma_f64 v[41:42], v[35:36], v[64:65], v[41:42]
	v_fma_f64 v[37:38], v[44:45], v[64:65], v[37:38]
	v_fma_f64 v[41:42], -v[44:45], v[66:67], v[41:42]
	v_fma_f64 v[44:45], v[35:36], v[66:67], v[37:38]
	v_cvt_f64_f32_e32 v[35:36], v23
	v_cvt_f64_f32_e32 v[23:24], v24
	v_fma_f64 v[33:34], v[35:36], v[64:65], v[33:34]
	v_fma_f64 v[46:47], -v[23:24], v[66:67], v[33:34]
	v_fma_f64 v[23:24], v[23:24], v[64:65], v[27:28]
	v_fma_f64 v[48:49], v[35:36], v[66:67], v[23:24]
	v_cvt_f64_f32_e32 v[23:24], v25
	v_cvt_f64_f32_e32 v[25:26], v26
	v_fma_f64 v[27:28], v[23:24], v[64:65], v[31:32]
	v_fma_f64 v[50:51], -v[25:26], v[66:67], v[27:28]
	v_fma_f64 v[25:26], v[25:26], v[64:65], v[29:30]
	v_fma_f64 v[52:53], v[23:24], v[66:67], v[25:26]
	global_load_dwordx4 v[23:26], v[15:16], off offset:112
	global_load_dwordx4 v[27:30], v[15:16], off offset:96
	;; [unrolled: 1-line block ×4, first 2 shown]
	s_waitcnt vmcnt(0)
	v_cvt_f64_f32_e32 v[54:55], v35
	v_cvt_f64_f32_e32 v[35:36], v36
	v_fma_f64 v[19:20], v[54:55], v[60:61], v[19:20]
	v_fma_f64 v[19:20], -v[35:36], v[62:63], v[19:20]
	v_fma_f64 v[35:36], v[35:36], v[60:61], v[39:40]
	v_cvt_f64_f32_e32 v[39:40], v37
	v_cvt_f64_f32_e32 v[37:38], v38
	v_fma_f64 v[41:42], v[39:40], v[60:61], v[41:42]
	v_fma_f64 v[35:36], v[54:55], v[62:63], v[35:36]
	v_fma_f64 v[41:42], -v[37:38], v[62:63], v[41:42]
	v_fma_f64 v[37:38], v[37:38], v[60:61], v[44:45]
	v_fma_f64 v[37:38], v[39:40], v[62:63], v[37:38]
	v_cvt_f64_f32_e32 v[39:40], v31
	v_cvt_f64_f32_e32 v[31:32], v32
	v_fma_f64 v[44:45], v[39:40], v[60:61], v[46:47]
	v_fma_f64 v[44:45], -v[31:32], v[62:63], v[44:45]
	v_fma_f64 v[31:32], v[31:32], v[60:61], v[48:49]
	v_fma_f64 v[31:32], v[39:40], v[62:63], v[31:32]
	v_cvt_f64_f32_e32 v[39:40], v33
	v_cvt_f64_f32_e32 v[33:34], v34
	v_fma_f64 v[46:47], v[39:40], v[60:61], v[50:51]
	v_fma_f64 v[46:47], -v[33:34], v[62:63], v[46:47]
	v_fma_f64 v[33:34], v[33:34], v[60:61], v[52:53]
	v_fma_f64 v[33:34], v[39:40], v[62:63], v[33:34]
	v_cvt_f64_f32_e32 v[39:40], v27
	v_cvt_f64_f32_e32 v[27:28], v28
	v_fma_f64 v[19:20], v[39:40], v[56:57], v[19:20]
	v_fma_f64 v[19:20], -v[27:28], v[58:59], v[19:20]
	v_fma_f64 v[27:28], v[27:28], v[56:57], v[35:36]
	v_fma_f64 v[60:61], v[39:40], v[58:59], v[27:28]
	v_cvt_f64_f32_e32 v[27:28], v29
	v_cvt_f64_f32_e32 v[29:30], v30
	v_fma_f64 v[35:36], v[27:28], v[56:57], v[41:42]
	v_fma_f64 v[62:63], -v[29:30], v[58:59], v[35:36]
	v_fma_f64 v[29:30], v[29:30], v[56:57], v[37:38]
	v_fma_f64 v[64:65], v[27:28], v[58:59], v[29:30]
	v_cvt_f64_f32_e32 v[27:28], v23
	v_cvt_f64_f32_e32 v[23:24], v24
	v_fma_f64 v[29:30], v[27:28], v[56:57], v[44:45]
	v_fma_f64 v[66:67], -v[23:24], v[58:59], v[29:30]
	v_fma_f64 v[23:24], v[23:24], v[56:57], v[31:32]
	v_fma_f64 v[68:69], v[27:28], v[58:59], v[23:24]
	v_cvt_f64_f32_e32 v[23:24], v25
	v_cvt_f64_f32_e32 v[25:26], v26
	v_fma_f64 v[27:28], v[23:24], v[56:57], v[46:47]
	v_fma_f64 v[70:71], -v[25:26], v[58:59], v[27:28]
	v_fma_f64 v[25:26], v[25:26], v[56:57], v[33:34]
	v_fma_f64 v[56:57], v[23:24], v[58:59], v[25:26]
	global_load_dwordx2 v[23:24], v[17:18], off offset:-512
	v_add_co_u32_e32 v58, vcc, s7, v15
	v_addc_co_u32_e32 v59, vcc, 0, v16, vcc
	s_waitcnt vmcnt(0)
	v_sub_co_u32_e32 v39, vcc, v23, v9
	v_subb_co_u32_e32 v40, vcc, v24, v10, vcc
	v_lshlrev_b64 v[39:40], 6, v[39:40]
	global_load_dwordx4 v[23:26], v[58:59], off
	global_load_dwordx4 v[27:30], v[58:59], off offset:48
	global_load_dwordx4 v[31:34], v[58:59], off offset:32
	;; [unrolled: 1-line block ×3, first 2 shown]
	v_add_co_u32_e32 v74, vcc, s6, v39
	v_addc_co_u32_e32 v75, vcc, v43, v40, vcc
	global_load_dwordx4 v[39:42], v[74:75], off offset:48
	global_load_dwordx4 v[44:47], v[74:75], off offset:32
	;; [unrolled: 1-line block ×3, first 2 shown]
	global_load_dwordx4 v[52:55], v[74:75], off
	s_waitcnt vmcnt(7)
	v_cvt_f64_f32_e32 v[72:73], v23
	v_cvt_f64_f32_e32 v[23:24], v24
	s_waitcnt vmcnt(0)
	v_fma_f64 v[19:20], v[72:73], v[52:53], v[19:20]
	v_fma_f64 v[19:20], -v[23:24], v[54:55], v[19:20]
	v_fma_f64 v[23:24], v[23:24], v[52:53], v[60:61]
	v_cvt_f64_f32_e32 v[60:61], v25
	v_cvt_f64_f32_e32 v[25:26], v26
	v_fma_f64 v[62:63], v[60:61], v[52:53], v[62:63]
	v_fma_f64 v[23:24], v[72:73], v[54:55], v[23:24]
	v_fma_f64 v[62:63], -v[25:26], v[54:55], v[62:63]
	v_fma_f64 v[25:26], v[25:26], v[52:53], v[64:65]
	v_fma_f64 v[25:26], v[60:61], v[54:55], v[25:26]
	v_cvt_f64_f32_e32 v[60:61], v35
	v_cvt_f64_f32_e32 v[35:36], v36
	v_fma_f64 v[64:65], v[60:61], v[52:53], v[66:67]
	v_fma_f64 v[64:65], -v[35:36], v[54:55], v[64:65]
	v_fma_f64 v[35:36], v[35:36], v[52:53], v[68:69]
	v_fma_f64 v[35:36], v[60:61], v[54:55], v[35:36]
	v_cvt_f64_f32_e32 v[60:61], v37
	v_cvt_f64_f32_e32 v[37:38], v38
	v_fma_f64 v[66:67], v[60:61], v[52:53], v[70:71]
	v_fma_f64 v[66:67], -v[37:38], v[54:55], v[66:67]
	v_fma_f64 v[37:38], v[37:38], v[52:53], v[56:57]
	v_cvt_f64_f32_e32 v[52:53], v31
	v_cvt_f64_f32_e32 v[31:32], v32
	v_fma_f64 v[19:20], v[52:53], v[48:49], v[19:20]
	v_fma_f64 v[23:24], v[31:32], v[48:49], v[23:24]
	;; [unrolled: 1-line block ×3, first 2 shown]
	v_fma_f64 v[19:20], -v[31:32], v[50:51], v[19:20]
	v_cvt_f64_f32_e32 v[31:32], v34
	v_fma_f64 v[52:53], v[52:53], v[50:51], v[23:24]
	v_cvt_f64_f32_e32 v[23:24], v33
	v_fma_f64 v[25:26], v[31:32], v[48:49], v[25:26]
	v_fma_f64 v[33:34], v[23:24], v[48:49], v[62:63]
	;; [unrolled: 1-line block ×3, first 2 shown]
	v_cvt_f64_f32_e32 v[23:24], v27
	v_cvt_f64_f32_e32 v[25:26], v28
	v_fma_f64 v[54:55], -v[31:32], v[50:51], v[33:34]
	v_fma_f64 v[27:28], v[23:24], v[48:49], v[64:65]
	v_fma_f64 v[60:61], -v[25:26], v[50:51], v[27:28]
	v_fma_f64 v[25:26], v[25:26], v[48:49], v[35:36]
	v_fma_f64 v[62:63], v[23:24], v[50:51], v[25:26]
	v_cvt_f64_f32_e32 v[23:24], v29
	v_cvt_f64_f32_e32 v[25:26], v30
	v_fma_f64 v[27:28], v[23:24], v[48:49], v[66:67]
	v_fma_f64 v[64:65], -v[25:26], v[50:51], v[27:28]
	v_fma_f64 v[25:26], v[25:26], v[48:49], v[37:38]
	v_fma_f64 v[48:49], v[23:24], v[50:51], v[25:26]
	global_load_dwordx4 v[23:26], v[58:59], off offset:112
	global_load_dwordx4 v[27:30], v[58:59], off offset:96
	;; [unrolled: 1-line block ×4, first 2 shown]
	s_waitcnt vmcnt(0)
	v_cvt_f64_f32_e32 v[50:51], v35
	v_cvt_f64_f32_e32 v[35:36], v36
	v_fma_f64 v[19:20], v[50:51], v[44:45], v[19:20]
	v_fma_f64 v[19:20], -v[35:36], v[46:47], v[19:20]
	v_fma_f64 v[35:36], v[35:36], v[44:45], v[52:53]
	v_fma_f64 v[35:36], v[50:51], v[46:47], v[35:36]
	v_cvt_f64_f32_e32 v[50:51], v37
	v_cvt_f64_f32_e32 v[37:38], v38
	v_fma_f64 v[52:53], v[50:51], v[44:45], v[54:55]
	v_fma_f64 v[52:53], -v[37:38], v[46:47], v[52:53]
	v_fma_f64 v[37:38], v[37:38], v[44:45], v[56:57]
	v_fma_f64 v[37:38], v[50:51], v[46:47], v[37:38]
	;; [unrolled: 6-line block ×3, first 2 shown]
	v_cvt_f64_f32_e32 v[50:51], v33
	v_cvt_f64_f32_e32 v[33:34], v34
	v_fma_f64 v[56:57], v[50:51], v[44:45], v[64:65]
	v_fma_f64 v[56:57], -v[33:34], v[46:47], v[56:57]
	v_fma_f64 v[33:34], v[33:34], v[44:45], v[48:49]
	v_cvt_f64_f32_e32 v[44:45], v27
	v_cvt_f64_f32_e32 v[27:28], v28
	v_fma_f64 v[19:20], v[44:45], v[39:40], v[19:20]
	v_fma_f64 v[33:34], v[50:51], v[46:47], v[33:34]
	v_fma_f64 v[19:20], -v[27:28], v[41:42], v[19:20]
	v_fma_f64 v[27:28], v[27:28], v[39:40], v[35:36]
	v_fma_f64 v[58:59], v[44:45], v[41:42], v[27:28]
	v_cvt_f64_f32_e32 v[27:28], v29
	v_cvt_f64_f32_e32 v[29:30], v30
	v_fma_f64 v[35:36], v[27:28], v[39:40], v[52:53]
	v_fma_f64 v[60:61], -v[29:30], v[41:42], v[35:36]
	v_fma_f64 v[29:30], v[29:30], v[39:40], v[37:38]
	v_fma_f64 v[62:63], v[27:28], v[41:42], v[29:30]
	v_cvt_f64_f32_e32 v[27:28], v23
	v_cvt_f64_f32_e32 v[23:24], v24
	;; [unrolled: 6-line block ×3, first 2 shown]
	v_fma_f64 v[27:28], v[23:24], v[39:40], v[56:57]
	v_fma_f64 v[56:57], -v[25:26], v[41:42], v[27:28]
	v_fma_f64 v[25:26], v[25:26], v[39:40], v[33:34]
	v_fma_f64 v[68:69], v[23:24], v[41:42], v[25:26]
	global_load_dwordx2 v[23:24], v[17:18], off
	s_waitcnt vmcnt(0)
	v_sub_co_u32_e32 v39, vcc, v23, v9
	v_subb_co_u32_e32 v40, vcc, v24, v10, vcc
	v_add_co_u32_e32 v70, vcc, s12, v15
	v_lshlrev_b64 v[39:40], 6, v[39:40]
	v_addc_co_u32_e32 v71, vcc, 0, v16, vcc
	v_add_co_u32_e32 v74, vcc, s6, v39
	global_load_dwordx4 v[23:26], v[70:71], off
	global_load_dwordx4 v[27:30], v[70:71], off offset:48
	global_load_dwordx4 v[31:34], v[70:71], off offset:32
	;; [unrolled: 1-line block ×3, first 2 shown]
	v_addc_co_u32_e32 v75, vcc, v43, v40, vcc
	global_load_dwordx4 v[39:42], v[74:75], off offset:48
	global_load_dwordx4 v[44:47], v[74:75], off offset:32
	;; [unrolled: 1-line block ×3, first 2 shown]
	global_load_dwordx4 v[52:55], v[74:75], off
	s_waitcnt vmcnt(7)
	v_cvt_f64_f32_e32 v[72:73], v23
	v_cvt_f64_f32_e32 v[23:24], v24
	s_waitcnt vmcnt(0)
	v_fma_f64 v[19:20], v[72:73], v[52:53], v[19:20]
	v_fma_f64 v[19:20], -v[23:24], v[54:55], v[19:20]
	v_fma_f64 v[23:24], v[23:24], v[52:53], v[58:59]
	v_cvt_f64_f32_e32 v[58:59], v25
	v_cvt_f64_f32_e32 v[25:26], v26
	v_fma_f64 v[60:61], v[58:59], v[52:53], v[60:61]
	v_fma_f64 v[23:24], v[72:73], v[54:55], v[23:24]
	v_fma_f64 v[60:61], -v[25:26], v[54:55], v[60:61]
	v_fma_f64 v[25:26], v[25:26], v[52:53], v[62:63]
	v_fma_f64 v[25:26], v[58:59], v[54:55], v[25:26]
	v_cvt_f64_f32_e32 v[58:59], v35
	v_cvt_f64_f32_e32 v[35:36], v36
	v_fma_f64 v[62:63], v[58:59], v[52:53], v[64:65]
	v_fma_f64 v[62:63], -v[35:36], v[54:55], v[62:63]
	v_fma_f64 v[35:36], v[35:36], v[52:53], v[66:67]
	v_fma_f64 v[35:36], v[58:59], v[54:55], v[35:36]
	v_cvt_f64_f32_e32 v[58:59], v37
	v_cvt_f64_f32_e32 v[37:38], v38
	v_fma_f64 v[56:57], v[58:59], v[52:53], v[56:57]
	v_fma_f64 v[56:57], -v[37:38], v[54:55], v[56:57]
	v_fma_f64 v[37:38], v[37:38], v[52:53], v[68:69]
	v_cvt_f64_f32_e32 v[52:53], v31
	v_cvt_f64_f32_e32 v[31:32], v32
	v_fma_f64 v[19:20], v[52:53], v[48:49], v[19:20]
	v_fma_f64 v[23:24], v[31:32], v[48:49], v[23:24]
	;; [unrolled: 1-line block ×3, first 2 shown]
	v_fma_f64 v[19:20], -v[31:32], v[50:51], v[19:20]
	v_cvt_f64_f32_e32 v[31:32], v34
	v_fma_f64 v[52:53], v[52:53], v[50:51], v[23:24]
	v_cvt_f64_f32_e32 v[23:24], v33
	v_fma_f64 v[25:26], v[31:32], v[48:49], v[25:26]
	v_fma_f64 v[33:34], v[23:24], v[48:49], v[60:61]
	;; [unrolled: 1-line block ×3, first 2 shown]
	v_cvt_f64_f32_e32 v[23:24], v27
	v_cvt_f64_f32_e32 v[25:26], v28
	v_fma_f64 v[54:55], -v[31:32], v[50:51], v[33:34]
	v_fma_f64 v[27:28], v[23:24], v[48:49], v[62:63]
	v_fma_f64 v[60:61], -v[25:26], v[50:51], v[27:28]
	v_fma_f64 v[25:26], v[25:26], v[48:49], v[35:36]
	v_fma_f64 v[35:36], v[23:24], v[50:51], v[25:26]
	v_cvt_f64_f32_e32 v[23:24], v29
	v_cvt_f64_f32_e32 v[25:26], v30
	v_fma_f64 v[27:28], v[23:24], v[48:49], v[56:57]
	v_fma_f64 v[56:57], -v[25:26], v[50:51], v[27:28]
	v_fma_f64 v[25:26], v[25:26], v[48:49], v[37:38]
	v_fma_f64 v[37:38], v[23:24], v[50:51], v[25:26]
	global_load_dwordx4 v[48:51], v[70:71], off offset:112
	global_load_dwordx4 v[23:26], v[70:71], off offset:96
	;; [unrolled: 1-line block ×4, first 2 shown]
	s_waitcnt vmcnt(0)
	v_cvt_f64_f32_e32 v[62:63], v31
	v_cvt_f64_f32_e32 v[31:32], v32
	v_fma_f64 v[19:20], v[62:63], v[44:45], v[19:20]
	v_fma_f64 v[19:20], -v[31:32], v[46:47], v[19:20]
	v_fma_f64 v[31:32], v[31:32], v[44:45], v[52:53]
	v_cvt_f64_f32_e32 v[52:53], v33
	v_cvt_f64_f32_e32 v[33:34], v34
	v_fma_f64 v[54:55], v[52:53], v[44:45], v[54:55]
	v_fma_f64 v[31:32], v[62:63], v[46:47], v[31:32]
	v_fma_f64 v[54:55], -v[33:34], v[46:47], v[54:55]
	v_fma_f64 v[33:34], v[33:34], v[44:45], v[58:59]
	v_fma_f64 v[52:53], v[52:53], v[46:47], v[33:34]
	v_cvt_f64_f32_e32 v[33:34], v27
	v_cvt_f64_f32_e32 v[27:28], v28
	v_fma_f64 v[58:59], v[33:34], v[44:45], v[60:61]
	v_fma_f64 v[58:59], -v[27:28], v[46:47], v[58:59]
	v_fma_f64 v[27:28], v[27:28], v[44:45], v[35:36]
	v_fma_f64 v[27:28], v[33:34], v[46:47], v[27:28]
	v_cvt_f64_f32_e32 v[33:34], v29
	v_cvt_f64_f32_e32 v[29:30], v30
	v_fma_f64 v[35:36], v[33:34], v[44:45], v[56:57]
	v_fma_f64 v[56:57], -v[29:30], v[46:47], v[35:36]
	v_fma_f64 v[29:30], v[29:30], v[44:45], v[37:38]
	v_cvt_f64_f32_e32 v[44:45], v51
	v_fma_f64 v[37:38], v[33:34], v[46:47], v[29:30]
	v_cvt_f64_f32_e32 v[29:30], v23
	v_cvt_f64_f32_e32 v[23:24], v24
	v_fma_f64 v[19:20], v[29:30], v[39:40], v[19:20]
	v_fma_f64 v[37:38], v[44:45], v[39:40], v[37:38]
	v_fma_f64 v[33:34], -v[23:24], v[41:42], v[19:20]
	v_fma_f64 v[19:20], v[23:24], v[39:40], v[31:32]
	v_cvt_f64_f32_e32 v[23:24], v26
	v_fma_f64 v[35:36], v[29:30], v[41:42], v[19:20]
	v_cvt_f64_f32_e32 v[19:20], v25
	v_fma_f64 v[25:26], v[19:20], v[39:40], v[54:55]
	v_fma_f64 v[29:30], -v[23:24], v[41:42], v[25:26]
	v_fma_f64 v[23:24], v[23:24], v[39:40], v[52:53]
	v_fma_f64 v[31:32], v[19:20], v[41:42], v[23:24]
	v_cvt_f64_f32_e32 v[19:20], v48
	v_cvt_f64_f32_e32 v[23:24], v49
	v_fma_f64 v[25:26], v[19:20], v[39:40], v[58:59]
	v_fma_f64 v[25:26], -v[23:24], v[41:42], v[25:26]
	v_fma_f64 v[23:24], v[23:24], v[39:40], v[27:28]
	v_fma_f64 v[27:28], v[19:20], v[41:42], v[23:24]
	v_cvt_f64_f32_e32 v[23:24], v50
	v_fma_f64 v[19:20], v[23:24], v[39:40], v[56:57]
	v_fma_f64 v[23:24], v[23:24], v[41:42], v[37:38]
	global_load_dwordx2 v[37:38], v[17:18], off offset:512
	v_fma_f64 v[19:20], -v[44:45], v[41:42], v[19:20]
	s_waitcnt vmcnt(0)
	v_sub_co_u32_e32 v41, vcc, v37, v9
	v_subb_co_u32_e32 v42, vcc, v38, v10, vcc
	v_add_co_u32_e32 v72, vcc, s13, v15
	v_lshlrev_b64 v[41:42], 6, v[41:42]
	v_addc_co_u32_e32 v73, vcc, 0, v16, vcc
	v_add_co_u32_e32 v41, vcc, s6, v41
	global_load_dwordx4 v[37:40], v[72:73], off
	global_load_dwordx4 v[44:47], v[72:73], off offset:48
	global_load_dwordx4 v[48:51], v[72:73], off offset:32
	;; [unrolled: 1-line block ×3, first 2 shown]
	v_addc_co_u32_e32 v42, vcc, v43, v42, vcc
	global_load_dwordx4 v[56:59], v[41:42], off offset:48
	global_load_dwordx4 v[60:63], v[41:42], off offset:32
	;; [unrolled: 1-line block ×3, first 2 shown]
	global_load_dwordx4 v[68:71], v[41:42], off
	v_add_co_u32_e32 v11, vcc, 0x100, v11
	v_addc_co_u32_e32 v12, vcc, 0, v12, vcc
	v_add_co_u32_e32 v17, vcc, 0x800, v17
	v_addc_co_u32_e32 v18, vcc, 0, v18, vcc
	v_cmp_ge_i64_e64 s[0:1], v[11:12], v[13:14]
	v_add_co_u32_e32 v15, vcc, 0x8000, v15
	v_addc_co_u32_e32 v16, vcc, 0, v16, vcc
	s_or_b64 s[10:11], s[0:1], s[10:11]
	s_waitcnt vmcnt(7)
	v_cvt_f64_f32_e32 v[74:75], v37
	v_cvt_f64_f32_e32 v[37:38], v38
	s_waitcnt vmcnt(0)
	v_fma_f64 v[33:34], v[74:75], v[68:69], v[33:34]
	v_fma_f64 v[35:36], v[37:38], v[68:69], v[35:36]
	v_fma_f64 v[33:34], -v[37:38], v[70:71], v[33:34]
	v_cvt_f64_f32_e32 v[37:38], v39
	v_cvt_f64_f32_e32 v[39:40], v40
	v_fma_f64 v[35:36], v[74:75], v[70:71], v[35:36]
	v_fma_f64 v[29:30], v[37:38], v[68:69], v[29:30]
	;; [unrolled: 1-line block ×3, first 2 shown]
	v_fma_f64 v[29:30], -v[39:40], v[70:71], v[29:30]
	v_fma_f64 v[31:32], v[37:38], v[70:71], v[31:32]
	v_cvt_f64_f32_e32 v[37:38], v52
	v_cvt_f64_f32_e32 v[39:40], v53
	v_fma_f64 v[25:26], v[37:38], v[68:69], v[25:26]
	v_fma_f64 v[27:28], v[39:40], v[68:69], v[27:28]
	v_fma_f64 v[25:26], -v[39:40], v[70:71], v[25:26]
	v_cvt_f64_f32_e32 v[39:40], v55
	v_fma_f64 v[27:28], v[37:38], v[70:71], v[27:28]
	v_cvt_f64_f32_e32 v[37:38], v54
	v_fma_f64 v[23:24], v[39:40], v[68:69], v[23:24]
	v_fma_f64 v[19:20], v[37:38], v[68:69], v[19:20]
	;; [unrolled: 1-line block ×3, first 2 shown]
	v_cvt_f64_f32_e32 v[37:38], v48
	v_fma_f64 v[19:20], -v[39:40], v[70:71], v[19:20]
	v_cvt_f64_f32_e32 v[39:40], v49
	v_fma_f64 v[33:34], v[37:38], v[64:65], v[33:34]
	v_fma_f64 v[41:42], -v[39:40], v[66:67], v[33:34]
	v_fma_f64 v[33:34], v[39:40], v[64:65], v[35:36]
	v_cvt_f64_f32_e32 v[35:36], v51
	v_fma_f64 v[39:40], v[37:38], v[66:67], v[33:34]
	v_cvt_f64_f32_e32 v[33:34], v50
	v_fma_f64 v[29:30], v[33:34], v[64:65], v[29:30]
	v_fma_f64 v[48:49], -v[35:36], v[66:67], v[29:30]
	v_fma_f64 v[29:30], v[35:36], v[64:65], v[31:32]
	v_cvt_f64_f32_e32 v[31:32], v45
	v_fma_f64 v[50:51], v[33:34], v[66:67], v[29:30]
	v_cvt_f64_f32_e32 v[29:30], v44
	v_fma_f64 v[25:26], v[29:30], v[64:65], v[25:26]
	v_fma_f64 v[44:45], -v[31:32], v[66:67], v[25:26]
	v_fma_f64 v[25:26], v[31:32], v[64:65], v[27:28]
	v_cvt_f64_f32_e32 v[27:28], v47
	v_fma_f64 v[23:24], v[27:28], v[64:65], v[23:24]
	v_fma_f64 v[52:53], v[29:30], v[66:67], v[25:26]
	v_cvt_f64_f32_e32 v[25:26], v46
	v_fma_f64 v[19:20], v[25:26], v[64:65], v[19:20]
	v_fma_f64 v[46:47], v[25:26], v[66:67], v[23:24]
	v_fma_f64 v[19:20], -v[27:28], v[66:67], v[19:20]
	global_load_dwordx4 v[23:26], v[72:73], off offset:112
	global_load_dwordx4 v[27:30], v[72:73], off offset:96
	;; [unrolled: 1-line block ×4, first 2 shown]
	s_waitcnt vmcnt(0)
	v_cvt_f64_f32_e32 v[54:55], v35
	v_cvt_f64_f32_e32 v[35:36], v36
	v_fma_f64 v[41:42], v[54:55], v[60:61], v[41:42]
	v_fma_f64 v[41:42], -v[35:36], v[62:63], v[41:42]
	v_fma_f64 v[35:36], v[35:36], v[60:61], v[39:40]
	v_fma_f64 v[39:40], v[54:55], v[62:63], v[35:36]
	v_cvt_f64_f32_e32 v[35:36], v37
	v_cvt_f64_f32_e32 v[37:38], v38
	v_fma_f64 v[48:49], v[35:36], v[60:61], v[48:49]
	v_fma_f64 v[48:49], -v[37:38], v[62:63], v[48:49]
	v_fma_f64 v[37:38], v[37:38], v[60:61], v[50:51]
	v_fma_f64 v[50:51], v[35:36], v[62:63], v[37:38]
	;; [unrolled: 6-line block ×8, first 2 shown]
	s_andn2_b64 exec, exec, s[10:11]
	s_cbranch_execnz .LBB179_33
; %bb.34:
	s_or_b64 exec, exec, s[10:11]
.LBB179_35:
	s_or_b64 exec, exec, s[8:9]
.LBB179_36:
	s_or_b64 exec, exec, s[2:3]
.LBB179_37:
	v_mov_b32_dpp v9, v35 row_shr:1 row_mask:0xf bank_mask:0xf
	v_mov_b32_dpp v10, v36 row_shr:1 row_mask:0xf bank_mask:0xf
	v_add_f64 v[9:10], v[35:36], v[9:10]
	v_mov_b32_dpp v11, v37 row_shr:1 row_mask:0xf bank_mask:0xf
	v_mov_b32_dpp v12, v38 row_shr:1 row_mask:0xf bank_mask:0xf
	v_add_f64 v[11:12], v[37:38], v[11:12]
	v_mov_b32_dpp v15, v39 row_shr:1 row_mask:0xf bank_mask:0xf
	v_mov_b32_dpp v37, v27 row_shr:1 row_mask:0xf bank_mask:0xf
	;; [unrolled: 1-line block ×3, first 2 shown]
	v_add_f64 v[27:28], v[27:28], v[37:38]
	v_mov_b32_dpp v13, v9 row_shr:2 row_mask:0xf bank_mask:0xf
	v_mov_b32_dpp v14, v10 row_shr:2 row_mask:0xf bank_mask:0xf
	v_add_f64 v[9:10], v[9:10], v[13:14]
	v_mov_b32_dpp v13, v11 row_shr:2 row_mask:0xf bank_mask:0xf
	v_mov_b32_dpp v14, v12 row_shr:2 row_mask:0xf bank_mask:0xf
	;; [unrolled: 3-line block ×4, first 2 shown]
	v_mov_b32_dpp v17, v10 row_shr:4 row_mask:0xf bank_mask:0xe
	v_add_f64 v[9:10], v[9:10], v[16:17]
	v_mov_b32_dpp v16, v11 row_shr:4 row_mask:0xf bank_mask:0xe
	v_mov_b32_dpp v17, v12 row_shr:4 row_mask:0xf bank_mask:0xe
	v_add_f64 v[11:12], v[11:12], v[16:17]
	v_mov_b32_dpp v16, v40 row_shr:1 row_mask:0xf bank_mask:0xf
	v_add_f64 v[15:16], v[39:40], v[15:16]
	v_mov_b32_dpp v17, v13 row_shr:2 row_mask:0xf bank_mask:0xf
	v_mov_b32_dpp v18, v14 row_shr:2 row_mask:0xf bank_mask:0xf
	;; [unrolled: 1-line block ×4, first 2 shown]
	v_add_f64 v[9:10], v[9:10], v[19:20]
	v_add_f64 v[13:14], v[13:14], v[17:18]
	v_mov_b32_dpp v19, v11 row_shr:8 row_mask:0xf bank_mask:0xc
	v_mov_b32_dpp v17, v15 row_shr:2 row_mask:0xf bank_mask:0xf
	;; [unrolled: 1-line block ×3, first 2 shown]
	v_add_f64 v[15:16], v[15:16], v[17:18]
	v_mov_b32_dpp v20, v12 row_shr:8 row_mask:0xf bank_mask:0xc
	v_add_f64 v[11:12], v[11:12], v[19:20]
	v_mov_b32_dpp v17, v9 row_bcast:15 row_mask:0xa bank_mask:0xf
	v_mov_b32_dpp v18, v10 row_bcast:15 row_mask:0xa bank_mask:0xf
	v_add_f64 v[9:10], v[9:10], v[17:18]
	v_mov_b32_dpp v19, v14 row_shr:4 row_mask:0xf bank_mask:0xe
	v_mov_b32_dpp v18, v13 row_shr:4 row_mask:0xf bank_mask:0xe
	v_add_f64 v[13:14], v[13:14], v[18:19]
	v_mov_b32_dpp v19, v16 row_shr:4 row_mask:0xf bank_mask:0xe
	v_mov_b32_dpp v18, v15 row_shr:4 row_mask:0xf bank_mask:0xe
	;; [unrolled: 3-line block ×3, first 2 shown]
	v_add_f64 v[19:20], v[33:34], v[18:19]
	v_mov_b32_dpp v17, v11 row_bcast:15 row_mask:0xa bank_mask:0xf
	v_mov_b32_dpp v23, v13 row_shr:8 row_mask:0xf bank_mask:0xc
	v_mov_b32_dpp v24, v14 row_shr:8 row_mask:0xf bank_mask:0xc
	v_add_f64 v[13:14], v[13:14], v[23:24]
	v_mov_b32_dpp v23, v15 row_shr:8 row_mask:0xf bank_mask:0xc
	v_mov_b32_dpp v24, v16 row_shr:8 row_mask:0xf bank_mask:0xc
	v_add_f64 v[15:16], v[15:16], v[23:24]
	;; [unrolled: 3-line block ×3, first 2 shown]
	v_mov_b32_dpp v18, v12 row_bcast:15 row_mask:0xa bank_mask:0xf
	v_add_f64 v[11:12], v[11:12], v[17:18]
	v_mov_b32_dpp v17, v13 row_bcast:15 row_mask:0xa bank_mask:0xf
	v_mov_b32_dpp v18, v14 row_bcast:15 row_mask:0xa bank_mask:0xf
	v_add_f64 v[13:14], v[13:14], v[17:18]
	v_mov_b32_dpp v17, v15 row_bcast:15 row_mask:0xa bank_mask:0xf
	v_mov_b32_dpp v18, v16 row_bcast:15 row_mask:0xa bank_mask:0xf
	v_add_f64 v[15:16], v[15:16], v[17:18]
	v_mov_b32_dpp v17, v19 row_shr:4 row_mask:0xf bank_mask:0xe
	v_mov_b32_dpp v18, v20 row_shr:4 row_mask:0xf bank_mask:0xe
	v_add_f64 v[33:34], v[19:20], v[17:18]
	v_mov_b32_dpp v38, v32 row_shr:1 row_mask:0xf bank_mask:0xf
	v_add_f64 v[31:32], v[31:32], v[37:38]
	v_mov_b32_dpp v37, v29 row_shr:1 row_mask:0xf bank_mask:0xf
	v_mov_b32_dpp v38, v30 row_shr:1 row_mask:0xf bank_mask:0xf
	v_add_f64 v[29:30], v[29:30], v[37:38]
	v_mov_b32_dpp v25, v9 row_bcast:31 row_mask:0xc bank_mask:0xf
	v_mov_b32_dpp v26, v10 row_bcast:31 row_mask:0xc bank_mask:0xf
	v_mov_b32_dpp v35, v33 row_shr:8 row_mask:0xf bank_mask:0xc
	v_mov_b32_dpp v36, v34 row_shr:8 row_mask:0xf bank_mask:0xc
	v_add_f64 v[33:34], v[33:34], v[35:36]
	v_mov_b32_dpp v35, v27 row_shr:2 row_mask:0xf bank_mask:0xf
	v_mov_b32_dpp v36, v28 row_shr:2 row_mask:0xf bank_mask:0xf
	v_add_f64 v[27:28], v[27:28], v[35:36]
	;; [unrolled: 3-line block ×4, first 2 shown]
	v_mov_b32_dpp v35, v33 row_bcast:15 row_mask:0xa bank_mask:0xf
	v_mov_b32_dpp v36, v27 row_shr:4 row_mask:0xf bank_mask:0xe
	v_mov_b32_dpp v37, v28 row_shr:4 row_mask:0xf bank_mask:0xe
	v_add_f64 v[27:28], v[27:28], v[36:37]
	v_mov_b32_dpp v36, v31 row_shr:4 row_mask:0xf bank_mask:0xe
	v_mov_b32_dpp v37, v32 row_shr:4 row_mask:0xf bank_mask:0xe
	v_add_f64 v[31:32], v[31:32], v[36:37]
	;; [unrolled: 3-line block ×3, first 2 shown]
	v_mov_b32_dpp v36, v34 row_bcast:15 row_mask:0xa bank_mask:0xf
	v_mov_b32_dpp v37, v27 row_shr:8 row_mask:0xf bank_mask:0xc
	v_mov_b32_dpp v38, v28 row_shr:8 row_mask:0xf bank_mask:0xc
	v_add_f64 v[37:38], v[27:28], v[37:38]
	v_mov_b32_dpp v27, v31 row_shr:8 row_mask:0xf bank_mask:0xc
	v_mov_b32_dpp v28, v32 row_shr:8 row_mask:0xf bank_mask:0xc
	v_add_f64 v[31:32], v[31:32], v[27:28]
	;; [unrolled: 3-line block ×3, first 2 shown]
	v_add_f64 v[27:28], v[33:34], v[35:36]
	v_mov_b32_dpp v29, v37 row_bcast:15 row_mask:0xa bank_mask:0xf
	v_mov_b32_dpp v30, v38 row_bcast:15 row_mask:0xa bank_mask:0xf
	v_add_f64 v[29:30], v[37:38], v[29:30]
	v_mov_b32_dpp v33, v31 row_bcast:15 row_mask:0xa bank_mask:0xf
	v_mov_b32_dpp v34, v32 row_bcast:15 row_mask:0xa bank_mask:0xf
	;; [unrolled: 3-line block ×4, first 2 shown]
	v_mov_b32_dpp v19, v13 row_bcast:31 row_mask:0xc bank_mask:0xf
	v_mov_b32_dpp v20, v14 row_bcast:31 row_mask:0xc bank_mask:0xf
	;; [unrolled: 1-line block ×12, first 2 shown]
	v_cmp_eq_u32_e32 vcc, 63, v0
	s_and_b64 exec, exec, vcc
	s_cbranch_execz .LBB179_8
; %bb.38:
	v_add_f64 v[11:12], v[11:12], v[23:24]
	v_add_f64 v[23:24], v[13:14], v[19:20]
	;; [unrolled: 1-line block ×8, first 2 shown]
	v_mul_f64 v[19:20], v[11:12], -v[7:8]
	v_mul_f64 v[11:12], v[5:6], v[11:12]
	v_mul_f64 v[29:30], v[13:14], -v[7:8]
	v_mul_f64 v[31:32], v[5:6], v[13:14]
	;; [unrolled: 2-line block ×4, first 2 shown]
	v_cmp_eq_f64_e32 vcc, 0, v[1:2]
	v_cmp_eq_f64_e64 s[0:1], 0, v[3:4]
	v_fma_f64 v[17:18], v[5:6], v[9:10], v[19:20]
	v_fma_f64 v[19:20], v[7:8], v[9:10], v[11:12]
	;; [unrolled: 1-line block ×8, first 2 shown]
	s_load_dwordx2 s[2:3], s[4:5], 0x68
	v_lshlrev_b64 v[21:22], 6, v[21:22]
	s_and_b64 s[0:1], vcc, s[0:1]
	s_and_saveexec_b64 s[4:5], s[0:1]
	s_xor_b64 s[0:1], exec, s[4:5]
	s_cbranch_execz .LBB179_40
; %bb.39:
	s_waitcnt lgkmcnt(0)
	v_mov_b32_e32 v1, s3
	v_add_co_u32_e32 v0, vcc, s2, v21
	v_addc_co_u32_e32 v1, vcc, v1, v22, vcc
	global_store_dwordx4 v[0:1], v[17:20], off
	global_store_dwordx4 v[0:1], v[13:16], off offset:16
	global_store_dwordx4 v[0:1], v[9:12], off offset:32
	global_store_dwordx4 v[0:1], v[5:8], off offset:48
                                        ; implicit-def: $vgpr3_vgpr4
                                        ; implicit-def: $vgpr17_vgpr18
                                        ; implicit-def: $vgpr21_vgpr22
                                        ; implicit-def: $vgpr13_vgpr14
                                        ; implicit-def: $vgpr9_vgpr10
                                        ; implicit-def: $vgpr5_vgpr6
.LBB179_40:
	s_andn2_saveexec_b64 s[0:1], s[0:1]
	s_cbranch_execz .LBB179_8
; %bb.41:
	s_waitcnt lgkmcnt(0)
	v_mov_b32_e32 v0, s3
	v_add_co_u32_e32 v37, vcc, s2, v21
	v_addc_co_u32_e32 v38, vcc, v0, v22, vcc
	global_load_dwordx4 v[21:24], v[37:38], off
	global_load_dwordx4 v[25:28], v[37:38], off offset:16
	global_load_dwordx4 v[29:32], v[37:38], off offset:32
	;; [unrolled: 1-line block ×3, first 2 shown]
	s_waitcnt vmcnt(3)
	v_fma_f64 v[17:18], v[1:2], v[21:22], v[17:18]
	v_fma_f64 v[19:20], v[3:4], v[21:22], v[19:20]
	s_waitcnt vmcnt(2)
	v_fma_f64 v[13:14], v[1:2], v[25:26], v[13:14]
	v_fma_f64 v[15:16], v[3:4], v[25:26], v[15:16]
	;; [unrolled: 3-line block ×4, first 2 shown]
	v_fma_f64 v[5:6], -v[3:4], v[23:24], v[17:18]
	v_fma_f64 v[7:8], v[1:2], v[23:24], v[19:20]
	v_fma_f64 v[9:10], -v[3:4], v[27:28], v[13:14]
	v_fma_f64 v[11:12], v[1:2], v[27:28], v[15:16]
	;; [unrolled: 2-line block ×4, first 2 shown]
	global_store_dwordx4 v[37:38], v[5:8], off
	global_store_dwordx4 v[37:38], v[9:12], off offset:16
	global_store_dwordx4 v[37:38], v[13:16], off offset:32
	;; [unrolled: 1-line block ×3, first 2 shown]
	s_endpgm
	.section	.rodata,"a",@progbits
	.p2align	6, 0x0
	.amdhsa_kernel _ZN9rocsparseL18bsrxmvn_4x4_kernelILj128ELj64E21rocsparse_complex_numIdEllS1_IfES2_S2_EEvT3_20rocsparse_direction_NS_24const_host_device_scalarIT1_EES4_PKS4_PKT2_SD_SA_PKT4_PKT5_S8_PT6_21rocsparse_index_base_b
		.amdhsa_group_segment_fixed_size 0
		.amdhsa_private_segment_fixed_size 0
		.amdhsa_kernarg_size 120
		.amdhsa_user_sgpr_count 6
		.amdhsa_user_sgpr_private_segment_buffer 1
		.amdhsa_user_sgpr_dispatch_ptr 0
		.amdhsa_user_sgpr_queue_ptr 0
		.amdhsa_user_sgpr_kernarg_segment_ptr 1
		.amdhsa_user_sgpr_dispatch_id 0
		.amdhsa_user_sgpr_flat_scratch_init 0
		.amdhsa_user_sgpr_private_segment_size 0
		.amdhsa_uses_dynamic_stack 0
		.amdhsa_system_sgpr_private_segment_wavefront_offset 0
		.amdhsa_system_sgpr_workgroup_id_x 1
		.amdhsa_system_sgpr_workgroup_id_y 0
		.amdhsa_system_sgpr_workgroup_id_z 0
		.amdhsa_system_sgpr_workgroup_info 0
		.amdhsa_system_vgpr_workitem_id 0
		.amdhsa_next_free_vgpr 88
		.amdhsa_next_free_sgpr 19
		.amdhsa_reserve_vcc 1
		.amdhsa_reserve_flat_scratch 0
		.amdhsa_float_round_mode_32 0
		.amdhsa_float_round_mode_16_64 0
		.amdhsa_float_denorm_mode_32 3
		.amdhsa_float_denorm_mode_16_64 3
		.amdhsa_dx10_clamp 1
		.amdhsa_ieee_mode 1
		.amdhsa_fp16_overflow 0
		.amdhsa_exception_fp_ieee_invalid_op 0
		.amdhsa_exception_fp_denorm_src 0
		.amdhsa_exception_fp_ieee_div_zero 0
		.amdhsa_exception_fp_ieee_overflow 0
		.amdhsa_exception_fp_ieee_underflow 0
		.amdhsa_exception_fp_ieee_inexact 0
		.amdhsa_exception_int_div_zero 0
	.end_amdhsa_kernel
	.section	.text._ZN9rocsparseL18bsrxmvn_4x4_kernelILj128ELj64E21rocsparse_complex_numIdEllS1_IfES2_S2_EEvT3_20rocsparse_direction_NS_24const_host_device_scalarIT1_EES4_PKS4_PKT2_SD_SA_PKT4_PKT5_S8_PT6_21rocsparse_index_base_b,"axG",@progbits,_ZN9rocsparseL18bsrxmvn_4x4_kernelILj128ELj64E21rocsparse_complex_numIdEllS1_IfES2_S2_EEvT3_20rocsparse_direction_NS_24const_host_device_scalarIT1_EES4_PKS4_PKT2_SD_SA_PKT4_PKT5_S8_PT6_21rocsparse_index_base_b,comdat
.Lfunc_end179:
	.size	_ZN9rocsparseL18bsrxmvn_4x4_kernelILj128ELj64E21rocsparse_complex_numIdEllS1_IfES2_S2_EEvT3_20rocsparse_direction_NS_24const_host_device_scalarIT1_EES4_PKS4_PKT2_SD_SA_PKT4_PKT5_S8_PT6_21rocsparse_index_base_b, .Lfunc_end179-_ZN9rocsparseL18bsrxmvn_4x4_kernelILj128ELj64E21rocsparse_complex_numIdEllS1_IfES2_S2_EEvT3_20rocsparse_direction_NS_24const_host_device_scalarIT1_EES4_PKS4_PKT2_SD_SA_PKT4_PKT5_S8_PT6_21rocsparse_index_base_b
                                        ; -- End function
	.set _ZN9rocsparseL18bsrxmvn_4x4_kernelILj128ELj64E21rocsparse_complex_numIdEllS1_IfES2_S2_EEvT3_20rocsparse_direction_NS_24const_host_device_scalarIT1_EES4_PKS4_PKT2_SD_SA_PKT4_PKT5_S8_PT6_21rocsparse_index_base_b.num_vgpr, 88
	.set _ZN9rocsparseL18bsrxmvn_4x4_kernelILj128ELj64E21rocsparse_complex_numIdEllS1_IfES2_S2_EEvT3_20rocsparse_direction_NS_24const_host_device_scalarIT1_EES4_PKS4_PKT2_SD_SA_PKT4_PKT5_S8_PT6_21rocsparse_index_base_b.num_agpr, 0
	.set _ZN9rocsparseL18bsrxmvn_4x4_kernelILj128ELj64E21rocsparse_complex_numIdEllS1_IfES2_S2_EEvT3_20rocsparse_direction_NS_24const_host_device_scalarIT1_EES4_PKS4_PKT2_SD_SA_PKT4_PKT5_S8_PT6_21rocsparse_index_base_b.numbered_sgpr, 19
	.set _ZN9rocsparseL18bsrxmvn_4x4_kernelILj128ELj64E21rocsparse_complex_numIdEllS1_IfES2_S2_EEvT3_20rocsparse_direction_NS_24const_host_device_scalarIT1_EES4_PKS4_PKT2_SD_SA_PKT4_PKT5_S8_PT6_21rocsparse_index_base_b.num_named_barrier, 0
	.set _ZN9rocsparseL18bsrxmvn_4x4_kernelILj128ELj64E21rocsparse_complex_numIdEllS1_IfES2_S2_EEvT3_20rocsparse_direction_NS_24const_host_device_scalarIT1_EES4_PKS4_PKT2_SD_SA_PKT4_PKT5_S8_PT6_21rocsparse_index_base_b.private_seg_size, 0
	.set _ZN9rocsparseL18bsrxmvn_4x4_kernelILj128ELj64E21rocsparse_complex_numIdEllS1_IfES2_S2_EEvT3_20rocsparse_direction_NS_24const_host_device_scalarIT1_EES4_PKS4_PKT2_SD_SA_PKT4_PKT5_S8_PT6_21rocsparse_index_base_b.uses_vcc, 1
	.set _ZN9rocsparseL18bsrxmvn_4x4_kernelILj128ELj64E21rocsparse_complex_numIdEllS1_IfES2_S2_EEvT3_20rocsparse_direction_NS_24const_host_device_scalarIT1_EES4_PKS4_PKT2_SD_SA_PKT4_PKT5_S8_PT6_21rocsparse_index_base_b.uses_flat_scratch, 0
	.set _ZN9rocsparseL18bsrxmvn_4x4_kernelILj128ELj64E21rocsparse_complex_numIdEllS1_IfES2_S2_EEvT3_20rocsparse_direction_NS_24const_host_device_scalarIT1_EES4_PKS4_PKT2_SD_SA_PKT4_PKT5_S8_PT6_21rocsparse_index_base_b.has_dyn_sized_stack, 0
	.set _ZN9rocsparseL18bsrxmvn_4x4_kernelILj128ELj64E21rocsparse_complex_numIdEllS1_IfES2_S2_EEvT3_20rocsparse_direction_NS_24const_host_device_scalarIT1_EES4_PKS4_PKT2_SD_SA_PKT4_PKT5_S8_PT6_21rocsparse_index_base_b.has_recursion, 0
	.set _ZN9rocsparseL18bsrxmvn_4x4_kernelILj128ELj64E21rocsparse_complex_numIdEllS1_IfES2_S2_EEvT3_20rocsparse_direction_NS_24const_host_device_scalarIT1_EES4_PKS4_PKT2_SD_SA_PKT4_PKT5_S8_PT6_21rocsparse_index_base_b.has_indirect_call, 0
	.section	.AMDGPU.csdata,"",@progbits
; Kernel info:
; codeLenInByte = 11252
; TotalNumSgprs: 23
; NumVgprs: 88
; ScratchSize: 0
; MemoryBound: 0
; FloatMode: 240
; IeeeMode: 1
; LDSByteSize: 0 bytes/workgroup (compile time only)
; SGPRBlocks: 2
; VGPRBlocks: 21
; NumSGPRsForWavesPerEU: 23
; NumVGPRsForWavesPerEU: 88
; Occupancy: 2
; WaveLimiterHint : 1
; COMPUTE_PGM_RSRC2:SCRATCH_EN: 0
; COMPUTE_PGM_RSRC2:USER_SGPR: 6
; COMPUTE_PGM_RSRC2:TRAP_HANDLER: 0
; COMPUTE_PGM_RSRC2:TGID_X_EN: 1
; COMPUTE_PGM_RSRC2:TGID_Y_EN: 0
; COMPUTE_PGM_RSRC2:TGID_Z_EN: 0
; COMPUTE_PGM_RSRC2:TIDIG_COMP_CNT: 0
	.section	.AMDGPU.gpr_maximums,"",@progbits
	.set amdgpu.max_num_vgpr, 0
	.set amdgpu.max_num_agpr, 0
	.set amdgpu.max_num_sgpr, 0
	.section	.AMDGPU.csdata,"",@progbits
	.type	__hip_cuid_80f177d132bea34d,@object ; @__hip_cuid_80f177d132bea34d
	.section	.bss,"aw",@nobits
	.globl	__hip_cuid_80f177d132bea34d
__hip_cuid_80f177d132bea34d:
	.byte	0                               ; 0x0
	.size	__hip_cuid_80f177d132bea34d, 1

	.ident	"AMD clang version 22.0.0git (https://github.com/RadeonOpenCompute/llvm-project roc-7.2.4 26084 f58b06dce1f9c15707c5f808fd002e18c2accf7e)"
	.section	".note.GNU-stack","",@progbits
	.addrsig
	.addrsig_sym __hip_cuid_80f177d132bea34d
	.amdgpu_metadata
---
amdhsa.kernels:
  - .args:
      - .offset:         0
        .size:           4
        .value_kind:     by_value
      - .offset:         4
        .size:           4
        .value_kind:     by_value
      - .offset:         8
        .size:           8
        .value_kind:     by_value
      - .offset:         16
        .size:           4
        .value_kind:     by_value
      - .actual_access:  read_only
        .address_space:  global
        .offset:         24
        .size:           8
        .value_kind:     global_buffer
      - .actual_access:  read_only
        .address_space:  global
        .offset:         32
        .size:           8
        .value_kind:     global_buffer
      - .actual_access:  read_only
        .address_space:  global
        .offset:         40
        .size:           8
        .value_kind:     global_buffer
      - .actual_access:  read_only
        .address_space:  global
        .offset:         48
        .size:           8
        .value_kind:     global_buffer
      - .actual_access:  read_only
        .address_space:  global
        .offset:         56
        .size:           8
        .value_kind:     global_buffer
      - .actual_access:  read_only
        .address_space:  global
        .offset:         64
        .size:           8
        .value_kind:     global_buffer
      - .offset:         72
        .size:           8
        .value_kind:     by_value
      - .address_space:  global
        .offset:         80
        .size:           8
        .value_kind:     global_buffer
      - .offset:         88
        .size:           4
        .value_kind:     by_value
      - .offset:         92
        .size:           1
        .value_kind:     by_value
    .group_segment_fixed_size: 0
    .kernarg_segment_align: 8
    .kernarg_segment_size: 96
    .language:       OpenCL C
    .language_version:
      - 2
      - 0
    .max_flat_workgroup_size: 128
    .name:           _ZN9rocsparseL18bsrxmvn_4x4_kernelILj128ELj4EfiifffEEvT3_20rocsparse_direction_NS_24const_host_device_scalarIT1_EES1_PKS1_PKT2_SA_S7_PKT4_PKT5_S5_PT6_21rocsparse_index_base_b
    .private_segment_fixed_size: 0
    .sgpr_count:     26
    .sgpr_spill_count: 0
    .symbol:         _ZN9rocsparseL18bsrxmvn_4x4_kernelILj128ELj4EfiifffEEvT3_20rocsparse_direction_NS_24const_host_device_scalarIT1_EES1_PKS1_PKT2_SA_S7_PKT4_PKT5_S5_PT6_21rocsparse_index_base_b.kd
    .uniform_work_group_size: 1
    .uses_dynamic_stack: false
    .vgpr_count:     39
    .vgpr_spill_count: 0
    .wavefront_size: 64
  - .args:
      - .offset:         0
        .size:           4
        .value_kind:     by_value
      - .offset:         4
        .size:           4
        .value_kind:     by_value
      - .offset:         8
        .size:           8
        .value_kind:     by_value
      - .offset:         16
        .size:           4
        .value_kind:     by_value
      - .actual_access:  read_only
        .address_space:  global
        .offset:         24
        .size:           8
        .value_kind:     global_buffer
      - .actual_access:  read_only
        .address_space:  global
        .offset:         32
        .size:           8
        .value_kind:     global_buffer
      - .actual_access:  read_only
        .address_space:  global
        .offset:         40
        .size:           8
        .value_kind:     global_buffer
      - .actual_access:  read_only
        .address_space:  global
        .offset:         48
        .size:           8
        .value_kind:     global_buffer
      - .actual_access:  read_only
        .address_space:  global
        .offset:         56
        .size:           8
        .value_kind:     global_buffer
      - .actual_access:  read_only
        .address_space:  global
        .offset:         64
        .size:           8
        .value_kind:     global_buffer
      - .offset:         72
        .size:           8
        .value_kind:     by_value
      - .address_space:  global
        .offset:         80
        .size:           8
        .value_kind:     global_buffer
      - .offset:         88
        .size:           4
        .value_kind:     by_value
      - .offset:         92
        .size:           1
        .value_kind:     by_value
    .group_segment_fixed_size: 0
    .kernarg_segment_align: 8
    .kernarg_segment_size: 96
    .language:       OpenCL C
    .language_version:
      - 2
      - 0
    .max_flat_workgroup_size: 128
    .name:           _ZN9rocsparseL18bsrxmvn_4x4_kernelILj128ELj8EfiifffEEvT3_20rocsparse_direction_NS_24const_host_device_scalarIT1_EES1_PKS1_PKT2_SA_S7_PKT4_PKT5_S5_PT6_21rocsparse_index_base_b
    .private_segment_fixed_size: 0
    .sgpr_count:     26
    .sgpr_spill_count: 0
    .symbol:         _ZN9rocsparseL18bsrxmvn_4x4_kernelILj128ELj8EfiifffEEvT3_20rocsparse_direction_NS_24const_host_device_scalarIT1_EES1_PKS1_PKT2_SA_S7_PKT4_PKT5_S5_PT6_21rocsparse_index_base_b.kd
    .uniform_work_group_size: 1
    .uses_dynamic_stack: false
    .vgpr_count:     39
    .vgpr_spill_count: 0
    .wavefront_size: 64
  - .args:
      - .offset:         0
        .size:           4
        .value_kind:     by_value
      - .offset:         4
        .size:           4
        .value_kind:     by_value
      - .offset:         8
        .size:           8
        .value_kind:     by_value
      - .offset:         16
        .size:           4
        .value_kind:     by_value
      - .actual_access:  read_only
        .address_space:  global
        .offset:         24
        .size:           8
        .value_kind:     global_buffer
      - .actual_access:  read_only
        .address_space:  global
        .offset:         32
        .size:           8
        .value_kind:     global_buffer
      - .actual_access:  read_only
        .address_space:  global
        .offset:         40
        .size:           8
        .value_kind:     global_buffer
      - .actual_access:  read_only
        .address_space:  global
        .offset:         48
        .size:           8
        .value_kind:     global_buffer
      - .actual_access:  read_only
        .address_space:  global
        .offset:         56
        .size:           8
        .value_kind:     global_buffer
      - .actual_access:  read_only
        .address_space:  global
        .offset:         64
        .size:           8
        .value_kind:     global_buffer
      - .offset:         72
        .size:           8
        .value_kind:     by_value
      - .address_space:  global
        .offset:         80
        .size:           8
        .value_kind:     global_buffer
      - .offset:         88
        .size:           4
        .value_kind:     by_value
      - .offset:         92
        .size:           1
        .value_kind:     by_value
    .group_segment_fixed_size: 0
    .kernarg_segment_align: 8
    .kernarg_segment_size: 96
    .language:       OpenCL C
    .language_version:
      - 2
      - 0
    .max_flat_workgroup_size: 128
    .name:           _ZN9rocsparseL18bsrxmvn_4x4_kernelILj128ELj16EfiifffEEvT3_20rocsparse_direction_NS_24const_host_device_scalarIT1_EES1_PKS1_PKT2_SA_S7_PKT4_PKT5_S5_PT6_21rocsparse_index_base_b
    .private_segment_fixed_size: 0
    .sgpr_count:     26
    .sgpr_spill_count: 0
    .symbol:         _ZN9rocsparseL18bsrxmvn_4x4_kernelILj128ELj16EfiifffEEvT3_20rocsparse_direction_NS_24const_host_device_scalarIT1_EES1_PKS1_PKT2_SA_S7_PKT4_PKT5_S5_PT6_21rocsparse_index_base_b.kd
    .uniform_work_group_size: 1
    .uses_dynamic_stack: false
    .vgpr_count:     39
    .vgpr_spill_count: 0
    .wavefront_size: 64
  - .args:
      - .offset:         0
        .size:           4
        .value_kind:     by_value
      - .offset:         4
        .size:           4
        .value_kind:     by_value
      - .offset:         8
        .size:           8
        .value_kind:     by_value
      - .offset:         16
        .size:           4
        .value_kind:     by_value
      - .actual_access:  read_only
        .address_space:  global
        .offset:         24
        .size:           8
        .value_kind:     global_buffer
      - .actual_access:  read_only
        .address_space:  global
        .offset:         32
        .size:           8
        .value_kind:     global_buffer
      - .actual_access:  read_only
        .address_space:  global
        .offset:         40
        .size:           8
        .value_kind:     global_buffer
      - .actual_access:  read_only
        .address_space:  global
        .offset:         48
        .size:           8
        .value_kind:     global_buffer
      - .actual_access:  read_only
        .address_space:  global
        .offset:         56
        .size:           8
        .value_kind:     global_buffer
      - .actual_access:  read_only
        .address_space:  global
        .offset:         64
        .size:           8
        .value_kind:     global_buffer
      - .offset:         72
        .size:           8
        .value_kind:     by_value
      - .address_space:  global
        .offset:         80
        .size:           8
        .value_kind:     global_buffer
      - .offset:         88
        .size:           4
        .value_kind:     by_value
      - .offset:         92
        .size:           1
        .value_kind:     by_value
    .group_segment_fixed_size: 0
    .kernarg_segment_align: 8
    .kernarg_segment_size: 96
    .language:       OpenCL C
    .language_version:
      - 2
      - 0
    .max_flat_workgroup_size: 128
    .name:           _ZN9rocsparseL18bsrxmvn_4x4_kernelILj128ELj32EfiifffEEvT3_20rocsparse_direction_NS_24const_host_device_scalarIT1_EES1_PKS1_PKT2_SA_S7_PKT4_PKT5_S5_PT6_21rocsparse_index_base_b
    .private_segment_fixed_size: 0
    .sgpr_count:     26
    .sgpr_spill_count: 0
    .symbol:         _ZN9rocsparseL18bsrxmvn_4x4_kernelILj128ELj32EfiifffEEvT3_20rocsparse_direction_NS_24const_host_device_scalarIT1_EES1_PKS1_PKT2_SA_S7_PKT4_PKT5_S5_PT6_21rocsparse_index_base_b.kd
    .uniform_work_group_size: 1
    .uses_dynamic_stack: false
    .vgpr_count:     41
    .vgpr_spill_count: 0
    .wavefront_size: 64
  - .args:
      - .offset:         0
        .size:           4
        .value_kind:     by_value
      - .offset:         4
        .size:           4
        .value_kind:     by_value
      - .offset:         8
        .size:           8
        .value_kind:     by_value
      - .offset:         16
        .size:           4
        .value_kind:     by_value
      - .actual_access:  read_only
        .address_space:  global
        .offset:         24
        .size:           8
        .value_kind:     global_buffer
      - .actual_access:  read_only
        .address_space:  global
        .offset:         32
        .size:           8
        .value_kind:     global_buffer
      - .actual_access:  read_only
        .address_space:  global
        .offset:         40
        .size:           8
        .value_kind:     global_buffer
      - .actual_access:  read_only
        .address_space:  global
        .offset:         48
        .size:           8
        .value_kind:     global_buffer
      - .actual_access:  read_only
        .address_space:  global
        .offset:         56
        .size:           8
        .value_kind:     global_buffer
      - .actual_access:  read_only
        .address_space:  global
        .offset:         64
        .size:           8
        .value_kind:     global_buffer
      - .offset:         72
        .size:           8
        .value_kind:     by_value
      - .address_space:  global
        .offset:         80
        .size:           8
        .value_kind:     global_buffer
      - .offset:         88
        .size:           4
        .value_kind:     by_value
      - .offset:         92
        .size:           1
        .value_kind:     by_value
    .group_segment_fixed_size: 0
    .kernarg_segment_align: 8
    .kernarg_segment_size: 96
    .language:       OpenCL C
    .language_version:
      - 2
      - 0
    .max_flat_workgroup_size: 128
    .name:           _ZN9rocsparseL18bsrxmvn_4x4_kernelILj128ELj64EfiifffEEvT3_20rocsparse_direction_NS_24const_host_device_scalarIT1_EES1_PKS1_PKT2_SA_S7_PKT4_PKT5_S5_PT6_21rocsparse_index_base_b
    .private_segment_fixed_size: 0
    .sgpr_count:     26
    .sgpr_spill_count: 0
    .symbol:         _ZN9rocsparseL18bsrxmvn_4x4_kernelILj128ELj64EfiifffEEvT3_20rocsparse_direction_NS_24const_host_device_scalarIT1_EES1_PKS1_PKT2_SA_S7_PKT4_PKT5_S5_PT6_21rocsparse_index_base_b.kd
    .uniform_work_group_size: 1
    .uses_dynamic_stack: false
    .vgpr_count:     48
    .vgpr_spill_count: 0
    .wavefront_size: 64
  - .args:
      - .offset:         0
        .size:           4
        .value_kind:     by_value
      - .offset:         4
        .size:           4
        .value_kind:     by_value
      - .offset:         8
        .size:           8
        .value_kind:     by_value
      - .offset:         16
        .size:           4
        .value_kind:     by_value
      - .actual_access:  read_only
        .address_space:  global
        .offset:         24
        .size:           8
        .value_kind:     global_buffer
      - .actual_access:  read_only
        .address_space:  global
        .offset:         32
        .size:           8
        .value_kind:     global_buffer
      - .actual_access:  read_only
        .address_space:  global
        .offset:         40
        .size:           8
        .value_kind:     global_buffer
      - .actual_access:  read_only
        .address_space:  global
        .offset:         48
        .size:           8
        .value_kind:     global_buffer
      - .actual_access:  read_only
        .address_space:  global
        .offset:         56
        .size:           8
        .value_kind:     global_buffer
      - .actual_access:  read_only
        .address_space:  global
        .offset:         64
        .size:           8
        .value_kind:     global_buffer
      - .offset:         72
        .size:           8
        .value_kind:     by_value
      - .address_space:  global
        .offset:         80
        .size:           8
        .value_kind:     global_buffer
      - .offset:         88
        .size:           4
        .value_kind:     by_value
      - .offset:         92
        .size:           1
        .value_kind:     by_value
    .group_segment_fixed_size: 0
    .kernarg_segment_align: 8
    .kernarg_segment_size: 96
    .language:       OpenCL C
    .language_version:
      - 2
      - 0
    .max_flat_workgroup_size: 128
    .name:           _ZN9rocsparseL18bsrxmvn_4x4_kernelILj128ELj4EdiidddEEvT3_20rocsparse_direction_NS_24const_host_device_scalarIT1_EES1_PKS1_PKT2_SA_S7_PKT4_PKT5_S5_PT6_21rocsparse_index_base_b
    .private_segment_fixed_size: 0
    .sgpr_count:     22
    .sgpr_spill_count: 0
    .symbol:         _ZN9rocsparseL18bsrxmvn_4x4_kernelILj128ELj4EdiidddEEvT3_20rocsparse_direction_NS_24const_host_device_scalarIT1_EES1_PKS1_PKT2_SA_S7_PKT4_PKT5_S5_PT6_21rocsparse_index_base_b.kd
    .uniform_work_group_size: 1
    .uses_dynamic_stack: false
    .vgpr_count:     65
    .vgpr_spill_count: 0
    .wavefront_size: 64
  - .args:
      - .offset:         0
        .size:           4
        .value_kind:     by_value
      - .offset:         4
        .size:           4
        .value_kind:     by_value
      - .offset:         8
        .size:           8
        .value_kind:     by_value
      - .offset:         16
        .size:           4
        .value_kind:     by_value
      - .actual_access:  read_only
        .address_space:  global
        .offset:         24
        .size:           8
        .value_kind:     global_buffer
      - .actual_access:  read_only
        .address_space:  global
        .offset:         32
        .size:           8
        .value_kind:     global_buffer
      - .actual_access:  read_only
        .address_space:  global
        .offset:         40
        .size:           8
        .value_kind:     global_buffer
      - .actual_access:  read_only
        .address_space:  global
        .offset:         48
        .size:           8
        .value_kind:     global_buffer
      - .actual_access:  read_only
        .address_space:  global
        .offset:         56
        .size:           8
        .value_kind:     global_buffer
      - .actual_access:  read_only
        .address_space:  global
        .offset:         64
        .size:           8
        .value_kind:     global_buffer
      - .offset:         72
        .size:           8
        .value_kind:     by_value
      - .address_space:  global
        .offset:         80
        .size:           8
        .value_kind:     global_buffer
      - .offset:         88
        .size:           4
        .value_kind:     by_value
      - .offset:         92
        .size:           1
        .value_kind:     by_value
    .group_segment_fixed_size: 0
    .kernarg_segment_align: 8
    .kernarg_segment_size: 96
    .language:       OpenCL C
    .language_version:
      - 2
      - 0
    .max_flat_workgroup_size: 128
    .name:           _ZN9rocsparseL18bsrxmvn_4x4_kernelILj128ELj8EdiidddEEvT3_20rocsparse_direction_NS_24const_host_device_scalarIT1_EES1_PKS1_PKT2_SA_S7_PKT4_PKT5_S5_PT6_21rocsparse_index_base_b
    .private_segment_fixed_size: 0
    .sgpr_count:     22
    .sgpr_spill_count: 0
    .symbol:         _ZN9rocsparseL18bsrxmvn_4x4_kernelILj128ELj8EdiidddEEvT3_20rocsparse_direction_NS_24const_host_device_scalarIT1_EES1_PKS1_PKT2_SA_S7_PKT4_PKT5_S5_PT6_21rocsparse_index_base_b.kd
    .uniform_work_group_size: 1
    .uses_dynamic_stack: false
    .vgpr_count:     65
    .vgpr_spill_count: 0
    .wavefront_size: 64
  - .args:
      - .offset:         0
        .size:           4
        .value_kind:     by_value
      - .offset:         4
        .size:           4
        .value_kind:     by_value
      - .offset:         8
        .size:           8
        .value_kind:     by_value
      - .offset:         16
        .size:           4
        .value_kind:     by_value
      - .actual_access:  read_only
        .address_space:  global
        .offset:         24
        .size:           8
        .value_kind:     global_buffer
      - .actual_access:  read_only
        .address_space:  global
        .offset:         32
        .size:           8
        .value_kind:     global_buffer
      - .actual_access:  read_only
        .address_space:  global
        .offset:         40
        .size:           8
        .value_kind:     global_buffer
      - .actual_access:  read_only
        .address_space:  global
        .offset:         48
        .size:           8
        .value_kind:     global_buffer
      - .actual_access:  read_only
        .address_space:  global
        .offset:         56
        .size:           8
        .value_kind:     global_buffer
      - .actual_access:  read_only
        .address_space:  global
        .offset:         64
        .size:           8
        .value_kind:     global_buffer
      - .offset:         72
        .size:           8
        .value_kind:     by_value
      - .address_space:  global
        .offset:         80
        .size:           8
        .value_kind:     global_buffer
      - .offset:         88
        .size:           4
        .value_kind:     by_value
      - .offset:         92
        .size:           1
        .value_kind:     by_value
    .group_segment_fixed_size: 0
    .kernarg_segment_align: 8
    .kernarg_segment_size: 96
    .language:       OpenCL C
    .language_version:
      - 2
      - 0
    .max_flat_workgroup_size: 128
    .name:           _ZN9rocsparseL18bsrxmvn_4x4_kernelILj128ELj16EdiidddEEvT3_20rocsparse_direction_NS_24const_host_device_scalarIT1_EES1_PKS1_PKT2_SA_S7_PKT4_PKT5_S5_PT6_21rocsparse_index_base_b
    .private_segment_fixed_size: 0
    .sgpr_count:     22
    .sgpr_spill_count: 0
    .symbol:         _ZN9rocsparseL18bsrxmvn_4x4_kernelILj128ELj16EdiidddEEvT3_20rocsparse_direction_NS_24const_host_device_scalarIT1_EES1_PKS1_PKT2_SA_S7_PKT4_PKT5_S5_PT6_21rocsparse_index_base_b.kd
    .uniform_work_group_size: 1
    .uses_dynamic_stack: false
    .vgpr_count:     65
    .vgpr_spill_count: 0
    .wavefront_size: 64
  - .args:
      - .offset:         0
        .size:           4
        .value_kind:     by_value
      - .offset:         4
        .size:           4
        .value_kind:     by_value
      - .offset:         8
        .size:           8
        .value_kind:     by_value
      - .offset:         16
        .size:           4
        .value_kind:     by_value
      - .actual_access:  read_only
        .address_space:  global
        .offset:         24
        .size:           8
        .value_kind:     global_buffer
      - .actual_access:  read_only
        .address_space:  global
        .offset:         32
        .size:           8
        .value_kind:     global_buffer
      - .actual_access:  read_only
        .address_space:  global
        .offset:         40
        .size:           8
        .value_kind:     global_buffer
      - .actual_access:  read_only
        .address_space:  global
        .offset:         48
        .size:           8
        .value_kind:     global_buffer
      - .actual_access:  read_only
        .address_space:  global
        .offset:         56
        .size:           8
        .value_kind:     global_buffer
      - .actual_access:  read_only
        .address_space:  global
        .offset:         64
        .size:           8
        .value_kind:     global_buffer
      - .offset:         72
        .size:           8
        .value_kind:     by_value
      - .address_space:  global
        .offset:         80
        .size:           8
        .value_kind:     global_buffer
      - .offset:         88
        .size:           4
        .value_kind:     by_value
      - .offset:         92
        .size:           1
        .value_kind:     by_value
    .group_segment_fixed_size: 0
    .kernarg_segment_align: 8
    .kernarg_segment_size: 96
    .language:       OpenCL C
    .language_version:
      - 2
      - 0
    .max_flat_workgroup_size: 128
    .name:           _ZN9rocsparseL18bsrxmvn_4x4_kernelILj128ELj32EdiidddEEvT3_20rocsparse_direction_NS_24const_host_device_scalarIT1_EES1_PKS1_PKT2_SA_S7_PKT4_PKT5_S5_PT6_21rocsparse_index_base_b
    .private_segment_fixed_size: 0
    .sgpr_count:     26
    .sgpr_spill_count: 0
    .symbol:         _ZN9rocsparseL18bsrxmvn_4x4_kernelILj128ELj32EdiidddEEvT3_20rocsparse_direction_NS_24const_host_device_scalarIT1_EES1_PKS1_PKT2_SA_S7_PKT4_PKT5_S5_PT6_21rocsparse_index_base_b.kd
    .uniform_work_group_size: 1
    .uses_dynamic_stack: false
    .vgpr_count:     65
    .vgpr_spill_count: 0
    .wavefront_size: 64
  - .args:
      - .offset:         0
        .size:           4
        .value_kind:     by_value
      - .offset:         4
        .size:           4
        .value_kind:     by_value
      - .offset:         8
        .size:           8
        .value_kind:     by_value
      - .offset:         16
        .size:           4
        .value_kind:     by_value
      - .actual_access:  read_only
        .address_space:  global
        .offset:         24
        .size:           8
        .value_kind:     global_buffer
      - .actual_access:  read_only
        .address_space:  global
        .offset:         32
        .size:           8
        .value_kind:     global_buffer
      - .actual_access:  read_only
        .address_space:  global
        .offset:         40
        .size:           8
        .value_kind:     global_buffer
      - .actual_access:  read_only
        .address_space:  global
        .offset:         48
        .size:           8
        .value_kind:     global_buffer
      - .actual_access:  read_only
        .address_space:  global
        .offset:         56
        .size:           8
        .value_kind:     global_buffer
      - .actual_access:  read_only
        .address_space:  global
        .offset:         64
        .size:           8
        .value_kind:     global_buffer
      - .offset:         72
        .size:           8
        .value_kind:     by_value
      - .address_space:  global
        .offset:         80
        .size:           8
        .value_kind:     global_buffer
      - .offset:         88
        .size:           4
        .value_kind:     by_value
      - .offset:         92
        .size:           1
        .value_kind:     by_value
    .group_segment_fixed_size: 0
    .kernarg_segment_align: 8
    .kernarg_segment_size: 96
    .language:       OpenCL C
    .language_version:
      - 2
      - 0
    .max_flat_workgroup_size: 128
    .name:           _ZN9rocsparseL18bsrxmvn_4x4_kernelILj128ELj64EdiidddEEvT3_20rocsparse_direction_NS_24const_host_device_scalarIT1_EES1_PKS1_PKT2_SA_S7_PKT4_PKT5_S5_PT6_21rocsparse_index_base_b
    .private_segment_fixed_size: 0
    .sgpr_count:     26
    .sgpr_spill_count: 0
    .symbol:         _ZN9rocsparseL18bsrxmvn_4x4_kernelILj128ELj64EdiidddEEvT3_20rocsparse_direction_NS_24const_host_device_scalarIT1_EES1_PKS1_PKT2_SA_S7_PKT4_PKT5_S5_PT6_21rocsparse_index_base_b.kd
    .uniform_work_group_size: 1
    .uses_dynamic_stack: false
    .vgpr_count:     65
    .vgpr_spill_count: 0
    .wavefront_size: 64
  - .args:
      - .offset:         0
        .size:           4
        .value_kind:     by_value
      - .offset:         4
        .size:           4
        .value_kind:     by_value
      - .offset:         8
        .size:           8
        .value_kind:     by_value
      - .offset:         16
        .size:           4
        .value_kind:     by_value
      - .actual_access:  read_only
        .address_space:  global
        .offset:         24
        .size:           8
        .value_kind:     global_buffer
      - .actual_access:  read_only
        .address_space:  global
        .offset:         32
        .size:           8
        .value_kind:     global_buffer
      - .actual_access:  read_only
        .address_space:  global
        .offset:         40
        .size:           8
        .value_kind:     global_buffer
      - .actual_access:  read_only
        .address_space:  global
        .offset:         48
        .size:           8
        .value_kind:     global_buffer
      - .actual_access:  read_only
        .address_space:  global
        .offset:         56
        .size:           8
        .value_kind:     global_buffer
      - .actual_access:  read_only
        .address_space:  global
        .offset:         64
        .size:           8
        .value_kind:     global_buffer
      - .offset:         72
        .size:           8
        .value_kind:     by_value
      - .address_space:  global
        .offset:         80
        .size:           8
        .value_kind:     global_buffer
      - .offset:         88
        .size:           4
        .value_kind:     by_value
      - .offset:         92
        .size:           1
        .value_kind:     by_value
    .group_segment_fixed_size: 0
    .kernarg_segment_align: 8
    .kernarg_segment_size: 96
    .language:       OpenCL C
    .language_version:
      - 2
      - 0
    .max_flat_workgroup_size: 128
    .name:           _ZN9rocsparseL18bsrxmvn_4x4_kernelILj128ELj4E21rocsparse_complex_numIfEiiS2_S2_S2_EEvT3_20rocsparse_direction_NS_24const_host_device_scalarIT1_EES3_PKS3_PKT2_SC_S9_PKT4_PKT5_S7_PT6_21rocsparse_index_base_b
    .private_segment_fixed_size: 0
    .sgpr_count:     22
    .sgpr_spill_count: 0
    .symbol:         _ZN9rocsparseL18bsrxmvn_4x4_kernelILj128ELj4E21rocsparse_complex_numIfEiiS2_S2_S2_EEvT3_20rocsparse_direction_NS_24const_host_device_scalarIT1_EES3_PKS3_PKT2_SC_S9_PKT4_PKT5_S7_PT6_21rocsparse_index_base_b.kd
    .uniform_work_group_size: 1
    .uses_dynamic_stack: false
    .vgpr_count:     65
    .vgpr_spill_count: 0
    .wavefront_size: 64
  - .args:
      - .offset:         0
        .size:           4
        .value_kind:     by_value
      - .offset:         4
        .size:           4
        .value_kind:     by_value
      - .offset:         8
        .size:           8
        .value_kind:     by_value
      - .offset:         16
        .size:           4
        .value_kind:     by_value
      - .actual_access:  read_only
        .address_space:  global
        .offset:         24
        .size:           8
        .value_kind:     global_buffer
      - .actual_access:  read_only
        .address_space:  global
        .offset:         32
        .size:           8
        .value_kind:     global_buffer
      - .actual_access:  read_only
        .address_space:  global
        .offset:         40
        .size:           8
        .value_kind:     global_buffer
      - .actual_access:  read_only
        .address_space:  global
        .offset:         48
        .size:           8
        .value_kind:     global_buffer
      - .actual_access:  read_only
        .address_space:  global
        .offset:         56
        .size:           8
        .value_kind:     global_buffer
      - .actual_access:  read_only
        .address_space:  global
        .offset:         64
        .size:           8
        .value_kind:     global_buffer
      - .offset:         72
        .size:           8
        .value_kind:     by_value
      - .address_space:  global
        .offset:         80
        .size:           8
        .value_kind:     global_buffer
      - .offset:         88
        .size:           4
        .value_kind:     by_value
      - .offset:         92
        .size:           1
        .value_kind:     by_value
    .group_segment_fixed_size: 0
    .kernarg_segment_align: 8
    .kernarg_segment_size: 96
    .language:       OpenCL C
    .language_version:
      - 2
      - 0
    .max_flat_workgroup_size: 128
    .name:           _ZN9rocsparseL18bsrxmvn_4x4_kernelILj128ELj8E21rocsparse_complex_numIfEiiS2_S2_S2_EEvT3_20rocsparse_direction_NS_24const_host_device_scalarIT1_EES3_PKS3_PKT2_SC_S9_PKT4_PKT5_S7_PT6_21rocsparse_index_base_b
    .private_segment_fixed_size: 0
    .sgpr_count:     22
    .sgpr_spill_count: 0
    .symbol:         _ZN9rocsparseL18bsrxmvn_4x4_kernelILj128ELj8E21rocsparse_complex_numIfEiiS2_S2_S2_EEvT3_20rocsparse_direction_NS_24const_host_device_scalarIT1_EES3_PKS3_PKT2_SC_S9_PKT4_PKT5_S7_PT6_21rocsparse_index_base_b.kd
    .uniform_work_group_size: 1
    .uses_dynamic_stack: false
    .vgpr_count:     65
    .vgpr_spill_count: 0
    .wavefront_size: 64
  - .args:
      - .offset:         0
        .size:           4
        .value_kind:     by_value
      - .offset:         4
        .size:           4
        .value_kind:     by_value
      - .offset:         8
        .size:           8
        .value_kind:     by_value
      - .offset:         16
        .size:           4
        .value_kind:     by_value
      - .actual_access:  read_only
        .address_space:  global
        .offset:         24
        .size:           8
        .value_kind:     global_buffer
      - .actual_access:  read_only
        .address_space:  global
        .offset:         32
        .size:           8
        .value_kind:     global_buffer
      - .actual_access:  read_only
        .address_space:  global
        .offset:         40
        .size:           8
        .value_kind:     global_buffer
      - .actual_access:  read_only
        .address_space:  global
        .offset:         48
        .size:           8
        .value_kind:     global_buffer
      - .actual_access:  read_only
        .address_space:  global
        .offset:         56
        .size:           8
        .value_kind:     global_buffer
      - .actual_access:  read_only
        .address_space:  global
        .offset:         64
        .size:           8
        .value_kind:     global_buffer
      - .offset:         72
        .size:           8
        .value_kind:     by_value
      - .address_space:  global
        .offset:         80
        .size:           8
        .value_kind:     global_buffer
      - .offset:         88
        .size:           4
        .value_kind:     by_value
      - .offset:         92
        .size:           1
        .value_kind:     by_value
    .group_segment_fixed_size: 0
    .kernarg_segment_align: 8
    .kernarg_segment_size: 96
    .language:       OpenCL C
    .language_version:
      - 2
      - 0
    .max_flat_workgroup_size: 128
    .name:           _ZN9rocsparseL18bsrxmvn_4x4_kernelILj128ELj16E21rocsparse_complex_numIfEiiS2_S2_S2_EEvT3_20rocsparse_direction_NS_24const_host_device_scalarIT1_EES3_PKS3_PKT2_SC_S9_PKT4_PKT5_S7_PT6_21rocsparse_index_base_b
    .private_segment_fixed_size: 0
    .sgpr_count:     22
    .sgpr_spill_count: 0
    .symbol:         _ZN9rocsparseL18bsrxmvn_4x4_kernelILj128ELj16E21rocsparse_complex_numIfEiiS2_S2_S2_EEvT3_20rocsparse_direction_NS_24const_host_device_scalarIT1_EES3_PKS3_PKT2_SC_S9_PKT4_PKT5_S7_PT6_21rocsparse_index_base_b.kd
    .uniform_work_group_size: 1
    .uses_dynamic_stack: false
    .vgpr_count:     65
    .vgpr_spill_count: 0
    .wavefront_size: 64
  - .args:
      - .offset:         0
        .size:           4
        .value_kind:     by_value
      - .offset:         4
        .size:           4
        .value_kind:     by_value
      - .offset:         8
        .size:           8
        .value_kind:     by_value
      - .offset:         16
        .size:           4
        .value_kind:     by_value
      - .actual_access:  read_only
        .address_space:  global
        .offset:         24
        .size:           8
        .value_kind:     global_buffer
      - .actual_access:  read_only
        .address_space:  global
        .offset:         32
        .size:           8
        .value_kind:     global_buffer
      - .actual_access:  read_only
        .address_space:  global
        .offset:         40
        .size:           8
        .value_kind:     global_buffer
      - .actual_access:  read_only
        .address_space:  global
        .offset:         48
        .size:           8
        .value_kind:     global_buffer
      - .actual_access:  read_only
        .address_space:  global
        .offset:         56
        .size:           8
        .value_kind:     global_buffer
      - .actual_access:  read_only
        .address_space:  global
        .offset:         64
        .size:           8
        .value_kind:     global_buffer
      - .offset:         72
        .size:           8
        .value_kind:     by_value
      - .address_space:  global
        .offset:         80
        .size:           8
        .value_kind:     global_buffer
      - .offset:         88
        .size:           4
        .value_kind:     by_value
      - .offset:         92
        .size:           1
        .value_kind:     by_value
    .group_segment_fixed_size: 0
    .kernarg_segment_align: 8
    .kernarg_segment_size: 96
    .language:       OpenCL C
    .language_version:
      - 2
      - 0
    .max_flat_workgroup_size: 128
    .name:           _ZN9rocsparseL18bsrxmvn_4x4_kernelILj128ELj32E21rocsparse_complex_numIfEiiS2_S2_S2_EEvT3_20rocsparse_direction_NS_24const_host_device_scalarIT1_EES3_PKS3_PKT2_SC_S9_PKT4_PKT5_S7_PT6_21rocsparse_index_base_b
    .private_segment_fixed_size: 0
    .sgpr_count:     26
    .sgpr_spill_count: 0
    .symbol:         _ZN9rocsparseL18bsrxmvn_4x4_kernelILj128ELj32E21rocsparse_complex_numIfEiiS2_S2_S2_EEvT3_20rocsparse_direction_NS_24const_host_device_scalarIT1_EES3_PKS3_PKT2_SC_S9_PKT4_PKT5_S7_PT6_21rocsparse_index_base_b.kd
    .uniform_work_group_size: 1
    .uses_dynamic_stack: false
    .vgpr_count:     65
    .vgpr_spill_count: 0
    .wavefront_size: 64
  - .args:
      - .offset:         0
        .size:           4
        .value_kind:     by_value
      - .offset:         4
        .size:           4
        .value_kind:     by_value
      - .offset:         8
        .size:           8
        .value_kind:     by_value
      - .offset:         16
        .size:           4
        .value_kind:     by_value
      - .actual_access:  read_only
        .address_space:  global
        .offset:         24
        .size:           8
        .value_kind:     global_buffer
      - .actual_access:  read_only
        .address_space:  global
        .offset:         32
        .size:           8
        .value_kind:     global_buffer
      - .actual_access:  read_only
        .address_space:  global
        .offset:         40
        .size:           8
        .value_kind:     global_buffer
      - .actual_access:  read_only
        .address_space:  global
        .offset:         48
        .size:           8
        .value_kind:     global_buffer
      - .actual_access:  read_only
        .address_space:  global
        .offset:         56
        .size:           8
        .value_kind:     global_buffer
      - .actual_access:  read_only
        .address_space:  global
        .offset:         64
        .size:           8
        .value_kind:     global_buffer
      - .offset:         72
        .size:           8
        .value_kind:     by_value
      - .address_space:  global
        .offset:         80
        .size:           8
        .value_kind:     global_buffer
      - .offset:         88
        .size:           4
        .value_kind:     by_value
      - .offset:         92
        .size:           1
        .value_kind:     by_value
    .group_segment_fixed_size: 0
    .kernarg_segment_align: 8
    .kernarg_segment_size: 96
    .language:       OpenCL C
    .language_version:
      - 2
      - 0
    .max_flat_workgroup_size: 128
    .name:           _ZN9rocsparseL18bsrxmvn_4x4_kernelILj128ELj64E21rocsparse_complex_numIfEiiS2_S2_S2_EEvT3_20rocsparse_direction_NS_24const_host_device_scalarIT1_EES3_PKS3_PKT2_SC_S9_PKT4_PKT5_S7_PT6_21rocsparse_index_base_b
    .private_segment_fixed_size: 0
    .sgpr_count:     26
    .sgpr_spill_count: 0
    .symbol:         _ZN9rocsparseL18bsrxmvn_4x4_kernelILj128ELj64E21rocsparse_complex_numIfEiiS2_S2_S2_EEvT3_20rocsparse_direction_NS_24const_host_device_scalarIT1_EES3_PKS3_PKT2_SC_S9_PKT4_PKT5_S7_PT6_21rocsparse_index_base_b.kd
    .uniform_work_group_size: 1
    .uses_dynamic_stack: false
    .vgpr_count:     65
    .vgpr_spill_count: 0
    .wavefront_size: 64
  - .args:
      - .offset:         0
        .size:           4
        .value_kind:     by_value
      - .offset:         4
        .size:           4
        .value_kind:     by_value
      - .offset:         8
        .size:           16
        .value_kind:     by_value
      - .offset:         24
        .size:           4
        .value_kind:     by_value
      - .actual_access:  read_only
        .address_space:  global
        .offset:         32
        .size:           8
        .value_kind:     global_buffer
      - .actual_access:  read_only
        .address_space:  global
        .offset:         40
        .size:           8
        .value_kind:     global_buffer
      - .actual_access:  read_only
        .address_space:  global
        .offset:         48
        .size:           8
        .value_kind:     global_buffer
      - .actual_access:  read_only
        .address_space:  global
        .offset:         56
        .size:           8
        .value_kind:     global_buffer
      - .actual_access:  read_only
        .address_space:  global
        .offset:         64
        .size:           8
        .value_kind:     global_buffer
      - .actual_access:  read_only
        .address_space:  global
        .offset:         72
        .size:           8
        .value_kind:     global_buffer
      - .offset:         80
        .size:           16
        .value_kind:     by_value
      - .address_space:  global
        .offset:         96
        .size:           8
        .value_kind:     global_buffer
      - .offset:         104
        .size:           4
        .value_kind:     by_value
      - .offset:         108
        .size:           1
        .value_kind:     by_value
    .group_segment_fixed_size: 0
    .kernarg_segment_align: 8
    .kernarg_segment_size: 112
    .language:       OpenCL C
    .language_version:
      - 2
      - 0
    .max_flat_workgroup_size: 128
    .name:           _ZN9rocsparseL18bsrxmvn_4x4_kernelILj128ELj4E21rocsparse_complex_numIdEiiS2_S2_S2_EEvT3_20rocsparse_direction_NS_24const_host_device_scalarIT1_EES3_PKS3_PKT2_SC_S9_PKT4_PKT5_S7_PT6_21rocsparse_index_base_b
    .private_segment_fixed_size: 0
    .sgpr_count:     22
    .sgpr_spill_count: 0
    .symbol:         _ZN9rocsparseL18bsrxmvn_4x4_kernelILj128ELj4E21rocsparse_complex_numIdEiiS2_S2_S2_EEvT3_20rocsparse_direction_NS_24const_host_device_scalarIT1_EES3_PKS3_PKT2_SC_S9_PKT4_PKT5_S7_PT6_21rocsparse_index_base_b.kd
    .uniform_work_group_size: 1
    .uses_dynamic_stack: false
    .vgpr_count:     83
    .vgpr_spill_count: 0
    .wavefront_size: 64
  - .args:
      - .offset:         0
        .size:           4
        .value_kind:     by_value
      - .offset:         4
        .size:           4
        .value_kind:     by_value
      - .offset:         8
        .size:           16
        .value_kind:     by_value
      - .offset:         24
        .size:           4
        .value_kind:     by_value
      - .actual_access:  read_only
        .address_space:  global
        .offset:         32
        .size:           8
        .value_kind:     global_buffer
      - .actual_access:  read_only
        .address_space:  global
        .offset:         40
        .size:           8
        .value_kind:     global_buffer
      - .actual_access:  read_only
        .address_space:  global
        .offset:         48
        .size:           8
        .value_kind:     global_buffer
      - .actual_access:  read_only
        .address_space:  global
        .offset:         56
        .size:           8
        .value_kind:     global_buffer
      - .actual_access:  read_only
        .address_space:  global
        .offset:         64
        .size:           8
        .value_kind:     global_buffer
      - .actual_access:  read_only
        .address_space:  global
        .offset:         72
        .size:           8
        .value_kind:     global_buffer
      - .offset:         80
        .size:           16
        .value_kind:     by_value
      - .address_space:  global
        .offset:         96
        .size:           8
        .value_kind:     global_buffer
      - .offset:         104
        .size:           4
        .value_kind:     by_value
      - .offset:         108
        .size:           1
        .value_kind:     by_value
    .group_segment_fixed_size: 0
    .kernarg_segment_align: 8
    .kernarg_segment_size: 112
    .language:       OpenCL C
    .language_version:
      - 2
      - 0
    .max_flat_workgroup_size: 128
    .name:           _ZN9rocsparseL18bsrxmvn_4x4_kernelILj128ELj8E21rocsparse_complex_numIdEiiS2_S2_S2_EEvT3_20rocsparse_direction_NS_24const_host_device_scalarIT1_EES3_PKS3_PKT2_SC_S9_PKT4_PKT5_S7_PT6_21rocsparse_index_base_b
    .private_segment_fixed_size: 0
    .sgpr_count:     22
    .sgpr_spill_count: 0
    .symbol:         _ZN9rocsparseL18bsrxmvn_4x4_kernelILj128ELj8E21rocsparse_complex_numIdEiiS2_S2_S2_EEvT3_20rocsparse_direction_NS_24const_host_device_scalarIT1_EES3_PKS3_PKT2_SC_S9_PKT4_PKT5_S7_PT6_21rocsparse_index_base_b.kd
    .uniform_work_group_size: 1
    .uses_dynamic_stack: false
    .vgpr_count:     83
    .vgpr_spill_count: 0
    .wavefront_size: 64
  - .args:
      - .offset:         0
        .size:           4
        .value_kind:     by_value
      - .offset:         4
        .size:           4
        .value_kind:     by_value
      - .offset:         8
        .size:           16
        .value_kind:     by_value
      - .offset:         24
        .size:           4
        .value_kind:     by_value
      - .actual_access:  read_only
        .address_space:  global
        .offset:         32
        .size:           8
        .value_kind:     global_buffer
      - .actual_access:  read_only
        .address_space:  global
        .offset:         40
        .size:           8
        .value_kind:     global_buffer
      - .actual_access:  read_only
        .address_space:  global
        .offset:         48
        .size:           8
        .value_kind:     global_buffer
      - .actual_access:  read_only
        .address_space:  global
        .offset:         56
        .size:           8
        .value_kind:     global_buffer
      - .actual_access:  read_only
        .address_space:  global
        .offset:         64
        .size:           8
        .value_kind:     global_buffer
      - .actual_access:  read_only
        .address_space:  global
        .offset:         72
        .size:           8
        .value_kind:     global_buffer
      - .offset:         80
        .size:           16
        .value_kind:     by_value
      - .address_space:  global
        .offset:         96
        .size:           8
        .value_kind:     global_buffer
      - .offset:         104
        .size:           4
        .value_kind:     by_value
      - .offset:         108
        .size:           1
        .value_kind:     by_value
    .group_segment_fixed_size: 0
    .kernarg_segment_align: 8
    .kernarg_segment_size: 112
    .language:       OpenCL C
    .language_version:
      - 2
      - 0
    .max_flat_workgroup_size: 128
    .name:           _ZN9rocsparseL18bsrxmvn_4x4_kernelILj128ELj16E21rocsparse_complex_numIdEiiS2_S2_S2_EEvT3_20rocsparse_direction_NS_24const_host_device_scalarIT1_EES3_PKS3_PKT2_SC_S9_PKT4_PKT5_S7_PT6_21rocsparse_index_base_b
    .private_segment_fixed_size: 0
    .sgpr_count:     24
    .sgpr_spill_count: 0
    .symbol:         _ZN9rocsparseL18bsrxmvn_4x4_kernelILj128ELj16E21rocsparse_complex_numIdEiiS2_S2_S2_EEvT3_20rocsparse_direction_NS_24const_host_device_scalarIT1_EES3_PKS3_PKT2_SC_S9_PKT4_PKT5_S7_PT6_21rocsparse_index_base_b.kd
    .uniform_work_group_size: 1
    .uses_dynamic_stack: false
    .vgpr_count:     85
    .vgpr_spill_count: 0
    .wavefront_size: 64
  - .args:
      - .offset:         0
        .size:           4
        .value_kind:     by_value
      - .offset:         4
        .size:           4
        .value_kind:     by_value
      - .offset:         8
        .size:           16
        .value_kind:     by_value
      - .offset:         24
        .size:           4
        .value_kind:     by_value
      - .actual_access:  read_only
        .address_space:  global
        .offset:         32
        .size:           8
        .value_kind:     global_buffer
      - .actual_access:  read_only
        .address_space:  global
        .offset:         40
        .size:           8
        .value_kind:     global_buffer
      - .actual_access:  read_only
        .address_space:  global
        .offset:         48
        .size:           8
        .value_kind:     global_buffer
      - .actual_access:  read_only
        .address_space:  global
        .offset:         56
        .size:           8
        .value_kind:     global_buffer
      - .actual_access:  read_only
        .address_space:  global
        .offset:         64
        .size:           8
        .value_kind:     global_buffer
      - .actual_access:  read_only
        .address_space:  global
        .offset:         72
        .size:           8
        .value_kind:     global_buffer
      - .offset:         80
        .size:           16
        .value_kind:     by_value
      - .address_space:  global
        .offset:         96
        .size:           8
        .value_kind:     global_buffer
      - .offset:         104
        .size:           4
        .value_kind:     by_value
      - .offset:         108
        .size:           1
        .value_kind:     by_value
    .group_segment_fixed_size: 0
    .kernarg_segment_align: 8
    .kernarg_segment_size: 112
    .language:       OpenCL C
    .language_version:
      - 2
      - 0
    .max_flat_workgroup_size: 128
    .name:           _ZN9rocsparseL18bsrxmvn_4x4_kernelILj128ELj32E21rocsparse_complex_numIdEiiS2_S2_S2_EEvT3_20rocsparse_direction_NS_24const_host_device_scalarIT1_EES3_PKS3_PKT2_SC_S9_PKT4_PKT5_S7_PT6_21rocsparse_index_base_b
    .private_segment_fixed_size: 0
    .sgpr_count:     24
    .sgpr_spill_count: 0
    .symbol:         _ZN9rocsparseL18bsrxmvn_4x4_kernelILj128ELj32E21rocsparse_complex_numIdEiiS2_S2_S2_EEvT3_20rocsparse_direction_NS_24const_host_device_scalarIT1_EES3_PKS3_PKT2_SC_S9_PKT4_PKT5_S7_PT6_21rocsparse_index_base_b.kd
    .uniform_work_group_size: 1
    .uses_dynamic_stack: false
    .vgpr_count:     83
    .vgpr_spill_count: 0
    .wavefront_size: 64
  - .args:
      - .offset:         0
        .size:           4
        .value_kind:     by_value
      - .offset:         4
        .size:           4
        .value_kind:     by_value
      - .offset:         8
        .size:           16
        .value_kind:     by_value
      - .offset:         24
        .size:           4
        .value_kind:     by_value
      - .actual_access:  read_only
        .address_space:  global
        .offset:         32
        .size:           8
        .value_kind:     global_buffer
      - .actual_access:  read_only
        .address_space:  global
        .offset:         40
        .size:           8
        .value_kind:     global_buffer
      - .actual_access:  read_only
        .address_space:  global
        .offset:         48
        .size:           8
        .value_kind:     global_buffer
      - .actual_access:  read_only
        .address_space:  global
        .offset:         56
        .size:           8
        .value_kind:     global_buffer
      - .actual_access:  read_only
        .address_space:  global
        .offset:         64
        .size:           8
        .value_kind:     global_buffer
      - .actual_access:  read_only
        .address_space:  global
        .offset:         72
        .size:           8
        .value_kind:     global_buffer
      - .offset:         80
        .size:           16
        .value_kind:     by_value
      - .address_space:  global
        .offset:         96
        .size:           8
        .value_kind:     global_buffer
      - .offset:         104
        .size:           4
        .value_kind:     by_value
      - .offset:         108
        .size:           1
        .value_kind:     by_value
    .group_segment_fixed_size: 0
    .kernarg_segment_align: 8
    .kernarg_segment_size: 112
    .language:       OpenCL C
    .language_version:
      - 2
      - 0
    .max_flat_workgroup_size: 128
    .name:           _ZN9rocsparseL18bsrxmvn_4x4_kernelILj128ELj64E21rocsparse_complex_numIdEiiS2_S2_S2_EEvT3_20rocsparse_direction_NS_24const_host_device_scalarIT1_EES3_PKS3_PKT2_SC_S9_PKT4_PKT5_S7_PT6_21rocsparse_index_base_b
    .private_segment_fixed_size: 0
    .sgpr_count:     24
    .sgpr_spill_count: 0
    .symbol:         _ZN9rocsparseL18bsrxmvn_4x4_kernelILj128ELj64E21rocsparse_complex_numIdEiiS2_S2_S2_EEvT3_20rocsparse_direction_NS_24const_host_device_scalarIT1_EES3_PKS3_PKT2_SC_S9_PKT4_PKT5_S7_PT6_21rocsparse_index_base_b.kd
    .uniform_work_group_size: 1
    .uses_dynamic_stack: false
    .vgpr_count:     83
    .vgpr_spill_count: 0
    .wavefront_size: 64
  - .args:
      - .offset:         0
        .size:           4
        .value_kind:     by_value
      - .offset:         4
        .size:           4
        .value_kind:     by_value
      - .offset:         8
        .size:           8
        .value_kind:     by_value
      - .offset:         16
        .size:           4
        .value_kind:     by_value
      - .actual_access:  read_only
        .address_space:  global
        .offset:         24
        .size:           8
        .value_kind:     global_buffer
      - .actual_access:  read_only
        .address_space:  global
        .offset:         32
        .size:           8
        .value_kind:     global_buffer
      - .actual_access:  read_only
        .address_space:  global
        .offset:         40
        .size:           8
        .value_kind:     global_buffer
      - .actual_access:  read_only
        .address_space:  global
        .offset:         48
        .size:           8
        .value_kind:     global_buffer
      - .actual_access:  read_only
        .address_space:  global
        .offset:         56
        .size:           8
        .value_kind:     global_buffer
      - .actual_access:  read_only
        .address_space:  global
        .offset:         64
        .size:           8
        .value_kind:     global_buffer
      - .offset:         72
        .size:           8
        .value_kind:     by_value
      - .address_space:  global
        .offset:         80
        .size:           8
        .value_kind:     global_buffer
      - .offset:         88
        .size:           4
        .value_kind:     by_value
      - .offset:         92
        .size:           1
        .value_kind:     by_value
    .group_segment_fixed_size: 0
    .kernarg_segment_align: 8
    .kernarg_segment_size: 96
    .language:       OpenCL C
    .language_version:
      - 2
      - 0
    .max_flat_workgroup_size: 128
    .name:           _ZN9rocsparseL18bsrxmvn_4x4_kernelILj128ELj4EflifffEEvT3_20rocsparse_direction_NS_24const_host_device_scalarIT1_EES1_PKS1_PKT2_SA_S7_PKT4_PKT5_S5_PT6_21rocsparse_index_base_b
    .private_segment_fixed_size: 0
    .sgpr_count:     26
    .sgpr_spill_count: 0
    .symbol:         _ZN9rocsparseL18bsrxmvn_4x4_kernelILj128ELj4EflifffEEvT3_20rocsparse_direction_NS_24const_host_device_scalarIT1_EES1_PKS1_PKT2_SA_S7_PKT4_PKT5_S5_PT6_21rocsparse_index_base_b.kd
    .uniform_work_group_size: 1
    .uses_dynamic_stack: false
    .vgpr_count:     55
    .vgpr_spill_count: 0
    .wavefront_size: 64
  - .args:
      - .offset:         0
        .size:           4
        .value_kind:     by_value
      - .offset:         4
        .size:           4
        .value_kind:     by_value
      - .offset:         8
        .size:           8
        .value_kind:     by_value
      - .offset:         16
        .size:           4
        .value_kind:     by_value
      - .actual_access:  read_only
        .address_space:  global
        .offset:         24
        .size:           8
        .value_kind:     global_buffer
      - .actual_access:  read_only
        .address_space:  global
        .offset:         32
        .size:           8
        .value_kind:     global_buffer
      - .actual_access:  read_only
        .address_space:  global
        .offset:         40
        .size:           8
        .value_kind:     global_buffer
      - .actual_access:  read_only
        .address_space:  global
        .offset:         48
        .size:           8
        .value_kind:     global_buffer
      - .actual_access:  read_only
        .address_space:  global
        .offset:         56
        .size:           8
        .value_kind:     global_buffer
      - .actual_access:  read_only
        .address_space:  global
        .offset:         64
        .size:           8
        .value_kind:     global_buffer
      - .offset:         72
        .size:           8
        .value_kind:     by_value
      - .address_space:  global
        .offset:         80
        .size:           8
        .value_kind:     global_buffer
      - .offset:         88
        .size:           4
        .value_kind:     by_value
      - .offset:         92
        .size:           1
        .value_kind:     by_value
    .group_segment_fixed_size: 0
    .kernarg_segment_align: 8
    .kernarg_segment_size: 96
    .language:       OpenCL C
    .language_version:
      - 2
      - 0
    .max_flat_workgroup_size: 128
    .name:           _ZN9rocsparseL18bsrxmvn_4x4_kernelILj128ELj8EflifffEEvT3_20rocsparse_direction_NS_24const_host_device_scalarIT1_EES1_PKS1_PKT2_SA_S7_PKT4_PKT5_S5_PT6_21rocsparse_index_base_b
    .private_segment_fixed_size: 0
    .sgpr_count:     26
    .sgpr_spill_count: 0
    .symbol:         _ZN9rocsparseL18bsrxmvn_4x4_kernelILj128ELj8EflifffEEvT3_20rocsparse_direction_NS_24const_host_device_scalarIT1_EES1_PKS1_PKT2_SA_S7_PKT4_PKT5_S5_PT6_21rocsparse_index_base_b.kd
    .uniform_work_group_size: 1
    .uses_dynamic_stack: false
    .vgpr_count:     55
    .vgpr_spill_count: 0
    .wavefront_size: 64
  - .args:
      - .offset:         0
        .size:           4
        .value_kind:     by_value
      - .offset:         4
        .size:           4
        .value_kind:     by_value
      - .offset:         8
        .size:           8
        .value_kind:     by_value
      - .offset:         16
        .size:           4
        .value_kind:     by_value
      - .actual_access:  read_only
        .address_space:  global
        .offset:         24
        .size:           8
        .value_kind:     global_buffer
      - .actual_access:  read_only
        .address_space:  global
        .offset:         32
        .size:           8
        .value_kind:     global_buffer
      - .actual_access:  read_only
        .address_space:  global
        .offset:         40
        .size:           8
        .value_kind:     global_buffer
      - .actual_access:  read_only
        .address_space:  global
        .offset:         48
        .size:           8
        .value_kind:     global_buffer
      - .actual_access:  read_only
        .address_space:  global
        .offset:         56
        .size:           8
        .value_kind:     global_buffer
      - .actual_access:  read_only
        .address_space:  global
        .offset:         64
        .size:           8
        .value_kind:     global_buffer
      - .offset:         72
        .size:           8
        .value_kind:     by_value
      - .address_space:  global
        .offset:         80
        .size:           8
        .value_kind:     global_buffer
      - .offset:         88
        .size:           4
        .value_kind:     by_value
      - .offset:         92
        .size:           1
        .value_kind:     by_value
    .group_segment_fixed_size: 0
    .kernarg_segment_align: 8
    .kernarg_segment_size: 96
    .language:       OpenCL C
    .language_version:
      - 2
      - 0
    .max_flat_workgroup_size: 128
    .name:           _ZN9rocsparseL18bsrxmvn_4x4_kernelILj128ELj16EflifffEEvT3_20rocsparse_direction_NS_24const_host_device_scalarIT1_EES1_PKS1_PKT2_SA_S7_PKT4_PKT5_S5_PT6_21rocsparse_index_base_b
    .private_segment_fixed_size: 0
    .sgpr_count:     26
    .sgpr_spill_count: 0
    .symbol:         _ZN9rocsparseL18bsrxmvn_4x4_kernelILj128ELj16EflifffEEvT3_20rocsparse_direction_NS_24const_host_device_scalarIT1_EES1_PKS1_PKT2_SA_S7_PKT4_PKT5_S5_PT6_21rocsparse_index_base_b.kd
    .uniform_work_group_size: 1
    .uses_dynamic_stack: false
    .vgpr_count:     55
    .vgpr_spill_count: 0
    .wavefront_size: 64
  - .args:
      - .offset:         0
        .size:           4
        .value_kind:     by_value
      - .offset:         4
        .size:           4
        .value_kind:     by_value
      - .offset:         8
        .size:           8
        .value_kind:     by_value
      - .offset:         16
        .size:           4
        .value_kind:     by_value
      - .actual_access:  read_only
        .address_space:  global
        .offset:         24
        .size:           8
        .value_kind:     global_buffer
      - .actual_access:  read_only
        .address_space:  global
        .offset:         32
        .size:           8
        .value_kind:     global_buffer
      - .actual_access:  read_only
        .address_space:  global
        .offset:         40
        .size:           8
        .value_kind:     global_buffer
      - .actual_access:  read_only
        .address_space:  global
        .offset:         48
        .size:           8
        .value_kind:     global_buffer
      - .actual_access:  read_only
        .address_space:  global
        .offset:         56
        .size:           8
        .value_kind:     global_buffer
      - .actual_access:  read_only
        .address_space:  global
        .offset:         64
        .size:           8
        .value_kind:     global_buffer
      - .offset:         72
        .size:           8
        .value_kind:     by_value
      - .address_space:  global
        .offset:         80
        .size:           8
        .value_kind:     global_buffer
      - .offset:         88
        .size:           4
        .value_kind:     by_value
      - .offset:         92
        .size:           1
        .value_kind:     by_value
    .group_segment_fixed_size: 0
    .kernarg_segment_align: 8
    .kernarg_segment_size: 96
    .language:       OpenCL C
    .language_version:
      - 2
      - 0
    .max_flat_workgroup_size: 128
    .name:           _ZN9rocsparseL18bsrxmvn_4x4_kernelILj128ELj32EflifffEEvT3_20rocsparse_direction_NS_24const_host_device_scalarIT1_EES1_PKS1_PKT2_SA_S7_PKT4_PKT5_S5_PT6_21rocsparse_index_base_b
    .private_segment_fixed_size: 0
    .sgpr_count:     28
    .sgpr_spill_count: 0
    .symbol:         _ZN9rocsparseL18bsrxmvn_4x4_kernelILj128ELj32EflifffEEvT3_20rocsparse_direction_NS_24const_host_device_scalarIT1_EES1_PKS1_PKT2_SA_S7_PKT4_PKT5_S5_PT6_21rocsparse_index_base_b.kd
    .uniform_work_group_size: 1
    .uses_dynamic_stack: false
    .vgpr_count:     56
    .vgpr_spill_count: 0
    .wavefront_size: 64
  - .args:
      - .offset:         0
        .size:           4
        .value_kind:     by_value
      - .offset:         4
        .size:           4
        .value_kind:     by_value
      - .offset:         8
        .size:           8
        .value_kind:     by_value
      - .offset:         16
        .size:           4
        .value_kind:     by_value
      - .actual_access:  read_only
        .address_space:  global
        .offset:         24
        .size:           8
        .value_kind:     global_buffer
      - .actual_access:  read_only
        .address_space:  global
        .offset:         32
        .size:           8
        .value_kind:     global_buffer
      - .actual_access:  read_only
        .address_space:  global
        .offset:         40
        .size:           8
        .value_kind:     global_buffer
      - .actual_access:  read_only
        .address_space:  global
        .offset:         48
        .size:           8
        .value_kind:     global_buffer
      - .actual_access:  read_only
        .address_space:  global
        .offset:         56
        .size:           8
        .value_kind:     global_buffer
      - .actual_access:  read_only
        .address_space:  global
        .offset:         64
        .size:           8
        .value_kind:     global_buffer
      - .offset:         72
        .size:           8
        .value_kind:     by_value
      - .address_space:  global
        .offset:         80
        .size:           8
        .value_kind:     global_buffer
      - .offset:         88
        .size:           4
        .value_kind:     by_value
      - .offset:         92
        .size:           1
        .value_kind:     by_value
    .group_segment_fixed_size: 0
    .kernarg_segment_align: 8
    .kernarg_segment_size: 96
    .language:       OpenCL C
    .language_version:
      - 2
      - 0
    .max_flat_workgroup_size: 128
    .name:           _ZN9rocsparseL18bsrxmvn_4x4_kernelILj128ELj64EflifffEEvT3_20rocsparse_direction_NS_24const_host_device_scalarIT1_EES1_PKS1_PKT2_SA_S7_PKT4_PKT5_S5_PT6_21rocsparse_index_base_b
    .private_segment_fixed_size: 0
    .sgpr_count:     28
    .sgpr_spill_count: 0
    .symbol:         _ZN9rocsparseL18bsrxmvn_4x4_kernelILj128ELj64EflifffEEvT3_20rocsparse_direction_NS_24const_host_device_scalarIT1_EES1_PKS1_PKT2_SA_S7_PKT4_PKT5_S5_PT6_21rocsparse_index_base_b.kd
    .uniform_work_group_size: 1
    .uses_dynamic_stack: false
    .vgpr_count:     55
    .vgpr_spill_count: 0
    .wavefront_size: 64
  - .args:
      - .offset:         0
        .size:           4
        .value_kind:     by_value
      - .offset:         4
        .size:           4
        .value_kind:     by_value
      - .offset:         8
        .size:           8
        .value_kind:     by_value
      - .offset:         16
        .size:           4
        .value_kind:     by_value
      - .actual_access:  read_only
        .address_space:  global
        .offset:         24
        .size:           8
        .value_kind:     global_buffer
      - .actual_access:  read_only
        .address_space:  global
        .offset:         32
        .size:           8
        .value_kind:     global_buffer
      - .actual_access:  read_only
        .address_space:  global
        .offset:         40
        .size:           8
        .value_kind:     global_buffer
      - .actual_access:  read_only
        .address_space:  global
        .offset:         48
        .size:           8
        .value_kind:     global_buffer
      - .actual_access:  read_only
        .address_space:  global
        .offset:         56
        .size:           8
        .value_kind:     global_buffer
      - .actual_access:  read_only
        .address_space:  global
        .offset:         64
        .size:           8
        .value_kind:     global_buffer
      - .offset:         72
        .size:           8
        .value_kind:     by_value
      - .address_space:  global
        .offset:         80
        .size:           8
        .value_kind:     global_buffer
      - .offset:         88
        .size:           4
        .value_kind:     by_value
      - .offset:         92
        .size:           1
        .value_kind:     by_value
    .group_segment_fixed_size: 0
    .kernarg_segment_align: 8
    .kernarg_segment_size: 96
    .language:       OpenCL C
    .language_version:
      - 2
      - 0
    .max_flat_workgroup_size: 128
    .name:           _ZN9rocsparseL18bsrxmvn_4x4_kernelILj128ELj4EdlidddEEvT3_20rocsparse_direction_NS_24const_host_device_scalarIT1_EES1_PKS1_PKT2_SA_S7_PKT4_PKT5_S5_PT6_21rocsparse_index_base_b
    .private_segment_fixed_size: 0
    .sgpr_count:     26
    .sgpr_spill_count: 0
    .symbol:         _ZN9rocsparseL18bsrxmvn_4x4_kernelILj128ELj4EdlidddEEvT3_20rocsparse_direction_NS_24const_host_device_scalarIT1_EES1_PKS1_PKT2_SA_S7_PKT4_PKT5_S5_PT6_21rocsparse_index_base_b.kd
    .uniform_work_group_size: 1
    .uses_dynamic_stack: false
    .vgpr_count:     60
    .vgpr_spill_count: 0
    .wavefront_size: 64
  - .args:
      - .offset:         0
        .size:           4
        .value_kind:     by_value
      - .offset:         4
        .size:           4
        .value_kind:     by_value
      - .offset:         8
        .size:           8
        .value_kind:     by_value
      - .offset:         16
        .size:           4
        .value_kind:     by_value
      - .actual_access:  read_only
        .address_space:  global
        .offset:         24
        .size:           8
        .value_kind:     global_buffer
      - .actual_access:  read_only
        .address_space:  global
        .offset:         32
        .size:           8
        .value_kind:     global_buffer
      - .actual_access:  read_only
        .address_space:  global
        .offset:         40
        .size:           8
        .value_kind:     global_buffer
      - .actual_access:  read_only
        .address_space:  global
        .offset:         48
        .size:           8
        .value_kind:     global_buffer
      - .actual_access:  read_only
        .address_space:  global
        .offset:         56
        .size:           8
        .value_kind:     global_buffer
      - .actual_access:  read_only
        .address_space:  global
        .offset:         64
        .size:           8
        .value_kind:     global_buffer
      - .offset:         72
        .size:           8
        .value_kind:     by_value
      - .address_space:  global
        .offset:         80
        .size:           8
        .value_kind:     global_buffer
      - .offset:         88
        .size:           4
        .value_kind:     by_value
      - .offset:         92
        .size:           1
        .value_kind:     by_value
    .group_segment_fixed_size: 0
    .kernarg_segment_align: 8
    .kernarg_segment_size: 96
    .language:       OpenCL C
    .language_version:
      - 2
      - 0
    .max_flat_workgroup_size: 128
    .name:           _ZN9rocsparseL18bsrxmvn_4x4_kernelILj128ELj8EdlidddEEvT3_20rocsparse_direction_NS_24const_host_device_scalarIT1_EES1_PKS1_PKT2_SA_S7_PKT4_PKT5_S5_PT6_21rocsparse_index_base_b
    .private_segment_fixed_size: 0
    .sgpr_count:     26
    .sgpr_spill_count: 0
    .symbol:         _ZN9rocsparseL18bsrxmvn_4x4_kernelILj128ELj8EdlidddEEvT3_20rocsparse_direction_NS_24const_host_device_scalarIT1_EES1_PKS1_PKT2_SA_S7_PKT4_PKT5_S5_PT6_21rocsparse_index_base_b.kd
    .uniform_work_group_size: 1
    .uses_dynamic_stack: false
    .vgpr_count:     60
    .vgpr_spill_count: 0
    .wavefront_size: 64
  - .args:
      - .offset:         0
        .size:           4
        .value_kind:     by_value
      - .offset:         4
        .size:           4
        .value_kind:     by_value
      - .offset:         8
        .size:           8
        .value_kind:     by_value
      - .offset:         16
        .size:           4
        .value_kind:     by_value
      - .actual_access:  read_only
        .address_space:  global
        .offset:         24
        .size:           8
        .value_kind:     global_buffer
      - .actual_access:  read_only
        .address_space:  global
        .offset:         32
        .size:           8
        .value_kind:     global_buffer
      - .actual_access:  read_only
        .address_space:  global
        .offset:         40
        .size:           8
        .value_kind:     global_buffer
      - .actual_access:  read_only
        .address_space:  global
        .offset:         48
        .size:           8
        .value_kind:     global_buffer
      - .actual_access:  read_only
        .address_space:  global
        .offset:         56
        .size:           8
        .value_kind:     global_buffer
      - .actual_access:  read_only
        .address_space:  global
        .offset:         64
        .size:           8
        .value_kind:     global_buffer
      - .offset:         72
        .size:           8
        .value_kind:     by_value
      - .address_space:  global
        .offset:         80
        .size:           8
        .value_kind:     global_buffer
      - .offset:         88
        .size:           4
        .value_kind:     by_value
      - .offset:         92
        .size:           1
        .value_kind:     by_value
    .group_segment_fixed_size: 0
    .kernarg_segment_align: 8
    .kernarg_segment_size: 96
    .language:       OpenCL C
    .language_version:
      - 2
      - 0
    .max_flat_workgroup_size: 128
    .name:           _ZN9rocsparseL18bsrxmvn_4x4_kernelILj128ELj16EdlidddEEvT3_20rocsparse_direction_NS_24const_host_device_scalarIT1_EES1_PKS1_PKT2_SA_S7_PKT4_PKT5_S5_PT6_21rocsparse_index_base_b
    .private_segment_fixed_size: 0
    .sgpr_count:     26
    .sgpr_spill_count: 0
    .symbol:         _ZN9rocsparseL18bsrxmvn_4x4_kernelILj128ELj16EdlidddEEvT3_20rocsparse_direction_NS_24const_host_device_scalarIT1_EES1_PKS1_PKT2_SA_S7_PKT4_PKT5_S5_PT6_21rocsparse_index_base_b.kd
    .uniform_work_group_size: 1
    .uses_dynamic_stack: false
    .vgpr_count:     60
    .vgpr_spill_count: 0
    .wavefront_size: 64
  - .args:
      - .offset:         0
        .size:           4
        .value_kind:     by_value
      - .offset:         4
        .size:           4
        .value_kind:     by_value
      - .offset:         8
        .size:           8
        .value_kind:     by_value
      - .offset:         16
        .size:           4
        .value_kind:     by_value
      - .actual_access:  read_only
        .address_space:  global
        .offset:         24
        .size:           8
        .value_kind:     global_buffer
      - .actual_access:  read_only
        .address_space:  global
        .offset:         32
        .size:           8
        .value_kind:     global_buffer
      - .actual_access:  read_only
        .address_space:  global
        .offset:         40
        .size:           8
        .value_kind:     global_buffer
      - .actual_access:  read_only
        .address_space:  global
        .offset:         48
        .size:           8
        .value_kind:     global_buffer
      - .actual_access:  read_only
        .address_space:  global
        .offset:         56
        .size:           8
        .value_kind:     global_buffer
      - .actual_access:  read_only
        .address_space:  global
        .offset:         64
        .size:           8
        .value_kind:     global_buffer
      - .offset:         72
        .size:           8
        .value_kind:     by_value
      - .address_space:  global
        .offset:         80
        .size:           8
        .value_kind:     global_buffer
      - .offset:         88
        .size:           4
        .value_kind:     by_value
      - .offset:         92
        .size:           1
        .value_kind:     by_value
    .group_segment_fixed_size: 0
    .kernarg_segment_align: 8
    .kernarg_segment_size: 96
    .language:       OpenCL C
    .language_version:
      - 2
      - 0
    .max_flat_workgroup_size: 128
    .name:           _ZN9rocsparseL18bsrxmvn_4x4_kernelILj128ELj32EdlidddEEvT3_20rocsparse_direction_NS_24const_host_device_scalarIT1_EES1_PKS1_PKT2_SA_S7_PKT4_PKT5_S5_PT6_21rocsparse_index_base_b
    .private_segment_fixed_size: 0
    .sgpr_count:     24
    .sgpr_spill_count: 0
    .symbol:         _ZN9rocsparseL18bsrxmvn_4x4_kernelILj128ELj32EdlidddEEvT3_20rocsparse_direction_NS_24const_host_device_scalarIT1_EES1_PKS1_PKT2_SA_S7_PKT4_PKT5_S5_PT6_21rocsparse_index_base_b.kd
    .uniform_work_group_size: 1
    .uses_dynamic_stack: false
    .vgpr_count:     60
    .vgpr_spill_count: 0
    .wavefront_size: 64
  - .args:
      - .offset:         0
        .size:           4
        .value_kind:     by_value
      - .offset:         4
        .size:           4
        .value_kind:     by_value
      - .offset:         8
        .size:           8
        .value_kind:     by_value
      - .offset:         16
        .size:           4
        .value_kind:     by_value
      - .actual_access:  read_only
        .address_space:  global
        .offset:         24
        .size:           8
        .value_kind:     global_buffer
      - .actual_access:  read_only
        .address_space:  global
        .offset:         32
        .size:           8
        .value_kind:     global_buffer
      - .actual_access:  read_only
        .address_space:  global
        .offset:         40
        .size:           8
        .value_kind:     global_buffer
      - .actual_access:  read_only
        .address_space:  global
        .offset:         48
        .size:           8
        .value_kind:     global_buffer
      - .actual_access:  read_only
        .address_space:  global
        .offset:         56
        .size:           8
        .value_kind:     global_buffer
      - .actual_access:  read_only
        .address_space:  global
        .offset:         64
        .size:           8
        .value_kind:     global_buffer
      - .offset:         72
        .size:           8
        .value_kind:     by_value
      - .address_space:  global
        .offset:         80
        .size:           8
        .value_kind:     global_buffer
      - .offset:         88
        .size:           4
        .value_kind:     by_value
      - .offset:         92
        .size:           1
        .value_kind:     by_value
    .group_segment_fixed_size: 0
    .kernarg_segment_align: 8
    .kernarg_segment_size: 96
    .language:       OpenCL C
    .language_version:
      - 2
      - 0
    .max_flat_workgroup_size: 128
    .name:           _ZN9rocsparseL18bsrxmvn_4x4_kernelILj128ELj64EdlidddEEvT3_20rocsparse_direction_NS_24const_host_device_scalarIT1_EES1_PKS1_PKT2_SA_S7_PKT4_PKT5_S5_PT6_21rocsparse_index_base_b
    .private_segment_fixed_size: 0
    .sgpr_count:     24
    .sgpr_spill_count: 0
    .symbol:         _ZN9rocsparseL18bsrxmvn_4x4_kernelILj128ELj64EdlidddEEvT3_20rocsparse_direction_NS_24const_host_device_scalarIT1_EES1_PKS1_PKT2_SA_S7_PKT4_PKT5_S5_PT6_21rocsparse_index_base_b.kd
    .uniform_work_group_size: 1
    .uses_dynamic_stack: false
    .vgpr_count:     60
    .vgpr_spill_count: 0
    .wavefront_size: 64
  - .args:
      - .offset:         0
        .size:           4
        .value_kind:     by_value
      - .offset:         4
        .size:           4
        .value_kind:     by_value
      - .offset:         8
        .size:           8
        .value_kind:     by_value
      - .offset:         16
        .size:           4
        .value_kind:     by_value
      - .actual_access:  read_only
        .address_space:  global
        .offset:         24
        .size:           8
        .value_kind:     global_buffer
      - .actual_access:  read_only
        .address_space:  global
        .offset:         32
        .size:           8
        .value_kind:     global_buffer
      - .actual_access:  read_only
        .address_space:  global
        .offset:         40
        .size:           8
        .value_kind:     global_buffer
      - .actual_access:  read_only
        .address_space:  global
        .offset:         48
        .size:           8
        .value_kind:     global_buffer
      - .actual_access:  read_only
        .address_space:  global
        .offset:         56
        .size:           8
        .value_kind:     global_buffer
      - .actual_access:  read_only
        .address_space:  global
        .offset:         64
        .size:           8
        .value_kind:     global_buffer
      - .offset:         72
        .size:           8
        .value_kind:     by_value
      - .address_space:  global
        .offset:         80
        .size:           8
        .value_kind:     global_buffer
      - .offset:         88
        .size:           4
        .value_kind:     by_value
      - .offset:         92
        .size:           1
        .value_kind:     by_value
    .group_segment_fixed_size: 0
    .kernarg_segment_align: 8
    .kernarg_segment_size: 96
    .language:       OpenCL C
    .language_version:
      - 2
      - 0
    .max_flat_workgroup_size: 128
    .name:           _ZN9rocsparseL18bsrxmvn_4x4_kernelILj128ELj4E21rocsparse_complex_numIfEliS2_S2_S2_EEvT3_20rocsparse_direction_NS_24const_host_device_scalarIT1_EES3_PKS3_PKT2_SC_S9_PKT4_PKT5_S7_PT6_21rocsparse_index_base_b
    .private_segment_fixed_size: 0
    .sgpr_count:     24
    .sgpr_spill_count: 0
    .symbol:         _ZN9rocsparseL18bsrxmvn_4x4_kernelILj128ELj4E21rocsparse_complex_numIfEliS2_S2_S2_EEvT3_20rocsparse_direction_NS_24const_host_device_scalarIT1_EES3_PKS3_PKT2_SC_S9_PKT4_PKT5_S7_PT6_21rocsparse_index_base_b.kd
    .uniform_work_group_size: 1
    .uses_dynamic_stack: false
    .vgpr_count:     64
    .vgpr_spill_count: 0
    .wavefront_size: 64
  - .args:
      - .offset:         0
        .size:           4
        .value_kind:     by_value
      - .offset:         4
        .size:           4
        .value_kind:     by_value
      - .offset:         8
        .size:           8
        .value_kind:     by_value
      - .offset:         16
        .size:           4
        .value_kind:     by_value
      - .actual_access:  read_only
        .address_space:  global
        .offset:         24
        .size:           8
        .value_kind:     global_buffer
      - .actual_access:  read_only
        .address_space:  global
        .offset:         32
        .size:           8
        .value_kind:     global_buffer
      - .actual_access:  read_only
        .address_space:  global
        .offset:         40
        .size:           8
        .value_kind:     global_buffer
      - .actual_access:  read_only
        .address_space:  global
        .offset:         48
        .size:           8
        .value_kind:     global_buffer
      - .actual_access:  read_only
        .address_space:  global
        .offset:         56
        .size:           8
        .value_kind:     global_buffer
      - .actual_access:  read_only
        .address_space:  global
        .offset:         64
        .size:           8
        .value_kind:     global_buffer
      - .offset:         72
        .size:           8
        .value_kind:     by_value
      - .address_space:  global
        .offset:         80
        .size:           8
        .value_kind:     global_buffer
      - .offset:         88
        .size:           4
        .value_kind:     by_value
      - .offset:         92
        .size:           1
        .value_kind:     by_value
    .group_segment_fixed_size: 0
    .kernarg_segment_align: 8
    .kernarg_segment_size: 96
    .language:       OpenCL C
    .language_version:
      - 2
      - 0
    .max_flat_workgroup_size: 128
    .name:           _ZN9rocsparseL18bsrxmvn_4x4_kernelILj128ELj8E21rocsparse_complex_numIfEliS2_S2_S2_EEvT3_20rocsparse_direction_NS_24const_host_device_scalarIT1_EES3_PKS3_PKT2_SC_S9_PKT4_PKT5_S7_PT6_21rocsparse_index_base_b
    .private_segment_fixed_size: 0
    .sgpr_count:     24
    .sgpr_spill_count: 0
    .symbol:         _ZN9rocsparseL18bsrxmvn_4x4_kernelILj128ELj8E21rocsparse_complex_numIfEliS2_S2_S2_EEvT3_20rocsparse_direction_NS_24const_host_device_scalarIT1_EES3_PKS3_PKT2_SC_S9_PKT4_PKT5_S7_PT6_21rocsparse_index_base_b.kd
    .uniform_work_group_size: 1
    .uses_dynamic_stack: false
    .vgpr_count:     64
    .vgpr_spill_count: 0
    .wavefront_size: 64
  - .args:
      - .offset:         0
        .size:           4
        .value_kind:     by_value
      - .offset:         4
        .size:           4
        .value_kind:     by_value
      - .offset:         8
        .size:           8
        .value_kind:     by_value
      - .offset:         16
        .size:           4
        .value_kind:     by_value
      - .actual_access:  read_only
        .address_space:  global
        .offset:         24
        .size:           8
        .value_kind:     global_buffer
      - .actual_access:  read_only
        .address_space:  global
        .offset:         32
        .size:           8
        .value_kind:     global_buffer
      - .actual_access:  read_only
        .address_space:  global
        .offset:         40
        .size:           8
        .value_kind:     global_buffer
      - .actual_access:  read_only
        .address_space:  global
        .offset:         48
        .size:           8
        .value_kind:     global_buffer
      - .actual_access:  read_only
        .address_space:  global
        .offset:         56
        .size:           8
        .value_kind:     global_buffer
      - .actual_access:  read_only
        .address_space:  global
        .offset:         64
        .size:           8
        .value_kind:     global_buffer
      - .offset:         72
        .size:           8
        .value_kind:     by_value
      - .address_space:  global
        .offset:         80
        .size:           8
        .value_kind:     global_buffer
      - .offset:         88
        .size:           4
        .value_kind:     by_value
      - .offset:         92
        .size:           1
        .value_kind:     by_value
    .group_segment_fixed_size: 0
    .kernarg_segment_align: 8
    .kernarg_segment_size: 96
    .language:       OpenCL C
    .language_version:
      - 2
      - 0
    .max_flat_workgroup_size: 128
    .name:           _ZN9rocsparseL18bsrxmvn_4x4_kernelILj128ELj16E21rocsparse_complex_numIfEliS2_S2_S2_EEvT3_20rocsparse_direction_NS_24const_host_device_scalarIT1_EES3_PKS3_PKT2_SC_S9_PKT4_PKT5_S7_PT6_21rocsparse_index_base_b
    .private_segment_fixed_size: 0
    .sgpr_count:     24
    .sgpr_spill_count: 0
    .symbol:         _ZN9rocsparseL18bsrxmvn_4x4_kernelILj128ELj16E21rocsparse_complex_numIfEliS2_S2_S2_EEvT3_20rocsparse_direction_NS_24const_host_device_scalarIT1_EES3_PKS3_PKT2_SC_S9_PKT4_PKT5_S7_PT6_21rocsparse_index_base_b.kd
    .uniform_work_group_size: 1
    .uses_dynamic_stack: false
    .vgpr_count:     52
    .vgpr_spill_count: 0
    .wavefront_size: 64
  - .args:
      - .offset:         0
        .size:           4
        .value_kind:     by_value
      - .offset:         4
        .size:           4
        .value_kind:     by_value
      - .offset:         8
        .size:           8
        .value_kind:     by_value
      - .offset:         16
        .size:           4
        .value_kind:     by_value
      - .actual_access:  read_only
        .address_space:  global
        .offset:         24
        .size:           8
        .value_kind:     global_buffer
      - .actual_access:  read_only
        .address_space:  global
        .offset:         32
        .size:           8
        .value_kind:     global_buffer
      - .actual_access:  read_only
        .address_space:  global
        .offset:         40
        .size:           8
        .value_kind:     global_buffer
      - .actual_access:  read_only
        .address_space:  global
        .offset:         48
        .size:           8
        .value_kind:     global_buffer
      - .actual_access:  read_only
        .address_space:  global
        .offset:         56
        .size:           8
        .value_kind:     global_buffer
      - .actual_access:  read_only
        .address_space:  global
        .offset:         64
        .size:           8
        .value_kind:     global_buffer
      - .offset:         72
        .size:           8
        .value_kind:     by_value
      - .address_space:  global
        .offset:         80
        .size:           8
        .value_kind:     global_buffer
      - .offset:         88
        .size:           4
        .value_kind:     by_value
      - .offset:         92
        .size:           1
        .value_kind:     by_value
    .group_segment_fixed_size: 0
    .kernarg_segment_align: 8
    .kernarg_segment_size: 96
    .language:       OpenCL C
    .language_version:
      - 2
      - 0
    .max_flat_workgroup_size: 128
    .name:           _ZN9rocsparseL18bsrxmvn_4x4_kernelILj128ELj32E21rocsparse_complex_numIfEliS2_S2_S2_EEvT3_20rocsparse_direction_NS_24const_host_device_scalarIT1_EES3_PKS3_PKT2_SC_S9_PKT4_PKT5_S7_PT6_21rocsparse_index_base_b
    .private_segment_fixed_size: 0
    .sgpr_count:     26
    .sgpr_spill_count: 0
    .symbol:         _ZN9rocsparseL18bsrxmvn_4x4_kernelILj128ELj32E21rocsparse_complex_numIfEliS2_S2_S2_EEvT3_20rocsparse_direction_NS_24const_host_device_scalarIT1_EES3_PKS3_PKT2_SC_S9_PKT4_PKT5_S7_PT6_21rocsparse_index_base_b.kd
    .uniform_work_group_size: 1
    .uses_dynamic_stack: false
    .vgpr_count:     61
    .vgpr_spill_count: 0
    .wavefront_size: 64
  - .args:
      - .offset:         0
        .size:           4
        .value_kind:     by_value
      - .offset:         4
        .size:           4
        .value_kind:     by_value
      - .offset:         8
        .size:           8
        .value_kind:     by_value
      - .offset:         16
        .size:           4
        .value_kind:     by_value
      - .actual_access:  read_only
        .address_space:  global
        .offset:         24
        .size:           8
        .value_kind:     global_buffer
      - .actual_access:  read_only
        .address_space:  global
        .offset:         32
        .size:           8
        .value_kind:     global_buffer
      - .actual_access:  read_only
        .address_space:  global
        .offset:         40
        .size:           8
        .value_kind:     global_buffer
      - .actual_access:  read_only
        .address_space:  global
        .offset:         48
        .size:           8
        .value_kind:     global_buffer
      - .actual_access:  read_only
        .address_space:  global
        .offset:         56
        .size:           8
        .value_kind:     global_buffer
      - .actual_access:  read_only
        .address_space:  global
        .offset:         64
        .size:           8
        .value_kind:     global_buffer
      - .offset:         72
        .size:           8
        .value_kind:     by_value
      - .address_space:  global
        .offset:         80
        .size:           8
        .value_kind:     global_buffer
      - .offset:         88
        .size:           4
        .value_kind:     by_value
      - .offset:         92
        .size:           1
        .value_kind:     by_value
    .group_segment_fixed_size: 0
    .kernarg_segment_align: 8
    .kernarg_segment_size: 96
    .language:       OpenCL C
    .language_version:
      - 2
      - 0
    .max_flat_workgroup_size: 128
    .name:           _ZN9rocsparseL18bsrxmvn_4x4_kernelILj128ELj64E21rocsparse_complex_numIfEliS2_S2_S2_EEvT3_20rocsparse_direction_NS_24const_host_device_scalarIT1_EES3_PKS3_PKT2_SC_S9_PKT4_PKT5_S7_PT6_21rocsparse_index_base_b
    .private_segment_fixed_size: 0
    .sgpr_count:     26
    .sgpr_spill_count: 0
    .symbol:         _ZN9rocsparseL18bsrxmvn_4x4_kernelILj128ELj64E21rocsparse_complex_numIfEliS2_S2_S2_EEvT3_20rocsparse_direction_NS_24const_host_device_scalarIT1_EES3_PKS3_PKT2_SC_S9_PKT4_PKT5_S7_PT6_21rocsparse_index_base_b.kd
    .uniform_work_group_size: 1
    .uses_dynamic_stack: false
    .vgpr_count:     61
    .vgpr_spill_count: 0
    .wavefront_size: 64
  - .args:
      - .offset:         0
        .size:           4
        .value_kind:     by_value
      - .offset:         4
        .size:           4
        .value_kind:     by_value
      - .offset:         8
        .size:           16
        .value_kind:     by_value
      - .offset:         24
        .size:           4
        .value_kind:     by_value
      - .actual_access:  read_only
        .address_space:  global
        .offset:         32
        .size:           8
        .value_kind:     global_buffer
      - .actual_access:  read_only
        .address_space:  global
        .offset:         40
        .size:           8
        .value_kind:     global_buffer
      - .actual_access:  read_only
        .address_space:  global
        .offset:         48
        .size:           8
        .value_kind:     global_buffer
      - .actual_access:  read_only
        .address_space:  global
        .offset:         56
        .size:           8
        .value_kind:     global_buffer
      - .actual_access:  read_only
        .address_space:  global
        .offset:         64
        .size:           8
        .value_kind:     global_buffer
      - .actual_access:  read_only
        .address_space:  global
        .offset:         72
        .size:           8
        .value_kind:     global_buffer
      - .offset:         80
        .size:           16
        .value_kind:     by_value
      - .address_space:  global
        .offset:         96
        .size:           8
        .value_kind:     global_buffer
      - .offset:         104
        .size:           4
        .value_kind:     by_value
      - .offset:         108
        .size:           1
        .value_kind:     by_value
    .group_segment_fixed_size: 0
    .kernarg_segment_align: 8
    .kernarg_segment_size: 112
    .language:       OpenCL C
    .language_version:
      - 2
      - 0
    .max_flat_workgroup_size: 128
    .name:           _ZN9rocsparseL18bsrxmvn_4x4_kernelILj128ELj4E21rocsparse_complex_numIdEliS2_S2_S2_EEvT3_20rocsparse_direction_NS_24const_host_device_scalarIT1_EES3_PKS3_PKT2_SC_S9_PKT4_PKT5_S7_PT6_21rocsparse_index_base_b
    .private_segment_fixed_size: 0
    .sgpr_count:     26
    .sgpr_spill_count: 0
    .symbol:         _ZN9rocsparseL18bsrxmvn_4x4_kernelILj128ELj4E21rocsparse_complex_numIdEliS2_S2_S2_EEvT3_20rocsparse_direction_NS_24const_host_device_scalarIT1_EES3_PKS3_PKT2_SC_S9_PKT4_PKT5_S7_PT6_21rocsparse_index_base_b.kd
    .uniform_work_group_size: 1
    .uses_dynamic_stack: false
    .vgpr_count:     85
    .vgpr_spill_count: 0
    .wavefront_size: 64
  - .args:
      - .offset:         0
        .size:           4
        .value_kind:     by_value
      - .offset:         4
        .size:           4
        .value_kind:     by_value
      - .offset:         8
        .size:           16
        .value_kind:     by_value
      - .offset:         24
        .size:           4
        .value_kind:     by_value
      - .actual_access:  read_only
        .address_space:  global
        .offset:         32
        .size:           8
        .value_kind:     global_buffer
      - .actual_access:  read_only
        .address_space:  global
        .offset:         40
        .size:           8
        .value_kind:     global_buffer
      - .actual_access:  read_only
        .address_space:  global
        .offset:         48
        .size:           8
        .value_kind:     global_buffer
      - .actual_access:  read_only
        .address_space:  global
        .offset:         56
        .size:           8
        .value_kind:     global_buffer
      - .actual_access:  read_only
        .address_space:  global
        .offset:         64
        .size:           8
        .value_kind:     global_buffer
      - .actual_access:  read_only
        .address_space:  global
        .offset:         72
        .size:           8
        .value_kind:     global_buffer
      - .offset:         80
        .size:           16
        .value_kind:     by_value
      - .address_space:  global
        .offset:         96
        .size:           8
        .value_kind:     global_buffer
      - .offset:         104
        .size:           4
        .value_kind:     by_value
      - .offset:         108
        .size:           1
        .value_kind:     by_value
    .group_segment_fixed_size: 0
    .kernarg_segment_align: 8
    .kernarg_segment_size: 112
    .language:       OpenCL C
    .language_version:
      - 2
      - 0
    .max_flat_workgroup_size: 128
    .name:           _ZN9rocsparseL18bsrxmvn_4x4_kernelILj128ELj8E21rocsparse_complex_numIdEliS2_S2_S2_EEvT3_20rocsparse_direction_NS_24const_host_device_scalarIT1_EES3_PKS3_PKT2_SC_S9_PKT4_PKT5_S7_PT6_21rocsparse_index_base_b
    .private_segment_fixed_size: 0
    .sgpr_count:     26
    .sgpr_spill_count: 0
    .symbol:         _ZN9rocsparseL18bsrxmvn_4x4_kernelILj128ELj8E21rocsparse_complex_numIdEliS2_S2_S2_EEvT3_20rocsparse_direction_NS_24const_host_device_scalarIT1_EES3_PKS3_PKT2_SC_S9_PKT4_PKT5_S7_PT6_21rocsparse_index_base_b.kd
    .uniform_work_group_size: 1
    .uses_dynamic_stack: false
    .vgpr_count:     85
    .vgpr_spill_count: 0
    .wavefront_size: 64
  - .args:
      - .offset:         0
        .size:           4
        .value_kind:     by_value
      - .offset:         4
        .size:           4
        .value_kind:     by_value
      - .offset:         8
        .size:           16
        .value_kind:     by_value
      - .offset:         24
        .size:           4
        .value_kind:     by_value
      - .actual_access:  read_only
        .address_space:  global
        .offset:         32
        .size:           8
        .value_kind:     global_buffer
      - .actual_access:  read_only
        .address_space:  global
        .offset:         40
        .size:           8
        .value_kind:     global_buffer
      - .actual_access:  read_only
        .address_space:  global
        .offset:         48
        .size:           8
        .value_kind:     global_buffer
      - .actual_access:  read_only
        .address_space:  global
        .offset:         56
        .size:           8
        .value_kind:     global_buffer
      - .actual_access:  read_only
        .address_space:  global
        .offset:         64
        .size:           8
        .value_kind:     global_buffer
      - .actual_access:  read_only
        .address_space:  global
        .offset:         72
        .size:           8
        .value_kind:     global_buffer
      - .offset:         80
        .size:           16
        .value_kind:     by_value
      - .address_space:  global
        .offset:         96
        .size:           8
        .value_kind:     global_buffer
      - .offset:         104
        .size:           4
        .value_kind:     by_value
      - .offset:         108
        .size:           1
        .value_kind:     by_value
    .group_segment_fixed_size: 0
    .kernarg_segment_align: 8
    .kernarg_segment_size: 112
    .language:       OpenCL C
    .language_version:
      - 2
      - 0
    .max_flat_workgroup_size: 128
    .name:           _ZN9rocsparseL18bsrxmvn_4x4_kernelILj128ELj16E21rocsparse_complex_numIdEliS2_S2_S2_EEvT3_20rocsparse_direction_NS_24const_host_device_scalarIT1_EES3_PKS3_PKT2_SC_S9_PKT4_PKT5_S7_PT6_21rocsparse_index_base_b
    .private_segment_fixed_size: 0
    .sgpr_count:     26
    .sgpr_spill_count: 0
    .symbol:         _ZN9rocsparseL18bsrxmvn_4x4_kernelILj128ELj16E21rocsparse_complex_numIdEliS2_S2_S2_EEvT3_20rocsparse_direction_NS_24const_host_device_scalarIT1_EES3_PKS3_PKT2_SC_S9_PKT4_PKT5_S7_PT6_21rocsparse_index_base_b.kd
    .uniform_work_group_size: 1
    .uses_dynamic_stack: false
    .vgpr_count:     85
    .vgpr_spill_count: 0
    .wavefront_size: 64
  - .args:
      - .offset:         0
        .size:           4
        .value_kind:     by_value
      - .offset:         4
        .size:           4
        .value_kind:     by_value
      - .offset:         8
        .size:           16
        .value_kind:     by_value
      - .offset:         24
        .size:           4
        .value_kind:     by_value
      - .actual_access:  read_only
        .address_space:  global
        .offset:         32
        .size:           8
        .value_kind:     global_buffer
      - .actual_access:  read_only
        .address_space:  global
        .offset:         40
        .size:           8
        .value_kind:     global_buffer
      - .actual_access:  read_only
        .address_space:  global
        .offset:         48
        .size:           8
        .value_kind:     global_buffer
      - .actual_access:  read_only
        .address_space:  global
        .offset:         56
        .size:           8
        .value_kind:     global_buffer
      - .actual_access:  read_only
        .address_space:  global
        .offset:         64
        .size:           8
        .value_kind:     global_buffer
      - .actual_access:  read_only
        .address_space:  global
        .offset:         72
        .size:           8
        .value_kind:     global_buffer
      - .offset:         80
        .size:           16
        .value_kind:     by_value
      - .address_space:  global
        .offset:         96
        .size:           8
        .value_kind:     global_buffer
      - .offset:         104
        .size:           4
        .value_kind:     by_value
      - .offset:         108
        .size:           1
        .value_kind:     by_value
    .group_segment_fixed_size: 0
    .kernarg_segment_align: 8
    .kernarg_segment_size: 112
    .language:       OpenCL C
    .language_version:
      - 2
      - 0
    .max_flat_workgroup_size: 128
    .name:           _ZN9rocsparseL18bsrxmvn_4x4_kernelILj128ELj32E21rocsparse_complex_numIdEliS2_S2_S2_EEvT3_20rocsparse_direction_NS_24const_host_device_scalarIT1_EES3_PKS3_PKT2_SC_S9_PKT4_PKT5_S7_PT6_21rocsparse_index_base_b
    .private_segment_fixed_size: 0
    .sgpr_count:     24
    .sgpr_spill_count: 0
    .symbol:         _ZN9rocsparseL18bsrxmvn_4x4_kernelILj128ELj32E21rocsparse_complex_numIdEliS2_S2_S2_EEvT3_20rocsparse_direction_NS_24const_host_device_scalarIT1_EES3_PKS3_PKT2_SC_S9_PKT4_PKT5_S7_PT6_21rocsparse_index_base_b.kd
    .uniform_work_group_size: 1
    .uses_dynamic_stack: false
    .vgpr_count:     85
    .vgpr_spill_count: 0
    .wavefront_size: 64
  - .args:
      - .offset:         0
        .size:           4
        .value_kind:     by_value
      - .offset:         4
        .size:           4
        .value_kind:     by_value
      - .offset:         8
        .size:           16
        .value_kind:     by_value
      - .offset:         24
        .size:           4
        .value_kind:     by_value
      - .actual_access:  read_only
        .address_space:  global
        .offset:         32
        .size:           8
        .value_kind:     global_buffer
      - .actual_access:  read_only
        .address_space:  global
        .offset:         40
        .size:           8
        .value_kind:     global_buffer
      - .actual_access:  read_only
        .address_space:  global
        .offset:         48
        .size:           8
        .value_kind:     global_buffer
      - .actual_access:  read_only
        .address_space:  global
        .offset:         56
        .size:           8
        .value_kind:     global_buffer
      - .actual_access:  read_only
        .address_space:  global
        .offset:         64
        .size:           8
        .value_kind:     global_buffer
      - .actual_access:  read_only
        .address_space:  global
        .offset:         72
        .size:           8
        .value_kind:     global_buffer
      - .offset:         80
        .size:           16
        .value_kind:     by_value
      - .address_space:  global
        .offset:         96
        .size:           8
        .value_kind:     global_buffer
      - .offset:         104
        .size:           4
        .value_kind:     by_value
      - .offset:         108
        .size:           1
        .value_kind:     by_value
    .group_segment_fixed_size: 0
    .kernarg_segment_align: 8
    .kernarg_segment_size: 112
    .language:       OpenCL C
    .language_version:
      - 2
      - 0
    .max_flat_workgroup_size: 128
    .name:           _ZN9rocsparseL18bsrxmvn_4x4_kernelILj128ELj64E21rocsparse_complex_numIdEliS2_S2_S2_EEvT3_20rocsparse_direction_NS_24const_host_device_scalarIT1_EES3_PKS3_PKT2_SC_S9_PKT4_PKT5_S7_PT6_21rocsparse_index_base_b
    .private_segment_fixed_size: 0
    .sgpr_count:     24
    .sgpr_spill_count: 0
    .symbol:         _ZN9rocsparseL18bsrxmvn_4x4_kernelILj128ELj64E21rocsparse_complex_numIdEliS2_S2_S2_EEvT3_20rocsparse_direction_NS_24const_host_device_scalarIT1_EES3_PKS3_PKT2_SC_S9_PKT4_PKT5_S7_PT6_21rocsparse_index_base_b.kd
    .uniform_work_group_size: 1
    .uses_dynamic_stack: false
    .vgpr_count:     87
    .vgpr_spill_count: 0
    .wavefront_size: 64
  - .args:
      - .offset:         0
        .size:           8
        .value_kind:     by_value
      - .offset:         8
        .size:           4
        .value_kind:     by_value
      - .offset:         16
        .size:           8
        .value_kind:     by_value
      - .offset:         24
        .size:           8
        .value_kind:     by_value
      - .actual_access:  read_only
        .address_space:  global
        .offset:         32
        .size:           8
        .value_kind:     global_buffer
      - .actual_access:  read_only
        .address_space:  global
        .offset:         40
        .size:           8
        .value_kind:     global_buffer
      - .actual_access:  read_only
        .address_space:  global
        .offset:         48
        .size:           8
        .value_kind:     global_buffer
      - .actual_access:  read_only
        .address_space:  global
        .offset:         56
        .size:           8
        .value_kind:     global_buffer
      - .actual_access:  read_only
        .address_space:  global
        .offset:         64
        .size:           8
        .value_kind:     global_buffer
      - .actual_access:  read_only
        .address_space:  global
        .offset:         72
        .size:           8
        .value_kind:     global_buffer
      - .offset:         80
        .size:           8
        .value_kind:     by_value
      - .address_space:  global
        .offset:         88
        .size:           8
        .value_kind:     global_buffer
      - .offset:         96
        .size:           4
        .value_kind:     by_value
      - .offset:         100
        .size:           1
        .value_kind:     by_value
    .group_segment_fixed_size: 0
    .kernarg_segment_align: 8
    .kernarg_segment_size: 104
    .language:       OpenCL C
    .language_version:
      - 2
      - 0
    .max_flat_workgroup_size: 128
    .name:           _ZN9rocsparseL18bsrxmvn_4x4_kernelILj128ELj4EfllfffEEvT3_20rocsparse_direction_NS_24const_host_device_scalarIT1_EES1_PKS1_PKT2_SA_S7_PKT4_PKT5_S5_PT6_21rocsparse_index_base_b
    .private_segment_fixed_size: 0
    .sgpr_count:     26
    .sgpr_spill_count: 0
    .symbol:         _ZN9rocsparseL18bsrxmvn_4x4_kernelILj128ELj4EfllfffEEvT3_20rocsparse_direction_NS_24const_host_device_scalarIT1_EES1_PKS1_PKT2_SA_S7_PKT4_PKT5_S5_PT6_21rocsparse_index_base_b.kd
    .uniform_work_group_size: 1
    .uses_dynamic_stack: false
    .vgpr_count:     67
    .vgpr_spill_count: 0
    .wavefront_size: 64
  - .args:
      - .offset:         0
        .size:           8
        .value_kind:     by_value
      - .offset:         8
        .size:           4
        .value_kind:     by_value
      - .offset:         16
        .size:           8
        .value_kind:     by_value
      - .offset:         24
        .size:           8
        .value_kind:     by_value
      - .actual_access:  read_only
        .address_space:  global
        .offset:         32
        .size:           8
        .value_kind:     global_buffer
      - .actual_access:  read_only
        .address_space:  global
        .offset:         40
        .size:           8
        .value_kind:     global_buffer
      - .actual_access:  read_only
        .address_space:  global
        .offset:         48
        .size:           8
        .value_kind:     global_buffer
      - .actual_access:  read_only
        .address_space:  global
        .offset:         56
        .size:           8
        .value_kind:     global_buffer
      - .actual_access:  read_only
        .address_space:  global
        .offset:         64
        .size:           8
        .value_kind:     global_buffer
      - .actual_access:  read_only
        .address_space:  global
        .offset:         72
        .size:           8
        .value_kind:     global_buffer
      - .offset:         80
        .size:           8
        .value_kind:     by_value
      - .address_space:  global
        .offset:         88
        .size:           8
        .value_kind:     global_buffer
      - .offset:         96
        .size:           4
        .value_kind:     by_value
      - .offset:         100
        .size:           1
        .value_kind:     by_value
    .group_segment_fixed_size: 0
    .kernarg_segment_align: 8
    .kernarg_segment_size: 104
    .language:       OpenCL C
    .language_version:
      - 2
      - 0
    .max_flat_workgroup_size: 128
    .name:           _ZN9rocsparseL18bsrxmvn_4x4_kernelILj128ELj8EfllfffEEvT3_20rocsparse_direction_NS_24const_host_device_scalarIT1_EES1_PKS1_PKT2_SA_S7_PKT4_PKT5_S5_PT6_21rocsparse_index_base_b
    .private_segment_fixed_size: 0
    .sgpr_count:     26
    .sgpr_spill_count: 0
    .symbol:         _ZN9rocsparseL18bsrxmvn_4x4_kernelILj128ELj8EfllfffEEvT3_20rocsparse_direction_NS_24const_host_device_scalarIT1_EES1_PKS1_PKT2_SA_S7_PKT4_PKT5_S5_PT6_21rocsparse_index_base_b.kd
    .uniform_work_group_size: 1
    .uses_dynamic_stack: false
    .vgpr_count:     67
    .vgpr_spill_count: 0
    .wavefront_size: 64
  - .args:
      - .offset:         0
        .size:           8
        .value_kind:     by_value
      - .offset:         8
        .size:           4
        .value_kind:     by_value
      - .offset:         16
        .size:           8
        .value_kind:     by_value
      - .offset:         24
        .size:           8
        .value_kind:     by_value
      - .actual_access:  read_only
        .address_space:  global
        .offset:         32
        .size:           8
        .value_kind:     global_buffer
      - .actual_access:  read_only
        .address_space:  global
        .offset:         40
        .size:           8
        .value_kind:     global_buffer
      - .actual_access:  read_only
        .address_space:  global
        .offset:         48
        .size:           8
        .value_kind:     global_buffer
      - .actual_access:  read_only
        .address_space:  global
        .offset:         56
        .size:           8
        .value_kind:     global_buffer
      - .actual_access:  read_only
        .address_space:  global
        .offset:         64
        .size:           8
        .value_kind:     global_buffer
      - .actual_access:  read_only
        .address_space:  global
        .offset:         72
        .size:           8
        .value_kind:     global_buffer
      - .offset:         80
        .size:           8
        .value_kind:     by_value
      - .address_space:  global
        .offset:         88
        .size:           8
        .value_kind:     global_buffer
      - .offset:         96
        .size:           4
        .value_kind:     by_value
      - .offset:         100
        .size:           1
        .value_kind:     by_value
    .group_segment_fixed_size: 0
    .kernarg_segment_align: 8
    .kernarg_segment_size: 104
    .language:       OpenCL C
    .language_version:
      - 2
      - 0
    .max_flat_workgroup_size: 128
    .name:           _ZN9rocsparseL18bsrxmvn_4x4_kernelILj128ELj16EfllfffEEvT3_20rocsparse_direction_NS_24const_host_device_scalarIT1_EES1_PKS1_PKT2_SA_S7_PKT4_PKT5_S5_PT6_21rocsparse_index_base_b
    .private_segment_fixed_size: 0
    .sgpr_count:     26
    .sgpr_spill_count: 0
    .symbol:         _ZN9rocsparseL18bsrxmvn_4x4_kernelILj128ELj16EfllfffEEvT3_20rocsparse_direction_NS_24const_host_device_scalarIT1_EES1_PKS1_PKT2_SA_S7_PKT4_PKT5_S5_PT6_21rocsparse_index_base_b.kd
    .uniform_work_group_size: 1
    .uses_dynamic_stack: false
    .vgpr_count:     67
    .vgpr_spill_count: 0
    .wavefront_size: 64
  - .args:
      - .offset:         0
        .size:           8
        .value_kind:     by_value
      - .offset:         8
        .size:           4
        .value_kind:     by_value
      - .offset:         16
        .size:           8
        .value_kind:     by_value
      - .offset:         24
        .size:           8
        .value_kind:     by_value
      - .actual_access:  read_only
        .address_space:  global
        .offset:         32
        .size:           8
        .value_kind:     global_buffer
      - .actual_access:  read_only
        .address_space:  global
        .offset:         40
        .size:           8
        .value_kind:     global_buffer
      - .actual_access:  read_only
        .address_space:  global
        .offset:         48
        .size:           8
        .value_kind:     global_buffer
      - .actual_access:  read_only
        .address_space:  global
        .offset:         56
        .size:           8
        .value_kind:     global_buffer
      - .actual_access:  read_only
        .address_space:  global
        .offset:         64
        .size:           8
        .value_kind:     global_buffer
      - .actual_access:  read_only
        .address_space:  global
        .offset:         72
        .size:           8
        .value_kind:     global_buffer
      - .offset:         80
        .size:           8
        .value_kind:     by_value
      - .address_space:  global
        .offset:         88
        .size:           8
        .value_kind:     global_buffer
      - .offset:         96
        .size:           4
        .value_kind:     by_value
      - .offset:         100
        .size:           1
        .value_kind:     by_value
    .group_segment_fixed_size: 0
    .kernarg_segment_align: 8
    .kernarg_segment_size: 104
    .language:       OpenCL C
    .language_version:
      - 2
      - 0
    .max_flat_workgroup_size: 128
    .name:           _ZN9rocsparseL18bsrxmvn_4x4_kernelILj128ELj32EfllfffEEvT3_20rocsparse_direction_NS_24const_host_device_scalarIT1_EES1_PKS1_PKT2_SA_S7_PKT4_PKT5_S5_PT6_21rocsparse_index_base_b
    .private_segment_fixed_size: 0
    .sgpr_count:     26
    .sgpr_spill_count: 0
    .symbol:         _ZN9rocsparseL18bsrxmvn_4x4_kernelILj128ELj32EfllfffEEvT3_20rocsparse_direction_NS_24const_host_device_scalarIT1_EES1_PKS1_PKT2_SA_S7_PKT4_PKT5_S5_PT6_21rocsparse_index_base_b.kd
    .uniform_work_group_size: 1
    .uses_dynamic_stack: false
    .vgpr_count:     65
    .vgpr_spill_count: 0
    .wavefront_size: 64
  - .args:
      - .offset:         0
        .size:           8
        .value_kind:     by_value
      - .offset:         8
        .size:           4
        .value_kind:     by_value
      - .offset:         16
        .size:           8
        .value_kind:     by_value
      - .offset:         24
        .size:           8
        .value_kind:     by_value
      - .actual_access:  read_only
        .address_space:  global
        .offset:         32
        .size:           8
        .value_kind:     global_buffer
      - .actual_access:  read_only
        .address_space:  global
        .offset:         40
        .size:           8
        .value_kind:     global_buffer
      - .actual_access:  read_only
        .address_space:  global
        .offset:         48
        .size:           8
        .value_kind:     global_buffer
      - .actual_access:  read_only
        .address_space:  global
        .offset:         56
        .size:           8
        .value_kind:     global_buffer
      - .actual_access:  read_only
        .address_space:  global
        .offset:         64
        .size:           8
        .value_kind:     global_buffer
      - .actual_access:  read_only
        .address_space:  global
        .offset:         72
        .size:           8
        .value_kind:     global_buffer
      - .offset:         80
        .size:           8
        .value_kind:     by_value
      - .address_space:  global
        .offset:         88
        .size:           8
        .value_kind:     global_buffer
      - .offset:         96
        .size:           4
        .value_kind:     by_value
      - .offset:         100
        .size:           1
        .value_kind:     by_value
    .group_segment_fixed_size: 0
    .kernarg_segment_align: 8
    .kernarg_segment_size: 104
    .language:       OpenCL C
    .language_version:
      - 2
      - 0
    .max_flat_workgroup_size: 128
    .name:           _ZN9rocsparseL18bsrxmvn_4x4_kernelILj128ELj64EfllfffEEvT3_20rocsparse_direction_NS_24const_host_device_scalarIT1_EES1_PKS1_PKT2_SA_S7_PKT4_PKT5_S5_PT6_21rocsparse_index_base_b
    .private_segment_fixed_size: 0
    .sgpr_count:     27
    .sgpr_spill_count: 0
    .symbol:         _ZN9rocsparseL18bsrxmvn_4x4_kernelILj128ELj64EfllfffEEvT3_20rocsparse_direction_NS_24const_host_device_scalarIT1_EES1_PKS1_PKT2_SA_S7_PKT4_PKT5_S5_PT6_21rocsparse_index_base_b.kd
    .uniform_work_group_size: 1
    .uses_dynamic_stack: false
    .vgpr_count:     63
    .vgpr_spill_count: 0
    .wavefront_size: 64
  - .args:
      - .offset:         0
        .size:           8
        .value_kind:     by_value
      - .offset:         8
        .size:           4
        .value_kind:     by_value
      - .offset:         16
        .size:           8
        .value_kind:     by_value
      - .offset:         24
        .size:           8
        .value_kind:     by_value
      - .actual_access:  read_only
        .address_space:  global
        .offset:         32
        .size:           8
        .value_kind:     global_buffer
      - .actual_access:  read_only
        .address_space:  global
        .offset:         40
        .size:           8
        .value_kind:     global_buffer
      - .actual_access:  read_only
        .address_space:  global
        .offset:         48
        .size:           8
        .value_kind:     global_buffer
      - .actual_access:  read_only
        .address_space:  global
        .offset:         56
        .size:           8
        .value_kind:     global_buffer
      - .actual_access:  read_only
        .address_space:  global
        .offset:         64
        .size:           8
        .value_kind:     global_buffer
      - .actual_access:  read_only
        .address_space:  global
        .offset:         72
        .size:           8
        .value_kind:     global_buffer
      - .offset:         80
        .size:           8
        .value_kind:     by_value
      - .address_space:  global
        .offset:         88
        .size:           8
        .value_kind:     global_buffer
      - .offset:         96
        .size:           4
        .value_kind:     by_value
      - .offset:         100
        .size:           1
        .value_kind:     by_value
    .group_segment_fixed_size: 0
    .kernarg_segment_align: 8
    .kernarg_segment_size: 104
    .language:       OpenCL C
    .language_version:
      - 2
      - 0
    .max_flat_workgroup_size: 128
    .name:           _ZN9rocsparseL18bsrxmvn_4x4_kernelILj128ELj4EdlldddEEvT3_20rocsparse_direction_NS_24const_host_device_scalarIT1_EES1_PKS1_PKT2_SA_S7_PKT4_PKT5_S5_PT6_21rocsparse_index_base_b
    .private_segment_fixed_size: 0
    .sgpr_count:     25
    .sgpr_spill_count: 0
    .symbol:         _ZN9rocsparseL18bsrxmvn_4x4_kernelILj128ELj4EdlldddEEvT3_20rocsparse_direction_NS_24const_host_device_scalarIT1_EES1_PKS1_PKT2_SA_S7_PKT4_PKT5_S5_PT6_21rocsparse_index_base_b.kd
    .uniform_work_group_size: 1
    .uses_dynamic_stack: false
    .vgpr_count:     63
    .vgpr_spill_count: 0
    .wavefront_size: 64
  - .args:
      - .offset:         0
        .size:           8
        .value_kind:     by_value
      - .offset:         8
        .size:           4
        .value_kind:     by_value
      - .offset:         16
        .size:           8
        .value_kind:     by_value
      - .offset:         24
        .size:           8
        .value_kind:     by_value
      - .actual_access:  read_only
        .address_space:  global
        .offset:         32
        .size:           8
        .value_kind:     global_buffer
      - .actual_access:  read_only
        .address_space:  global
        .offset:         40
        .size:           8
        .value_kind:     global_buffer
      - .actual_access:  read_only
        .address_space:  global
        .offset:         48
        .size:           8
        .value_kind:     global_buffer
      - .actual_access:  read_only
        .address_space:  global
        .offset:         56
        .size:           8
        .value_kind:     global_buffer
      - .actual_access:  read_only
        .address_space:  global
        .offset:         64
        .size:           8
        .value_kind:     global_buffer
      - .actual_access:  read_only
        .address_space:  global
        .offset:         72
        .size:           8
        .value_kind:     global_buffer
      - .offset:         80
        .size:           8
        .value_kind:     by_value
      - .address_space:  global
        .offset:         88
        .size:           8
        .value_kind:     global_buffer
      - .offset:         96
        .size:           4
        .value_kind:     by_value
      - .offset:         100
        .size:           1
        .value_kind:     by_value
    .group_segment_fixed_size: 0
    .kernarg_segment_align: 8
    .kernarg_segment_size: 104
    .language:       OpenCL C
    .language_version:
      - 2
      - 0
    .max_flat_workgroup_size: 128
    .name:           _ZN9rocsparseL18bsrxmvn_4x4_kernelILj128ELj8EdlldddEEvT3_20rocsparse_direction_NS_24const_host_device_scalarIT1_EES1_PKS1_PKT2_SA_S7_PKT4_PKT5_S5_PT6_21rocsparse_index_base_b
    .private_segment_fixed_size: 0
    .sgpr_count:     25
    .sgpr_spill_count: 0
    .symbol:         _ZN9rocsparseL18bsrxmvn_4x4_kernelILj128ELj8EdlldddEEvT3_20rocsparse_direction_NS_24const_host_device_scalarIT1_EES1_PKS1_PKT2_SA_S7_PKT4_PKT5_S5_PT6_21rocsparse_index_base_b.kd
    .uniform_work_group_size: 1
    .uses_dynamic_stack: false
    .vgpr_count:     63
    .vgpr_spill_count: 0
    .wavefront_size: 64
  - .args:
      - .offset:         0
        .size:           8
        .value_kind:     by_value
      - .offset:         8
        .size:           4
        .value_kind:     by_value
      - .offset:         16
        .size:           8
        .value_kind:     by_value
      - .offset:         24
        .size:           8
        .value_kind:     by_value
      - .actual_access:  read_only
        .address_space:  global
        .offset:         32
        .size:           8
        .value_kind:     global_buffer
      - .actual_access:  read_only
        .address_space:  global
        .offset:         40
        .size:           8
        .value_kind:     global_buffer
      - .actual_access:  read_only
        .address_space:  global
        .offset:         48
        .size:           8
        .value_kind:     global_buffer
      - .actual_access:  read_only
        .address_space:  global
        .offset:         56
        .size:           8
        .value_kind:     global_buffer
      - .actual_access:  read_only
        .address_space:  global
        .offset:         64
        .size:           8
        .value_kind:     global_buffer
      - .actual_access:  read_only
        .address_space:  global
        .offset:         72
        .size:           8
        .value_kind:     global_buffer
      - .offset:         80
        .size:           8
        .value_kind:     by_value
      - .address_space:  global
        .offset:         88
        .size:           8
        .value_kind:     global_buffer
      - .offset:         96
        .size:           4
        .value_kind:     by_value
      - .offset:         100
        .size:           1
        .value_kind:     by_value
    .group_segment_fixed_size: 0
    .kernarg_segment_align: 8
    .kernarg_segment_size: 104
    .language:       OpenCL C
    .language_version:
      - 2
      - 0
    .max_flat_workgroup_size: 128
    .name:           _ZN9rocsparseL18bsrxmvn_4x4_kernelILj128ELj16EdlldddEEvT3_20rocsparse_direction_NS_24const_host_device_scalarIT1_EES1_PKS1_PKT2_SA_S7_PKT4_PKT5_S5_PT6_21rocsparse_index_base_b
    .private_segment_fixed_size: 0
    .sgpr_count:     23
    .sgpr_spill_count: 0
    .symbol:         _ZN9rocsparseL18bsrxmvn_4x4_kernelILj128ELj16EdlldddEEvT3_20rocsparse_direction_NS_24const_host_device_scalarIT1_EES1_PKS1_PKT2_SA_S7_PKT4_PKT5_S5_PT6_21rocsparse_index_base_b.kd
    .uniform_work_group_size: 1
    .uses_dynamic_stack: false
    .vgpr_count:     63
    .vgpr_spill_count: 0
    .wavefront_size: 64
  - .args:
      - .offset:         0
        .size:           8
        .value_kind:     by_value
      - .offset:         8
        .size:           4
        .value_kind:     by_value
      - .offset:         16
        .size:           8
        .value_kind:     by_value
      - .offset:         24
        .size:           8
        .value_kind:     by_value
      - .actual_access:  read_only
        .address_space:  global
        .offset:         32
        .size:           8
        .value_kind:     global_buffer
      - .actual_access:  read_only
        .address_space:  global
        .offset:         40
        .size:           8
        .value_kind:     global_buffer
      - .actual_access:  read_only
        .address_space:  global
        .offset:         48
        .size:           8
        .value_kind:     global_buffer
      - .actual_access:  read_only
        .address_space:  global
        .offset:         56
        .size:           8
        .value_kind:     global_buffer
      - .actual_access:  read_only
        .address_space:  global
        .offset:         64
        .size:           8
        .value_kind:     global_buffer
      - .actual_access:  read_only
        .address_space:  global
        .offset:         72
        .size:           8
        .value_kind:     global_buffer
      - .offset:         80
        .size:           8
        .value_kind:     by_value
      - .address_space:  global
        .offset:         88
        .size:           8
        .value_kind:     global_buffer
      - .offset:         96
        .size:           4
        .value_kind:     by_value
      - .offset:         100
        .size:           1
        .value_kind:     by_value
    .group_segment_fixed_size: 0
    .kernarg_segment_align: 8
    .kernarg_segment_size: 104
    .language:       OpenCL C
    .language_version:
      - 2
      - 0
    .max_flat_workgroup_size: 128
    .name:           _ZN9rocsparseL18bsrxmvn_4x4_kernelILj128ELj32EdlldddEEvT3_20rocsparse_direction_NS_24const_host_device_scalarIT1_EES1_PKS1_PKT2_SA_S7_PKT4_PKT5_S5_PT6_21rocsparse_index_base_b
    .private_segment_fixed_size: 0
    .sgpr_count:     23
    .sgpr_spill_count: 0
    .symbol:         _ZN9rocsparseL18bsrxmvn_4x4_kernelILj128ELj32EdlldddEEvT3_20rocsparse_direction_NS_24const_host_device_scalarIT1_EES1_PKS1_PKT2_SA_S7_PKT4_PKT5_S5_PT6_21rocsparse_index_base_b.kd
    .uniform_work_group_size: 1
    .uses_dynamic_stack: false
    .vgpr_count:     63
    .vgpr_spill_count: 0
    .wavefront_size: 64
  - .args:
      - .offset:         0
        .size:           8
        .value_kind:     by_value
      - .offset:         8
        .size:           4
        .value_kind:     by_value
      - .offset:         16
        .size:           8
        .value_kind:     by_value
      - .offset:         24
        .size:           8
        .value_kind:     by_value
      - .actual_access:  read_only
        .address_space:  global
        .offset:         32
        .size:           8
        .value_kind:     global_buffer
      - .actual_access:  read_only
        .address_space:  global
        .offset:         40
        .size:           8
        .value_kind:     global_buffer
      - .actual_access:  read_only
        .address_space:  global
        .offset:         48
        .size:           8
        .value_kind:     global_buffer
      - .actual_access:  read_only
        .address_space:  global
        .offset:         56
        .size:           8
        .value_kind:     global_buffer
      - .actual_access:  read_only
        .address_space:  global
        .offset:         64
        .size:           8
        .value_kind:     global_buffer
      - .actual_access:  read_only
        .address_space:  global
        .offset:         72
        .size:           8
        .value_kind:     global_buffer
      - .offset:         80
        .size:           8
        .value_kind:     by_value
      - .address_space:  global
        .offset:         88
        .size:           8
        .value_kind:     global_buffer
      - .offset:         96
        .size:           4
        .value_kind:     by_value
      - .offset:         100
        .size:           1
        .value_kind:     by_value
    .group_segment_fixed_size: 0
    .kernarg_segment_align: 8
    .kernarg_segment_size: 104
    .language:       OpenCL C
    .language_version:
      - 2
      - 0
    .max_flat_workgroup_size: 128
    .name:           _ZN9rocsparseL18bsrxmvn_4x4_kernelILj128ELj64EdlldddEEvT3_20rocsparse_direction_NS_24const_host_device_scalarIT1_EES1_PKS1_PKT2_SA_S7_PKT4_PKT5_S5_PT6_21rocsparse_index_base_b
    .private_segment_fixed_size: 0
    .sgpr_count:     23
    .sgpr_spill_count: 0
    .symbol:         _ZN9rocsparseL18bsrxmvn_4x4_kernelILj128ELj64EdlldddEEvT3_20rocsparse_direction_NS_24const_host_device_scalarIT1_EES1_PKS1_PKT2_SA_S7_PKT4_PKT5_S5_PT6_21rocsparse_index_base_b.kd
    .uniform_work_group_size: 1
    .uses_dynamic_stack: false
    .vgpr_count:     63
    .vgpr_spill_count: 0
    .wavefront_size: 64
  - .args:
      - .offset:         0
        .size:           8
        .value_kind:     by_value
      - .offset:         8
        .size:           4
        .value_kind:     by_value
      - .offset:         16
        .size:           8
        .value_kind:     by_value
      - .offset:         24
        .size:           8
        .value_kind:     by_value
      - .actual_access:  read_only
        .address_space:  global
        .offset:         32
        .size:           8
        .value_kind:     global_buffer
      - .actual_access:  read_only
        .address_space:  global
        .offset:         40
        .size:           8
        .value_kind:     global_buffer
      - .actual_access:  read_only
        .address_space:  global
        .offset:         48
        .size:           8
        .value_kind:     global_buffer
      - .actual_access:  read_only
        .address_space:  global
        .offset:         56
        .size:           8
        .value_kind:     global_buffer
      - .actual_access:  read_only
        .address_space:  global
        .offset:         64
        .size:           8
        .value_kind:     global_buffer
      - .actual_access:  read_only
        .address_space:  global
        .offset:         72
        .size:           8
        .value_kind:     global_buffer
      - .offset:         80
        .size:           8
        .value_kind:     by_value
      - .address_space:  global
        .offset:         88
        .size:           8
        .value_kind:     global_buffer
      - .offset:         96
        .size:           4
        .value_kind:     by_value
      - .offset:         100
        .size:           1
        .value_kind:     by_value
    .group_segment_fixed_size: 0
    .kernarg_segment_align: 8
    .kernarg_segment_size: 104
    .language:       OpenCL C
    .language_version:
      - 2
      - 0
    .max_flat_workgroup_size: 128
    .name:           _ZN9rocsparseL18bsrxmvn_4x4_kernelILj128ELj4E21rocsparse_complex_numIfEllS2_S2_S2_EEvT3_20rocsparse_direction_NS_24const_host_device_scalarIT1_EES3_PKS3_PKT2_SC_S9_PKT4_PKT5_S7_PT6_21rocsparse_index_base_b
    .private_segment_fixed_size: 0
    .sgpr_count:     25
    .sgpr_spill_count: 0
    .symbol:         _ZN9rocsparseL18bsrxmvn_4x4_kernelILj128ELj4E21rocsparse_complex_numIfEllS2_S2_S2_EEvT3_20rocsparse_direction_NS_24const_host_device_scalarIT1_EES3_PKS3_PKT2_SC_S9_PKT4_PKT5_S7_PT6_21rocsparse_index_base_b.kd
    .uniform_work_group_size: 1
    .uses_dynamic_stack: false
    .vgpr_count:     61
    .vgpr_spill_count: 0
    .wavefront_size: 64
  - .args:
      - .offset:         0
        .size:           8
        .value_kind:     by_value
      - .offset:         8
        .size:           4
        .value_kind:     by_value
      - .offset:         16
        .size:           8
        .value_kind:     by_value
      - .offset:         24
        .size:           8
        .value_kind:     by_value
      - .actual_access:  read_only
        .address_space:  global
        .offset:         32
        .size:           8
        .value_kind:     global_buffer
      - .actual_access:  read_only
        .address_space:  global
        .offset:         40
        .size:           8
        .value_kind:     global_buffer
      - .actual_access:  read_only
        .address_space:  global
        .offset:         48
        .size:           8
        .value_kind:     global_buffer
      - .actual_access:  read_only
        .address_space:  global
        .offset:         56
        .size:           8
        .value_kind:     global_buffer
      - .actual_access:  read_only
        .address_space:  global
        .offset:         64
        .size:           8
        .value_kind:     global_buffer
      - .actual_access:  read_only
        .address_space:  global
        .offset:         72
        .size:           8
        .value_kind:     global_buffer
      - .offset:         80
        .size:           8
        .value_kind:     by_value
      - .address_space:  global
        .offset:         88
        .size:           8
        .value_kind:     global_buffer
      - .offset:         96
        .size:           4
        .value_kind:     by_value
      - .offset:         100
        .size:           1
        .value_kind:     by_value
    .group_segment_fixed_size: 0
    .kernarg_segment_align: 8
    .kernarg_segment_size: 104
    .language:       OpenCL C
    .language_version:
      - 2
      - 0
    .max_flat_workgroup_size: 128
    .name:           _ZN9rocsparseL18bsrxmvn_4x4_kernelILj128ELj8E21rocsparse_complex_numIfEllS2_S2_S2_EEvT3_20rocsparse_direction_NS_24const_host_device_scalarIT1_EES3_PKS3_PKT2_SC_S9_PKT4_PKT5_S7_PT6_21rocsparse_index_base_b
    .private_segment_fixed_size: 0
    .sgpr_count:     25
    .sgpr_spill_count: 0
    .symbol:         _ZN9rocsparseL18bsrxmvn_4x4_kernelILj128ELj8E21rocsparse_complex_numIfEllS2_S2_S2_EEvT3_20rocsparse_direction_NS_24const_host_device_scalarIT1_EES3_PKS3_PKT2_SC_S9_PKT4_PKT5_S7_PT6_21rocsparse_index_base_b.kd
    .uniform_work_group_size: 1
    .uses_dynamic_stack: false
    .vgpr_count:     61
    .vgpr_spill_count: 0
    .wavefront_size: 64
  - .args:
      - .offset:         0
        .size:           8
        .value_kind:     by_value
      - .offset:         8
        .size:           4
        .value_kind:     by_value
      - .offset:         16
        .size:           8
        .value_kind:     by_value
      - .offset:         24
        .size:           8
        .value_kind:     by_value
      - .actual_access:  read_only
        .address_space:  global
        .offset:         32
        .size:           8
        .value_kind:     global_buffer
      - .actual_access:  read_only
        .address_space:  global
        .offset:         40
        .size:           8
        .value_kind:     global_buffer
      - .actual_access:  read_only
        .address_space:  global
        .offset:         48
        .size:           8
        .value_kind:     global_buffer
      - .actual_access:  read_only
        .address_space:  global
        .offset:         56
        .size:           8
        .value_kind:     global_buffer
      - .actual_access:  read_only
        .address_space:  global
        .offset:         64
        .size:           8
        .value_kind:     global_buffer
      - .actual_access:  read_only
        .address_space:  global
        .offset:         72
        .size:           8
        .value_kind:     global_buffer
      - .offset:         80
        .size:           8
        .value_kind:     by_value
      - .address_space:  global
        .offset:         88
        .size:           8
        .value_kind:     global_buffer
      - .offset:         96
        .size:           4
        .value_kind:     by_value
      - .offset:         100
        .size:           1
        .value_kind:     by_value
    .group_segment_fixed_size: 0
    .kernarg_segment_align: 8
    .kernarg_segment_size: 104
    .language:       OpenCL C
    .language_version:
      - 2
      - 0
    .max_flat_workgroup_size: 128
    .name:           _ZN9rocsparseL18bsrxmvn_4x4_kernelILj128ELj16E21rocsparse_complex_numIfEllS2_S2_S2_EEvT3_20rocsparse_direction_NS_24const_host_device_scalarIT1_EES3_PKS3_PKT2_SC_S9_PKT4_PKT5_S7_PT6_21rocsparse_index_base_b
    .private_segment_fixed_size: 0
    .sgpr_count:     23
    .sgpr_spill_count: 0
    .symbol:         _ZN9rocsparseL18bsrxmvn_4x4_kernelILj128ELj16E21rocsparse_complex_numIfEllS2_S2_S2_EEvT3_20rocsparse_direction_NS_24const_host_device_scalarIT1_EES3_PKS3_PKT2_SC_S9_PKT4_PKT5_S7_PT6_21rocsparse_index_base_b.kd
    .uniform_work_group_size: 1
    .uses_dynamic_stack: false
    .vgpr_count:     62
    .vgpr_spill_count: 0
    .wavefront_size: 64
  - .args:
      - .offset:         0
        .size:           8
        .value_kind:     by_value
      - .offset:         8
        .size:           4
        .value_kind:     by_value
      - .offset:         16
        .size:           8
        .value_kind:     by_value
      - .offset:         24
        .size:           8
        .value_kind:     by_value
      - .actual_access:  read_only
        .address_space:  global
        .offset:         32
        .size:           8
        .value_kind:     global_buffer
      - .actual_access:  read_only
        .address_space:  global
        .offset:         40
        .size:           8
        .value_kind:     global_buffer
      - .actual_access:  read_only
        .address_space:  global
        .offset:         48
        .size:           8
        .value_kind:     global_buffer
      - .actual_access:  read_only
        .address_space:  global
        .offset:         56
        .size:           8
        .value_kind:     global_buffer
      - .actual_access:  read_only
        .address_space:  global
        .offset:         64
        .size:           8
        .value_kind:     global_buffer
      - .actual_access:  read_only
        .address_space:  global
        .offset:         72
        .size:           8
        .value_kind:     global_buffer
      - .offset:         80
        .size:           8
        .value_kind:     by_value
      - .address_space:  global
        .offset:         88
        .size:           8
        .value_kind:     global_buffer
      - .offset:         96
        .size:           4
        .value_kind:     by_value
      - .offset:         100
        .size:           1
        .value_kind:     by_value
    .group_segment_fixed_size: 0
    .kernarg_segment_align: 8
    .kernarg_segment_size: 104
    .language:       OpenCL C
    .language_version:
      - 2
      - 0
    .max_flat_workgroup_size: 128
    .name:           _ZN9rocsparseL18bsrxmvn_4x4_kernelILj128ELj32E21rocsparse_complex_numIfEllS2_S2_S2_EEvT3_20rocsparse_direction_NS_24const_host_device_scalarIT1_EES3_PKS3_PKT2_SC_S9_PKT4_PKT5_S7_PT6_21rocsparse_index_base_b
    .private_segment_fixed_size: 0
    .sgpr_count:     23
    .sgpr_spill_count: 0
    .symbol:         _ZN9rocsparseL18bsrxmvn_4x4_kernelILj128ELj32E21rocsparse_complex_numIfEllS2_S2_S2_EEvT3_20rocsparse_direction_NS_24const_host_device_scalarIT1_EES3_PKS3_PKT2_SC_S9_PKT4_PKT5_S7_PT6_21rocsparse_index_base_b.kd
    .uniform_work_group_size: 1
    .uses_dynamic_stack: false
    .vgpr_count:     63
    .vgpr_spill_count: 0
    .wavefront_size: 64
  - .args:
      - .offset:         0
        .size:           8
        .value_kind:     by_value
      - .offset:         8
        .size:           4
        .value_kind:     by_value
      - .offset:         16
        .size:           8
        .value_kind:     by_value
      - .offset:         24
        .size:           8
        .value_kind:     by_value
      - .actual_access:  read_only
        .address_space:  global
        .offset:         32
        .size:           8
        .value_kind:     global_buffer
      - .actual_access:  read_only
        .address_space:  global
        .offset:         40
        .size:           8
        .value_kind:     global_buffer
      - .actual_access:  read_only
        .address_space:  global
        .offset:         48
        .size:           8
        .value_kind:     global_buffer
      - .actual_access:  read_only
        .address_space:  global
        .offset:         56
        .size:           8
        .value_kind:     global_buffer
      - .actual_access:  read_only
        .address_space:  global
        .offset:         64
        .size:           8
        .value_kind:     global_buffer
      - .actual_access:  read_only
        .address_space:  global
        .offset:         72
        .size:           8
        .value_kind:     global_buffer
      - .offset:         80
        .size:           8
        .value_kind:     by_value
      - .address_space:  global
        .offset:         88
        .size:           8
        .value_kind:     global_buffer
      - .offset:         96
        .size:           4
        .value_kind:     by_value
      - .offset:         100
        .size:           1
        .value_kind:     by_value
    .group_segment_fixed_size: 0
    .kernarg_segment_align: 8
    .kernarg_segment_size: 104
    .language:       OpenCL C
    .language_version:
      - 2
      - 0
    .max_flat_workgroup_size: 128
    .name:           _ZN9rocsparseL18bsrxmvn_4x4_kernelILj128ELj64E21rocsparse_complex_numIfEllS2_S2_S2_EEvT3_20rocsparse_direction_NS_24const_host_device_scalarIT1_EES3_PKS3_PKT2_SC_S9_PKT4_PKT5_S7_PT6_21rocsparse_index_base_b
    .private_segment_fixed_size: 0
    .sgpr_count:     23
    .sgpr_spill_count: 0
    .symbol:         _ZN9rocsparseL18bsrxmvn_4x4_kernelILj128ELj64E21rocsparse_complex_numIfEllS2_S2_S2_EEvT3_20rocsparse_direction_NS_24const_host_device_scalarIT1_EES3_PKS3_PKT2_SC_S9_PKT4_PKT5_S7_PT6_21rocsparse_index_base_b.kd
    .uniform_work_group_size: 1
    .uses_dynamic_stack: false
    .vgpr_count:     63
    .vgpr_spill_count: 0
    .wavefront_size: 64
  - .args:
      - .offset:         0
        .size:           8
        .value_kind:     by_value
      - .offset:         8
        .size:           4
        .value_kind:     by_value
      - .offset:         16
        .size:           16
        .value_kind:     by_value
      - .offset:         32
        .size:           8
        .value_kind:     by_value
      - .actual_access:  read_only
        .address_space:  global
        .offset:         40
        .size:           8
        .value_kind:     global_buffer
      - .actual_access:  read_only
        .address_space:  global
        .offset:         48
        .size:           8
        .value_kind:     global_buffer
      - .actual_access:  read_only
        .address_space:  global
        .offset:         56
        .size:           8
        .value_kind:     global_buffer
      - .actual_access:  read_only
        .address_space:  global
        .offset:         64
        .size:           8
        .value_kind:     global_buffer
      - .actual_access:  read_only
        .address_space:  global
        .offset:         72
        .size:           8
        .value_kind:     global_buffer
      - .actual_access:  read_only
        .address_space:  global
        .offset:         80
        .size:           8
        .value_kind:     global_buffer
      - .offset:         88
        .size:           16
        .value_kind:     by_value
      - .address_space:  global
        .offset:         104
        .size:           8
        .value_kind:     global_buffer
      - .offset:         112
        .size:           4
        .value_kind:     by_value
      - .offset:         116
        .size:           1
        .value_kind:     by_value
    .group_segment_fixed_size: 0
    .kernarg_segment_align: 8
    .kernarg_segment_size: 120
    .language:       OpenCL C
    .language_version:
      - 2
      - 0
    .max_flat_workgroup_size: 128
    .name:           _ZN9rocsparseL18bsrxmvn_4x4_kernelILj128ELj4E21rocsparse_complex_numIdEllS2_S2_S2_EEvT3_20rocsparse_direction_NS_24const_host_device_scalarIT1_EES3_PKS3_PKT2_SC_S9_PKT4_PKT5_S7_PT6_21rocsparse_index_base_b
    .private_segment_fixed_size: 0
    .sgpr_count:     25
    .sgpr_spill_count: 0
    .symbol:         _ZN9rocsparseL18bsrxmvn_4x4_kernelILj128ELj4E21rocsparse_complex_numIdEllS2_S2_S2_EEvT3_20rocsparse_direction_NS_24const_host_device_scalarIT1_EES3_PKS3_PKT2_SC_S9_PKT4_PKT5_S7_PT6_21rocsparse_index_base_b.kd
    .uniform_work_group_size: 1
    .uses_dynamic_stack: false
    .vgpr_count:     88
    .vgpr_spill_count: 0
    .wavefront_size: 64
  - .args:
      - .offset:         0
        .size:           8
        .value_kind:     by_value
      - .offset:         8
        .size:           4
        .value_kind:     by_value
      - .offset:         16
        .size:           16
        .value_kind:     by_value
      - .offset:         32
        .size:           8
        .value_kind:     by_value
      - .actual_access:  read_only
        .address_space:  global
        .offset:         40
        .size:           8
        .value_kind:     global_buffer
      - .actual_access:  read_only
        .address_space:  global
        .offset:         48
        .size:           8
        .value_kind:     global_buffer
      - .actual_access:  read_only
        .address_space:  global
        .offset:         56
        .size:           8
        .value_kind:     global_buffer
      - .actual_access:  read_only
        .address_space:  global
        .offset:         64
        .size:           8
        .value_kind:     global_buffer
      - .actual_access:  read_only
        .address_space:  global
        .offset:         72
        .size:           8
        .value_kind:     global_buffer
      - .actual_access:  read_only
        .address_space:  global
        .offset:         80
        .size:           8
        .value_kind:     global_buffer
      - .offset:         88
        .size:           16
        .value_kind:     by_value
      - .address_space:  global
        .offset:         104
        .size:           8
        .value_kind:     global_buffer
      - .offset:         112
        .size:           4
        .value_kind:     by_value
      - .offset:         116
        .size:           1
        .value_kind:     by_value
    .group_segment_fixed_size: 0
    .kernarg_segment_align: 8
    .kernarg_segment_size: 120
    .language:       OpenCL C
    .language_version:
      - 2
      - 0
    .max_flat_workgroup_size: 128
    .name:           _ZN9rocsparseL18bsrxmvn_4x4_kernelILj128ELj8E21rocsparse_complex_numIdEllS2_S2_S2_EEvT3_20rocsparse_direction_NS_24const_host_device_scalarIT1_EES3_PKS3_PKT2_SC_S9_PKT4_PKT5_S7_PT6_21rocsparse_index_base_b
    .private_segment_fixed_size: 0
    .sgpr_count:     25
    .sgpr_spill_count: 0
    .symbol:         _ZN9rocsparseL18bsrxmvn_4x4_kernelILj128ELj8E21rocsparse_complex_numIdEllS2_S2_S2_EEvT3_20rocsparse_direction_NS_24const_host_device_scalarIT1_EES3_PKS3_PKT2_SC_S9_PKT4_PKT5_S7_PT6_21rocsparse_index_base_b.kd
    .uniform_work_group_size: 1
    .uses_dynamic_stack: false
    .vgpr_count:     90
    .vgpr_spill_count: 0
    .wavefront_size: 64
  - .args:
      - .offset:         0
        .size:           8
        .value_kind:     by_value
      - .offset:         8
        .size:           4
        .value_kind:     by_value
      - .offset:         16
        .size:           16
        .value_kind:     by_value
      - .offset:         32
        .size:           8
        .value_kind:     by_value
      - .actual_access:  read_only
        .address_space:  global
        .offset:         40
        .size:           8
        .value_kind:     global_buffer
      - .actual_access:  read_only
        .address_space:  global
        .offset:         48
        .size:           8
        .value_kind:     global_buffer
      - .actual_access:  read_only
        .address_space:  global
        .offset:         56
        .size:           8
        .value_kind:     global_buffer
      - .actual_access:  read_only
        .address_space:  global
        .offset:         64
        .size:           8
        .value_kind:     global_buffer
      - .actual_access:  read_only
        .address_space:  global
        .offset:         72
        .size:           8
        .value_kind:     global_buffer
      - .actual_access:  read_only
        .address_space:  global
        .offset:         80
        .size:           8
        .value_kind:     global_buffer
      - .offset:         88
        .size:           16
        .value_kind:     by_value
      - .address_space:  global
        .offset:         104
        .size:           8
        .value_kind:     global_buffer
      - .offset:         112
        .size:           4
        .value_kind:     by_value
      - .offset:         116
        .size:           1
        .value_kind:     by_value
    .group_segment_fixed_size: 0
    .kernarg_segment_align: 8
    .kernarg_segment_size: 120
    .language:       OpenCL C
    .language_version:
      - 2
      - 0
    .max_flat_workgroup_size: 128
    .name:           _ZN9rocsparseL18bsrxmvn_4x4_kernelILj128ELj16E21rocsparse_complex_numIdEllS2_S2_S2_EEvT3_20rocsparse_direction_NS_24const_host_device_scalarIT1_EES3_PKS3_PKT2_SC_S9_PKT4_PKT5_S7_PT6_21rocsparse_index_base_b
    .private_segment_fixed_size: 0
    .sgpr_count:     23
    .sgpr_spill_count: 0
    .symbol:         _ZN9rocsparseL18bsrxmvn_4x4_kernelILj128ELj16E21rocsparse_complex_numIdEllS2_S2_S2_EEvT3_20rocsparse_direction_NS_24const_host_device_scalarIT1_EES3_PKS3_PKT2_SC_S9_PKT4_PKT5_S7_PT6_21rocsparse_index_base_b.kd
    .uniform_work_group_size: 1
    .uses_dynamic_stack: false
    .vgpr_count:     90
    .vgpr_spill_count: 0
    .wavefront_size: 64
  - .args:
      - .offset:         0
        .size:           8
        .value_kind:     by_value
      - .offset:         8
        .size:           4
        .value_kind:     by_value
      - .offset:         16
        .size:           16
        .value_kind:     by_value
      - .offset:         32
        .size:           8
        .value_kind:     by_value
      - .actual_access:  read_only
        .address_space:  global
        .offset:         40
        .size:           8
        .value_kind:     global_buffer
      - .actual_access:  read_only
        .address_space:  global
        .offset:         48
        .size:           8
        .value_kind:     global_buffer
      - .actual_access:  read_only
        .address_space:  global
        .offset:         56
        .size:           8
        .value_kind:     global_buffer
      - .actual_access:  read_only
        .address_space:  global
        .offset:         64
        .size:           8
        .value_kind:     global_buffer
      - .actual_access:  read_only
        .address_space:  global
        .offset:         72
        .size:           8
        .value_kind:     global_buffer
      - .actual_access:  read_only
        .address_space:  global
        .offset:         80
        .size:           8
        .value_kind:     global_buffer
      - .offset:         88
        .size:           16
        .value_kind:     by_value
      - .address_space:  global
        .offset:         104
        .size:           8
        .value_kind:     global_buffer
      - .offset:         112
        .size:           4
        .value_kind:     by_value
      - .offset:         116
        .size:           1
        .value_kind:     by_value
    .group_segment_fixed_size: 0
    .kernarg_segment_align: 8
    .kernarg_segment_size: 120
    .language:       OpenCL C
    .language_version:
      - 2
      - 0
    .max_flat_workgroup_size: 128
    .name:           _ZN9rocsparseL18bsrxmvn_4x4_kernelILj128ELj32E21rocsparse_complex_numIdEllS2_S2_S2_EEvT3_20rocsparse_direction_NS_24const_host_device_scalarIT1_EES3_PKS3_PKT2_SC_S9_PKT4_PKT5_S7_PT6_21rocsparse_index_base_b
    .private_segment_fixed_size: 0
    .sgpr_count:     23
    .sgpr_spill_count: 0
    .symbol:         _ZN9rocsparseL18bsrxmvn_4x4_kernelILj128ELj32E21rocsparse_complex_numIdEllS2_S2_S2_EEvT3_20rocsparse_direction_NS_24const_host_device_scalarIT1_EES3_PKS3_PKT2_SC_S9_PKT4_PKT5_S7_PT6_21rocsparse_index_base_b.kd
    .uniform_work_group_size: 1
    .uses_dynamic_stack: false
    .vgpr_count:     90
    .vgpr_spill_count: 0
    .wavefront_size: 64
  - .args:
      - .offset:         0
        .size:           8
        .value_kind:     by_value
      - .offset:         8
        .size:           4
        .value_kind:     by_value
      - .offset:         16
        .size:           16
        .value_kind:     by_value
      - .offset:         32
        .size:           8
        .value_kind:     by_value
      - .actual_access:  read_only
        .address_space:  global
        .offset:         40
        .size:           8
        .value_kind:     global_buffer
      - .actual_access:  read_only
        .address_space:  global
        .offset:         48
        .size:           8
        .value_kind:     global_buffer
      - .actual_access:  read_only
        .address_space:  global
        .offset:         56
        .size:           8
        .value_kind:     global_buffer
      - .actual_access:  read_only
        .address_space:  global
        .offset:         64
        .size:           8
        .value_kind:     global_buffer
      - .actual_access:  read_only
        .address_space:  global
        .offset:         72
        .size:           8
        .value_kind:     global_buffer
      - .actual_access:  read_only
        .address_space:  global
        .offset:         80
        .size:           8
        .value_kind:     global_buffer
      - .offset:         88
        .size:           16
        .value_kind:     by_value
      - .address_space:  global
        .offset:         104
        .size:           8
        .value_kind:     global_buffer
      - .offset:         112
        .size:           4
        .value_kind:     by_value
      - .offset:         116
        .size:           1
        .value_kind:     by_value
    .group_segment_fixed_size: 0
    .kernarg_segment_align: 8
    .kernarg_segment_size: 120
    .language:       OpenCL C
    .language_version:
      - 2
      - 0
    .max_flat_workgroup_size: 128
    .name:           _ZN9rocsparseL18bsrxmvn_4x4_kernelILj128ELj64E21rocsparse_complex_numIdEllS2_S2_S2_EEvT3_20rocsparse_direction_NS_24const_host_device_scalarIT1_EES3_PKS3_PKT2_SC_S9_PKT4_PKT5_S7_PT6_21rocsparse_index_base_b
    .private_segment_fixed_size: 0
    .sgpr_count:     23
    .sgpr_spill_count: 0
    .symbol:         _ZN9rocsparseL18bsrxmvn_4x4_kernelILj128ELj64E21rocsparse_complex_numIdEllS2_S2_S2_EEvT3_20rocsparse_direction_NS_24const_host_device_scalarIT1_EES3_PKS3_PKT2_SC_S9_PKT4_PKT5_S7_PT6_21rocsparse_index_base_b.kd
    .uniform_work_group_size: 1
    .uses_dynamic_stack: false
    .vgpr_count:     90
    .vgpr_spill_count: 0
    .wavefront_size: 64
  - .args:
      - .offset:         0
        .size:           4
        .value_kind:     by_value
      - .offset:         4
        .size:           4
        .value_kind:     by_value
      - .offset:         8
        .size:           8
        .value_kind:     by_value
      - .offset:         16
        .size:           4
        .value_kind:     by_value
      - .actual_access:  read_only
        .address_space:  global
        .offset:         24
        .size:           8
        .value_kind:     global_buffer
      - .actual_access:  read_only
        .address_space:  global
        .offset:         32
        .size:           8
        .value_kind:     global_buffer
      - .actual_access:  read_only
        .address_space:  global
        .offset:         40
        .size:           8
        .value_kind:     global_buffer
      - .actual_access:  read_only
        .address_space:  global
        .offset:         48
        .size:           8
        .value_kind:     global_buffer
      - .actual_access:  read_only
        .address_space:  global
        .offset:         56
        .size:           8
        .value_kind:     global_buffer
      - .actual_access:  read_only
        .address_space:  global
        .offset:         64
        .size:           8
        .value_kind:     global_buffer
      - .offset:         72
        .size:           8
        .value_kind:     by_value
      - .address_space:  global
        .offset:         80
        .size:           8
        .value_kind:     global_buffer
      - .offset:         88
        .size:           4
        .value_kind:     by_value
      - .offset:         92
        .size:           1
        .value_kind:     by_value
    .group_segment_fixed_size: 0
    .kernarg_segment_align: 8
    .kernarg_segment_size: 96
    .language:       OpenCL C
    .language_version:
      - 2
      - 0
    .max_flat_workgroup_size: 128
    .name:           _ZN9rocsparseL18bsrxmvn_4x4_kernelILj128ELj4EiiiaaiEEvT3_20rocsparse_direction_NS_24const_host_device_scalarIT1_EES1_PKS1_PKT2_SA_S7_PKT4_PKT5_S5_PT6_21rocsparse_index_base_b
    .private_segment_fixed_size: 0
    .sgpr_count:     31
    .sgpr_spill_count: 0
    .symbol:         _ZN9rocsparseL18bsrxmvn_4x4_kernelILj128ELj4EiiiaaiEEvT3_20rocsparse_direction_NS_24const_host_device_scalarIT1_EES1_PKS1_PKT2_SA_S7_PKT4_PKT5_S5_PT6_21rocsparse_index_base_b.kd
    .uniform_work_group_size: 1
    .uses_dynamic_stack: false
    .vgpr_count:     50
    .vgpr_spill_count: 0
    .wavefront_size: 64
  - .args:
      - .offset:         0
        .size:           4
        .value_kind:     by_value
      - .offset:         4
        .size:           4
        .value_kind:     by_value
      - .offset:         8
        .size:           8
        .value_kind:     by_value
      - .offset:         16
        .size:           4
        .value_kind:     by_value
      - .actual_access:  read_only
        .address_space:  global
        .offset:         24
        .size:           8
        .value_kind:     global_buffer
      - .actual_access:  read_only
        .address_space:  global
        .offset:         32
        .size:           8
        .value_kind:     global_buffer
      - .actual_access:  read_only
        .address_space:  global
        .offset:         40
        .size:           8
        .value_kind:     global_buffer
      - .actual_access:  read_only
        .address_space:  global
        .offset:         48
        .size:           8
        .value_kind:     global_buffer
      - .actual_access:  read_only
        .address_space:  global
        .offset:         56
        .size:           8
        .value_kind:     global_buffer
      - .actual_access:  read_only
        .address_space:  global
        .offset:         64
        .size:           8
        .value_kind:     global_buffer
      - .offset:         72
        .size:           8
        .value_kind:     by_value
      - .address_space:  global
        .offset:         80
        .size:           8
        .value_kind:     global_buffer
      - .offset:         88
        .size:           4
        .value_kind:     by_value
      - .offset:         92
        .size:           1
        .value_kind:     by_value
    .group_segment_fixed_size: 0
    .kernarg_segment_align: 8
    .kernarg_segment_size: 96
    .language:       OpenCL C
    .language_version:
      - 2
      - 0
    .max_flat_workgroup_size: 128
    .name:           _ZN9rocsparseL18bsrxmvn_4x4_kernelILj128ELj8EiiiaaiEEvT3_20rocsparse_direction_NS_24const_host_device_scalarIT1_EES1_PKS1_PKT2_SA_S7_PKT4_PKT5_S5_PT6_21rocsparse_index_base_b
    .private_segment_fixed_size: 0
    .sgpr_count:     31
    .sgpr_spill_count: 0
    .symbol:         _ZN9rocsparseL18bsrxmvn_4x4_kernelILj128ELj8EiiiaaiEEvT3_20rocsparse_direction_NS_24const_host_device_scalarIT1_EES1_PKS1_PKT2_SA_S7_PKT4_PKT5_S5_PT6_21rocsparse_index_base_b.kd
    .uniform_work_group_size: 1
    .uses_dynamic_stack: false
    .vgpr_count:     50
    .vgpr_spill_count: 0
    .wavefront_size: 64
  - .args:
      - .offset:         0
        .size:           4
        .value_kind:     by_value
      - .offset:         4
        .size:           4
        .value_kind:     by_value
      - .offset:         8
        .size:           8
        .value_kind:     by_value
      - .offset:         16
        .size:           4
        .value_kind:     by_value
      - .actual_access:  read_only
        .address_space:  global
        .offset:         24
        .size:           8
        .value_kind:     global_buffer
      - .actual_access:  read_only
        .address_space:  global
        .offset:         32
        .size:           8
        .value_kind:     global_buffer
      - .actual_access:  read_only
        .address_space:  global
        .offset:         40
        .size:           8
        .value_kind:     global_buffer
      - .actual_access:  read_only
        .address_space:  global
        .offset:         48
        .size:           8
        .value_kind:     global_buffer
      - .actual_access:  read_only
        .address_space:  global
        .offset:         56
        .size:           8
        .value_kind:     global_buffer
      - .actual_access:  read_only
        .address_space:  global
        .offset:         64
        .size:           8
        .value_kind:     global_buffer
      - .offset:         72
        .size:           8
        .value_kind:     by_value
      - .address_space:  global
        .offset:         80
        .size:           8
        .value_kind:     global_buffer
      - .offset:         88
        .size:           4
        .value_kind:     by_value
      - .offset:         92
        .size:           1
        .value_kind:     by_value
    .group_segment_fixed_size: 0
    .kernarg_segment_align: 8
    .kernarg_segment_size: 96
    .language:       OpenCL C
    .language_version:
      - 2
      - 0
    .max_flat_workgroup_size: 128
    .name:           _ZN9rocsparseL18bsrxmvn_4x4_kernelILj128ELj16EiiiaaiEEvT3_20rocsparse_direction_NS_24const_host_device_scalarIT1_EES1_PKS1_PKT2_SA_S7_PKT4_PKT5_S5_PT6_21rocsparse_index_base_b
    .private_segment_fixed_size: 0
    .sgpr_count:     31
    .sgpr_spill_count: 0
    .symbol:         _ZN9rocsparseL18bsrxmvn_4x4_kernelILj128ELj16EiiiaaiEEvT3_20rocsparse_direction_NS_24const_host_device_scalarIT1_EES1_PKS1_PKT2_SA_S7_PKT4_PKT5_S5_PT6_21rocsparse_index_base_b.kd
    .uniform_work_group_size: 1
    .uses_dynamic_stack: false
    .vgpr_count:     50
    .vgpr_spill_count: 0
    .wavefront_size: 64
  - .args:
      - .offset:         0
        .size:           4
        .value_kind:     by_value
      - .offset:         4
        .size:           4
        .value_kind:     by_value
      - .offset:         8
        .size:           8
        .value_kind:     by_value
      - .offset:         16
        .size:           4
        .value_kind:     by_value
      - .actual_access:  read_only
        .address_space:  global
        .offset:         24
        .size:           8
        .value_kind:     global_buffer
      - .actual_access:  read_only
        .address_space:  global
        .offset:         32
        .size:           8
        .value_kind:     global_buffer
      - .actual_access:  read_only
        .address_space:  global
        .offset:         40
        .size:           8
        .value_kind:     global_buffer
      - .actual_access:  read_only
        .address_space:  global
        .offset:         48
        .size:           8
        .value_kind:     global_buffer
      - .actual_access:  read_only
        .address_space:  global
        .offset:         56
        .size:           8
        .value_kind:     global_buffer
      - .actual_access:  read_only
        .address_space:  global
        .offset:         64
        .size:           8
        .value_kind:     global_buffer
      - .offset:         72
        .size:           8
        .value_kind:     by_value
      - .address_space:  global
        .offset:         80
        .size:           8
        .value_kind:     global_buffer
      - .offset:         88
        .size:           4
        .value_kind:     by_value
      - .offset:         92
        .size:           1
        .value_kind:     by_value
    .group_segment_fixed_size: 0
    .kernarg_segment_align: 8
    .kernarg_segment_size: 96
    .language:       OpenCL C
    .language_version:
      - 2
      - 0
    .max_flat_workgroup_size: 128
    .name:           _ZN9rocsparseL18bsrxmvn_4x4_kernelILj128ELj32EiiiaaiEEvT3_20rocsparse_direction_NS_24const_host_device_scalarIT1_EES1_PKS1_PKT2_SA_S7_PKT4_PKT5_S5_PT6_21rocsparse_index_base_b
    .private_segment_fixed_size: 0
    .sgpr_count:     31
    .sgpr_spill_count: 0
    .symbol:         _ZN9rocsparseL18bsrxmvn_4x4_kernelILj128ELj32EiiiaaiEEvT3_20rocsparse_direction_NS_24const_host_device_scalarIT1_EES1_PKS1_PKT2_SA_S7_PKT4_PKT5_S5_PT6_21rocsparse_index_base_b.kd
    .uniform_work_group_size: 1
    .uses_dynamic_stack: false
    .vgpr_count:     50
    .vgpr_spill_count: 0
    .wavefront_size: 64
  - .args:
      - .offset:         0
        .size:           4
        .value_kind:     by_value
      - .offset:         4
        .size:           4
        .value_kind:     by_value
      - .offset:         8
        .size:           8
        .value_kind:     by_value
      - .offset:         16
        .size:           4
        .value_kind:     by_value
      - .actual_access:  read_only
        .address_space:  global
        .offset:         24
        .size:           8
        .value_kind:     global_buffer
      - .actual_access:  read_only
        .address_space:  global
        .offset:         32
        .size:           8
        .value_kind:     global_buffer
      - .actual_access:  read_only
        .address_space:  global
        .offset:         40
        .size:           8
        .value_kind:     global_buffer
      - .actual_access:  read_only
        .address_space:  global
        .offset:         48
        .size:           8
        .value_kind:     global_buffer
      - .actual_access:  read_only
        .address_space:  global
        .offset:         56
        .size:           8
        .value_kind:     global_buffer
      - .actual_access:  read_only
        .address_space:  global
        .offset:         64
        .size:           8
        .value_kind:     global_buffer
      - .offset:         72
        .size:           8
        .value_kind:     by_value
      - .address_space:  global
        .offset:         80
        .size:           8
        .value_kind:     global_buffer
      - .offset:         88
        .size:           4
        .value_kind:     by_value
      - .offset:         92
        .size:           1
        .value_kind:     by_value
    .group_segment_fixed_size: 0
    .kernarg_segment_align: 8
    .kernarg_segment_size: 96
    .language:       OpenCL C
    .language_version:
      - 2
      - 0
    .max_flat_workgroup_size: 128
    .name:           _ZN9rocsparseL18bsrxmvn_4x4_kernelILj128ELj64EiiiaaiEEvT3_20rocsparse_direction_NS_24const_host_device_scalarIT1_EES1_PKS1_PKT2_SA_S7_PKT4_PKT5_S5_PT6_21rocsparse_index_base_b
    .private_segment_fixed_size: 0
    .sgpr_count:     31
    .sgpr_spill_count: 0
    .symbol:         _ZN9rocsparseL18bsrxmvn_4x4_kernelILj128ELj64EiiiaaiEEvT3_20rocsparse_direction_NS_24const_host_device_scalarIT1_EES1_PKS1_PKT2_SA_S7_PKT4_PKT5_S5_PT6_21rocsparse_index_base_b.kd
    .uniform_work_group_size: 1
    .uses_dynamic_stack: false
    .vgpr_count:     50
    .vgpr_spill_count: 0
    .wavefront_size: 64
  - .args:
      - .offset:         0
        .size:           4
        .value_kind:     by_value
      - .offset:         4
        .size:           4
        .value_kind:     by_value
      - .offset:         8
        .size:           8
        .value_kind:     by_value
      - .offset:         16
        .size:           4
        .value_kind:     by_value
      - .actual_access:  read_only
        .address_space:  global
        .offset:         24
        .size:           8
        .value_kind:     global_buffer
      - .actual_access:  read_only
        .address_space:  global
        .offset:         32
        .size:           8
        .value_kind:     global_buffer
      - .actual_access:  read_only
        .address_space:  global
        .offset:         40
        .size:           8
        .value_kind:     global_buffer
      - .actual_access:  read_only
        .address_space:  global
        .offset:         48
        .size:           8
        .value_kind:     global_buffer
      - .actual_access:  read_only
        .address_space:  global
        .offset:         56
        .size:           8
        .value_kind:     global_buffer
      - .actual_access:  read_only
        .address_space:  global
        .offset:         64
        .size:           8
        .value_kind:     global_buffer
      - .offset:         72
        .size:           8
        .value_kind:     by_value
      - .address_space:  global
        .offset:         80
        .size:           8
        .value_kind:     global_buffer
      - .offset:         88
        .size:           4
        .value_kind:     by_value
      - .offset:         92
        .size:           1
        .value_kind:     by_value
    .group_segment_fixed_size: 0
    .kernarg_segment_align: 8
    .kernarg_segment_size: 96
    .language:       OpenCL C
    .language_version:
      - 2
      - 0
    .max_flat_workgroup_size: 128
    .name:           _ZN9rocsparseL18bsrxmvn_4x4_kernelILj128ELj4EiliaaiEEvT3_20rocsparse_direction_NS_24const_host_device_scalarIT1_EES1_PKS1_PKT2_SA_S7_PKT4_PKT5_S5_PT6_21rocsparse_index_base_b
    .private_segment_fixed_size: 0
    .sgpr_count:     46
    .sgpr_spill_count: 0
    .symbol:         _ZN9rocsparseL18bsrxmvn_4x4_kernelILj128ELj4EiliaaiEEvT3_20rocsparse_direction_NS_24const_host_device_scalarIT1_EES1_PKS1_PKT2_SA_S7_PKT4_PKT5_S5_PT6_21rocsparse_index_base_b.kd
    .uniform_work_group_size: 1
    .uses_dynamic_stack: false
    .vgpr_count:     56
    .vgpr_spill_count: 0
    .wavefront_size: 64
  - .args:
      - .offset:         0
        .size:           4
        .value_kind:     by_value
      - .offset:         4
        .size:           4
        .value_kind:     by_value
      - .offset:         8
        .size:           8
        .value_kind:     by_value
      - .offset:         16
        .size:           4
        .value_kind:     by_value
      - .actual_access:  read_only
        .address_space:  global
        .offset:         24
        .size:           8
        .value_kind:     global_buffer
      - .actual_access:  read_only
        .address_space:  global
        .offset:         32
        .size:           8
        .value_kind:     global_buffer
      - .actual_access:  read_only
        .address_space:  global
        .offset:         40
        .size:           8
        .value_kind:     global_buffer
      - .actual_access:  read_only
        .address_space:  global
        .offset:         48
        .size:           8
        .value_kind:     global_buffer
      - .actual_access:  read_only
        .address_space:  global
        .offset:         56
        .size:           8
        .value_kind:     global_buffer
      - .actual_access:  read_only
        .address_space:  global
        .offset:         64
        .size:           8
        .value_kind:     global_buffer
      - .offset:         72
        .size:           8
        .value_kind:     by_value
      - .address_space:  global
        .offset:         80
        .size:           8
        .value_kind:     global_buffer
      - .offset:         88
        .size:           4
        .value_kind:     by_value
      - .offset:         92
        .size:           1
        .value_kind:     by_value
    .group_segment_fixed_size: 0
    .kernarg_segment_align: 8
    .kernarg_segment_size: 96
    .language:       OpenCL C
    .language_version:
      - 2
      - 0
    .max_flat_workgroup_size: 128
    .name:           _ZN9rocsparseL18bsrxmvn_4x4_kernelILj128ELj8EiliaaiEEvT3_20rocsparse_direction_NS_24const_host_device_scalarIT1_EES1_PKS1_PKT2_SA_S7_PKT4_PKT5_S5_PT6_21rocsparse_index_base_b
    .private_segment_fixed_size: 0
    .sgpr_count:     46
    .sgpr_spill_count: 0
    .symbol:         _ZN9rocsparseL18bsrxmvn_4x4_kernelILj128ELj8EiliaaiEEvT3_20rocsparse_direction_NS_24const_host_device_scalarIT1_EES1_PKS1_PKT2_SA_S7_PKT4_PKT5_S5_PT6_21rocsparse_index_base_b.kd
    .uniform_work_group_size: 1
    .uses_dynamic_stack: false
    .vgpr_count:     56
    .vgpr_spill_count: 0
    .wavefront_size: 64
  - .args:
      - .offset:         0
        .size:           4
        .value_kind:     by_value
      - .offset:         4
        .size:           4
        .value_kind:     by_value
      - .offset:         8
        .size:           8
        .value_kind:     by_value
      - .offset:         16
        .size:           4
        .value_kind:     by_value
      - .actual_access:  read_only
        .address_space:  global
        .offset:         24
        .size:           8
        .value_kind:     global_buffer
      - .actual_access:  read_only
        .address_space:  global
        .offset:         32
        .size:           8
        .value_kind:     global_buffer
      - .actual_access:  read_only
        .address_space:  global
        .offset:         40
        .size:           8
        .value_kind:     global_buffer
      - .actual_access:  read_only
        .address_space:  global
        .offset:         48
        .size:           8
        .value_kind:     global_buffer
      - .actual_access:  read_only
        .address_space:  global
        .offset:         56
        .size:           8
        .value_kind:     global_buffer
      - .actual_access:  read_only
        .address_space:  global
        .offset:         64
        .size:           8
        .value_kind:     global_buffer
      - .offset:         72
        .size:           8
        .value_kind:     by_value
      - .address_space:  global
        .offset:         80
        .size:           8
        .value_kind:     global_buffer
      - .offset:         88
        .size:           4
        .value_kind:     by_value
      - .offset:         92
        .size:           1
        .value_kind:     by_value
    .group_segment_fixed_size: 0
    .kernarg_segment_align: 8
    .kernarg_segment_size: 96
    .language:       OpenCL C
    .language_version:
      - 2
      - 0
    .max_flat_workgroup_size: 128
    .name:           _ZN9rocsparseL18bsrxmvn_4x4_kernelILj128ELj16EiliaaiEEvT3_20rocsparse_direction_NS_24const_host_device_scalarIT1_EES1_PKS1_PKT2_SA_S7_PKT4_PKT5_S5_PT6_21rocsparse_index_base_b
    .private_segment_fixed_size: 0
    .sgpr_count:     46
    .sgpr_spill_count: 0
    .symbol:         _ZN9rocsparseL18bsrxmvn_4x4_kernelILj128ELj16EiliaaiEEvT3_20rocsparse_direction_NS_24const_host_device_scalarIT1_EES1_PKS1_PKT2_SA_S7_PKT4_PKT5_S5_PT6_21rocsparse_index_base_b.kd
    .uniform_work_group_size: 1
    .uses_dynamic_stack: false
    .vgpr_count:     56
    .vgpr_spill_count: 0
    .wavefront_size: 64
  - .args:
      - .offset:         0
        .size:           4
        .value_kind:     by_value
      - .offset:         4
        .size:           4
        .value_kind:     by_value
      - .offset:         8
        .size:           8
        .value_kind:     by_value
      - .offset:         16
        .size:           4
        .value_kind:     by_value
      - .actual_access:  read_only
        .address_space:  global
        .offset:         24
        .size:           8
        .value_kind:     global_buffer
      - .actual_access:  read_only
        .address_space:  global
        .offset:         32
        .size:           8
        .value_kind:     global_buffer
      - .actual_access:  read_only
        .address_space:  global
        .offset:         40
        .size:           8
        .value_kind:     global_buffer
      - .actual_access:  read_only
        .address_space:  global
        .offset:         48
        .size:           8
        .value_kind:     global_buffer
      - .actual_access:  read_only
        .address_space:  global
        .offset:         56
        .size:           8
        .value_kind:     global_buffer
      - .actual_access:  read_only
        .address_space:  global
        .offset:         64
        .size:           8
        .value_kind:     global_buffer
      - .offset:         72
        .size:           8
        .value_kind:     by_value
      - .address_space:  global
        .offset:         80
        .size:           8
        .value_kind:     global_buffer
      - .offset:         88
        .size:           4
        .value_kind:     by_value
      - .offset:         92
        .size:           1
        .value_kind:     by_value
    .group_segment_fixed_size: 0
    .kernarg_segment_align: 8
    .kernarg_segment_size: 96
    .language:       OpenCL C
    .language_version:
      - 2
      - 0
    .max_flat_workgroup_size: 128
    .name:           _ZN9rocsparseL18bsrxmvn_4x4_kernelILj128ELj32EiliaaiEEvT3_20rocsparse_direction_NS_24const_host_device_scalarIT1_EES1_PKS1_PKT2_SA_S7_PKT4_PKT5_S5_PT6_21rocsparse_index_base_b
    .private_segment_fixed_size: 0
    .sgpr_count:     47
    .sgpr_spill_count: 0
    .symbol:         _ZN9rocsparseL18bsrxmvn_4x4_kernelILj128ELj32EiliaaiEEvT3_20rocsparse_direction_NS_24const_host_device_scalarIT1_EES1_PKS1_PKT2_SA_S7_PKT4_PKT5_S5_PT6_21rocsparse_index_base_b.kd
    .uniform_work_group_size: 1
    .uses_dynamic_stack: false
    .vgpr_count:     56
    .vgpr_spill_count: 0
    .wavefront_size: 64
  - .args:
      - .offset:         0
        .size:           4
        .value_kind:     by_value
      - .offset:         4
        .size:           4
        .value_kind:     by_value
      - .offset:         8
        .size:           8
        .value_kind:     by_value
      - .offset:         16
        .size:           4
        .value_kind:     by_value
      - .actual_access:  read_only
        .address_space:  global
        .offset:         24
        .size:           8
        .value_kind:     global_buffer
      - .actual_access:  read_only
        .address_space:  global
        .offset:         32
        .size:           8
        .value_kind:     global_buffer
      - .actual_access:  read_only
        .address_space:  global
        .offset:         40
        .size:           8
        .value_kind:     global_buffer
      - .actual_access:  read_only
        .address_space:  global
        .offset:         48
        .size:           8
        .value_kind:     global_buffer
      - .actual_access:  read_only
        .address_space:  global
        .offset:         56
        .size:           8
        .value_kind:     global_buffer
      - .actual_access:  read_only
        .address_space:  global
        .offset:         64
        .size:           8
        .value_kind:     global_buffer
      - .offset:         72
        .size:           8
        .value_kind:     by_value
      - .address_space:  global
        .offset:         80
        .size:           8
        .value_kind:     global_buffer
      - .offset:         88
        .size:           4
        .value_kind:     by_value
      - .offset:         92
        .size:           1
        .value_kind:     by_value
    .group_segment_fixed_size: 0
    .kernarg_segment_align: 8
    .kernarg_segment_size: 96
    .language:       OpenCL C
    .language_version:
      - 2
      - 0
    .max_flat_workgroup_size: 128
    .name:           _ZN9rocsparseL18bsrxmvn_4x4_kernelILj128ELj64EiliaaiEEvT3_20rocsparse_direction_NS_24const_host_device_scalarIT1_EES1_PKS1_PKT2_SA_S7_PKT4_PKT5_S5_PT6_21rocsparse_index_base_b
    .private_segment_fixed_size: 0
    .sgpr_count:     47
    .sgpr_spill_count: 0
    .symbol:         _ZN9rocsparseL18bsrxmvn_4x4_kernelILj128ELj64EiliaaiEEvT3_20rocsparse_direction_NS_24const_host_device_scalarIT1_EES1_PKS1_PKT2_SA_S7_PKT4_PKT5_S5_PT6_21rocsparse_index_base_b.kd
    .uniform_work_group_size: 1
    .uses_dynamic_stack: false
    .vgpr_count:     56
    .vgpr_spill_count: 0
    .wavefront_size: 64
  - .args:
      - .offset:         0
        .size:           8
        .value_kind:     by_value
      - .offset:         8
        .size:           4
        .value_kind:     by_value
      - .offset:         16
        .size:           8
        .value_kind:     by_value
      - .offset:         24
        .size:           8
        .value_kind:     by_value
      - .actual_access:  read_only
        .address_space:  global
        .offset:         32
        .size:           8
        .value_kind:     global_buffer
      - .actual_access:  read_only
        .address_space:  global
        .offset:         40
        .size:           8
        .value_kind:     global_buffer
      - .actual_access:  read_only
        .address_space:  global
        .offset:         48
        .size:           8
        .value_kind:     global_buffer
      - .actual_access:  read_only
        .address_space:  global
        .offset:         56
        .size:           8
        .value_kind:     global_buffer
      - .actual_access:  read_only
        .address_space:  global
        .offset:         64
        .size:           8
        .value_kind:     global_buffer
      - .actual_access:  read_only
        .address_space:  global
        .offset:         72
        .size:           8
        .value_kind:     global_buffer
      - .offset:         80
        .size:           8
        .value_kind:     by_value
      - .address_space:  global
        .offset:         88
        .size:           8
        .value_kind:     global_buffer
      - .offset:         96
        .size:           4
        .value_kind:     by_value
      - .offset:         100
        .size:           1
        .value_kind:     by_value
    .group_segment_fixed_size: 0
    .kernarg_segment_align: 8
    .kernarg_segment_size: 104
    .language:       OpenCL C
    .language_version:
      - 2
      - 0
    .max_flat_workgroup_size: 128
    .name:           _ZN9rocsparseL18bsrxmvn_4x4_kernelILj128ELj4EillaaiEEvT3_20rocsparse_direction_NS_24const_host_device_scalarIT1_EES1_PKS1_PKT2_SA_S7_PKT4_PKT5_S5_PT6_21rocsparse_index_base_b
    .private_segment_fixed_size: 0
    .sgpr_count:     41
    .sgpr_spill_count: 0
    .symbol:         _ZN9rocsparseL18bsrxmvn_4x4_kernelILj128ELj4EillaaiEEvT3_20rocsparse_direction_NS_24const_host_device_scalarIT1_EES1_PKS1_PKT2_SA_S7_PKT4_PKT5_S5_PT6_21rocsparse_index_base_b.kd
    .uniform_work_group_size: 1
    .uses_dynamic_stack: false
    .vgpr_count:     59
    .vgpr_spill_count: 0
    .wavefront_size: 64
  - .args:
      - .offset:         0
        .size:           8
        .value_kind:     by_value
      - .offset:         8
        .size:           4
        .value_kind:     by_value
      - .offset:         16
        .size:           8
        .value_kind:     by_value
      - .offset:         24
        .size:           8
        .value_kind:     by_value
      - .actual_access:  read_only
        .address_space:  global
        .offset:         32
        .size:           8
        .value_kind:     global_buffer
      - .actual_access:  read_only
        .address_space:  global
        .offset:         40
        .size:           8
        .value_kind:     global_buffer
      - .actual_access:  read_only
        .address_space:  global
        .offset:         48
        .size:           8
        .value_kind:     global_buffer
      - .actual_access:  read_only
        .address_space:  global
        .offset:         56
        .size:           8
        .value_kind:     global_buffer
      - .actual_access:  read_only
        .address_space:  global
        .offset:         64
        .size:           8
        .value_kind:     global_buffer
      - .actual_access:  read_only
        .address_space:  global
        .offset:         72
        .size:           8
        .value_kind:     global_buffer
      - .offset:         80
        .size:           8
        .value_kind:     by_value
      - .address_space:  global
        .offset:         88
        .size:           8
        .value_kind:     global_buffer
      - .offset:         96
        .size:           4
        .value_kind:     by_value
      - .offset:         100
        .size:           1
        .value_kind:     by_value
    .group_segment_fixed_size: 0
    .kernarg_segment_align: 8
    .kernarg_segment_size: 104
    .language:       OpenCL C
    .language_version:
      - 2
      - 0
    .max_flat_workgroup_size: 128
    .name:           _ZN9rocsparseL18bsrxmvn_4x4_kernelILj128ELj8EillaaiEEvT3_20rocsparse_direction_NS_24const_host_device_scalarIT1_EES1_PKS1_PKT2_SA_S7_PKT4_PKT5_S5_PT6_21rocsparse_index_base_b
    .private_segment_fixed_size: 0
    .sgpr_count:     41
    .sgpr_spill_count: 0
    .symbol:         _ZN9rocsparseL18bsrxmvn_4x4_kernelILj128ELj8EillaaiEEvT3_20rocsparse_direction_NS_24const_host_device_scalarIT1_EES1_PKS1_PKT2_SA_S7_PKT4_PKT5_S5_PT6_21rocsparse_index_base_b.kd
    .uniform_work_group_size: 1
    .uses_dynamic_stack: false
    .vgpr_count:     59
    .vgpr_spill_count: 0
    .wavefront_size: 64
  - .args:
      - .offset:         0
        .size:           8
        .value_kind:     by_value
      - .offset:         8
        .size:           4
        .value_kind:     by_value
      - .offset:         16
        .size:           8
        .value_kind:     by_value
      - .offset:         24
        .size:           8
        .value_kind:     by_value
      - .actual_access:  read_only
        .address_space:  global
        .offset:         32
        .size:           8
        .value_kind:     global_buffer
      - .actual_access:  read_only
        .address_space:  global
        .offset:         40
        .size:           8
        .value_kind:     global_buffer
      - .actual_access:  read_only
        .address_space:  global
        .offset:         48
        .size:           8
        .value_kind:     global_buffer
      - .actual_access:  read_only
        .address_space:  global
        .offset:         56
        .size:           8
        .value_kind:     global_buffer
      - .actual_access:  read_only
        .address_space:  global
        .offset:         64
        .size:           8
        .value_kind:     global_buffer
      - .actual_access:  read_only
        .address_space:  global
        .offset:         72
        .size:           8
        .value_kind:     global_buffer
      - .offset:         80
        .size:           8
        .value_kind:     by_value
      - .address_space:  global
        .offset:         88
        .size:           8
        .value_kind:     global_buffer
      - .offset:         96
        .size:           4
        .value_kind:     by_value
      - .offset:         100
        .size:           1
        .value_kind:     by_value
    .group_segment_fixed_size: 0
    .kernarg_segment_align: 8
    .kernarg_segment_size: 104
    .language:       OpenCL C
    .language_version:
      - 2
      - 0
    .max_flat_workgroup_size: 128
    .name:           _ZN9rocsparseL18bsrxmvn_4x4_kernelILj128ELj16EillaaiEEvT3_20rocsparse_direction_NS_24const_host_device_scalarIT1_EES1_PKS1_PKT2_SA_S7_PKT4_PKT5_S5_PT6_21rocsparse_index_base_b
    .private_segment_fixed_size: 0
    .sgpr_count:     41
    .sgpr_spill_count: 0
    .symbol:         _ZN9rocsparseL18bsrxmvn_4x4_kernelILj128ELj16EillaaiEEvT3_20rocsparse_direction_NS_24const_host_device_scalarIT1_EES1_PKS1_PKT2_SA_S7_PKT4_PKT5_S5_PT6_21rocsparse_index_base_b.kd
    .uniform_work_group_size: 1
    .uses_dynamic_stack: false
    .vgpr_count:     59
    .vgpr_spill_count: 0
    .wavefront_size: 64
  - .args:
      - .offset:         0
        .size:           8
        .value_kind:     by_value
      - .offset:         8
        .size:           4
        .value_kind:     by_value
      - .offset:         16
        .size:           8
        .value_kind:     by_value
      - .offset:         24
        .size:           8
        .value_kind:     by_value
      - .actual_access:  read_only
        .address_space:  global
        .offset:         32
        .size:           8
        .value_kind:     global_buffer
      - .actual_access:  read_only
        .address_space:  global
        .offset:         40
        .size:           8
        .value_kind:     global_buffer
      - .actual_access:  read_only
        .address_space:  global
        .offset:         48
        .size:           8
        .value_kind:     global_buffer
      - .actual_access:  read_only
        .address_space:  global
        .offset:         56
        .size:           8
        .value_kind:     global_buffer
      - .actual_access:  read_only
        .address_space:  global
        .offset:         64
        .size:           8
        .value_kind:     global_buffer
      - .actual_access:  read_only
        .address_space:  global
        .offset:         72
        .size:           8
        .value_kind:     global_buffer
      - .offset:         80
        .size:           8
        .value_kind:     by_value
      - .address_space:  global
        .offset:         88
        .size:           8
        .value_kind:     global_buffer
      - .offset:         96
        .size:           4
        .value_kind:     by_value
      - .offset:         100
        .size:           1
        .value_kind:     by_value
    .group_segment_fixed_size: 0
    .kernarg_segment_align: 8
    .kernarg_segment_size: 104
    .language:       OpenCL C
    .language_version:
      - 2
      - 0
    .max_flat_workgroup_size: 128
    .name:           _ZN9rocsparseL18bsrxmvn_4x4_kernelILj128ELj32EillaaiEEvT3_20rocsparse_direction_NS_24const_host_device_scalarIT1_EES1_PKS1_PKT2_SA_S7_PKT4_PKT5_S5_PT6_21rocsparse_index_base_b
    .private_segment_fixed_size: 0
    .sgpr_count:     44
    .sgpr_spill_count: 0
    .symbol:         _ZN9rocsparseL18bsrxmvn_4x4_kernelILj128ELj32EillaaiEEvT3_20rocsparse_direction_NS_24const_host_device_scalarIT1_EES1_PKS1_PKT2_SA_S7_PKT4_PKT5_S5_PT6_21rocsparse_index_base_b.kd
    .uniform_work_group_size: 1
    .uses_dynamic_stack: false
    .vgpr_count:     59
    .vgpr_spill_count: 0
    .wavefront_size: 64
  - .args:
      - .offset:         0
        .size:           8
        .value_kind:     by_value
      - .offset:         8
        .size:           4
        .value_kind:     by_value
      - .offset:         16
        .size:           8
        .value_kind:     by_value
      - .offset:         24
        .size:           8
        .value_kind:     by_value
      - .actual_access:  read_only
        .address_space:  global
        .offset:         32
        .size:           8
        .value_kind:     global_buffer
      - .actual_access:  read_only
        .address_space:  global
        .offset:         40
        .size:           8
        .value_kind:     global_buffer
      - .actual_access:  read_only
        .address_space:  global
        .offset:         48
        .size:           8
        .value_kind:     global_buffer
      - .actual_access:  read_only
        .address_space:  global
        .offset:         56
        .size:           8
        .value_kind:     global_buffer
      - .actual_access:  read_only
        .address_space:  global
        .offset:         64
        .size:           8
        .value_kind:     global_buffer
      - .actual_access:  read_only
        .address_space:  global
        .offset:         72
        .size:           8
        .value_kind:     global_buffer
      - .offset:         80
        .size:           8
        .value_kind:     by_value
      - .address_space:  global
        .offset:         88
        .size:           8
        .value_kind:     global_buffer
      - .offset:         96
        .size:           4
        .value_kind:     by_value
      - .offset:         100
        .size:           1
        .value_kind:     by_value
    .group_segment_fixed_size: 0
    .kernarg_segment_align: 8
    .kernarg_segment_size: 104
    .language:       OpenCL C
    .language_version:
      - 2
      - 0
    .max_flat_workgroup_size: 128
    .name:           _ZN9rocsparseL18bsrxmvn_4x4_kernelILj128ELj64EillaaiEEvT3_20rocsparse_direction_NS_24const_host_device_scalarIT1_EES1_PKS1_PKT2_SA_S7_PKT4_PKT5_S5_PT6_21rocsparse_index_base_b
    .private_segment_fixed_size: 0
    .sgpr_count:     44
    .sgpr_spill_count: 0
    .symbol:         _ZN9rocsparseL18bsrxmvn_4x4_kernelILj128ELj64EillaaiEEvT3_20rocsparse_direction_NS_24const_host_device_scalarIT1_EES1_PKS1_PKT2_SA_S7_PKT4_PKT5_S5_PT6_21rocsparse_index_base_b.kd
    .uniform_work_group_size: 1
    .uses_dynamic_stack: false
    .vgpr_count:     59
    .vgpr_spill_count: 0
    .wavefront_size: 64
  - .args:
      - .offset:         0
        .size:           4
        .value_kind:     by_value
      - .offset:         4
        .size:           4
        .value_kind:     by_value
      - .offset:         8
        .size:           8
        .value_kind:     by_value
      - .offset:         16
        .size:           4
        .value_kind:     by_value
      - .actual_access:  read_only
        .address_space:  global
        .offset:         24
        .size:           8
        .value_kind:     global_buffer
      - .actual_access:  read_only
        .address_space:  global
        .offset:         32
        .size:           8
        .value_kind:     global_buffer
      - .actual_access:  read_only
        .address_space:  global
        .offset:         40
        .size:           8
        .value_kind:     global_buffer
      - .actual_access:  read_only
        .address_space:  global
        .offset:         48
        .size:           8
        .value_kind:     global_buffer
      - .actual_access:  read_only
        .address_space:  global
        .offset:         56
        .size:           8
        .value_kind:     global_buffer
      - .actual_access:  read_only
        .address_space:  global
        .offset:         64
        .size:           8
        .value_kind:     global_buffer
      - .offset:         72
        .size:           8
        .value_kind:     by_value
      - .address_space:  global
        .offset:         80
        .size:           8
        .value_kind:     global_buffer
      - .offset:         88
        .size:           4
        .value_kind:     by_value
      - .offset:         92
        .size:           1
        .value_kind:     by_value
    .group_segment_fixed_size: 0
    .kernarg_segment_align: 8
    .kernarg_segment_size: 96
    .language:       OpenCL C
    .language_version:
      - 2
      - 0
    .max_flat_workgroup_size: 128
    .name:           _ZN9rocsparseL18bsrxmvn_4x4_kernelILj128ELj4EfiiaafEEvT3_20rocsparse_direction_NS_24const_host_device_scalarIT1_EES1_PKS1_PKT2_SA_S7_PKT4_PKT5_S5_PT6_21rocsparse_index_base_b
    .private_segment_fixed_size: 0
    .sgpr_count:     26
    .sgpr_spill_count: 0
    .symbol:         _ZN9rocsparseL18bsrxmvn_4x4_kernelILj128ELj4EfiiaafEEvT3_20rocsparse_direction_NS_24const_host_device_scalarIT1_EES1_PKS1_PKT2_SA_S7_PKT4_PKT5_S5_PT6_21rocsparse_index_base_b.kd
    .uniform_work_group_size: 1
    .uses_dynamic_stack: false
    .vgpr_count:     38
    .vgpr_spill_count: 0
    .wavefront_size: 64
  - .args:
      - .offset:         0
        .size:           4
        .value_kind:     by_value
      - .offset:         4
        .size:           4
        .value_kind:     by_value
      - .offset:         8
        .size:           8
        .value_kind:     by_value
      - .offset:         16
        .size:           4
        .value_kind:     by_value
      - .actual_access:  read_only
        .address_space:  global
        .offset:         24
        .size:           8
        .value_kind:     global_buffer
      - .actual_access:  read_only
        .address_space:  global
        .offset:         32
        .size:           8
        .value_kind:     global_buffer
      - .actual_access:  read_only
        .address_space:  global
        .offset:         40
        .size:           8
        .value_kind:     global_buffer
      - .actual_access:  read_only
        .address_space:  global
        .offset:         48
        .size:           8
        .value_kind:     global_buffer
      - .actual_access:  read_only
        .address_space:  global
        .offset:         56
        .size:           8
        .value_kind:     global_buffer
      - .actual_access:  read_only
        .address_space:  global
        .offset:         64
        .size:           8
        .value_kind:     global_buffer
      - .offset:         72
        .size:           8
        .value_kind:     by_value
      - .address_space:  global
        .offset:         80
        .size:           8
        .value_kind:     global_buffer
      - .offset:         88
        .size:           4
        .value_kind:     by_value
      - .offset:         92
        .size:           1
        .value_kind:     by_value
    .group_segment_fixed_size: 0
    .kernarg_segment_align: 8
    .kernarg_segment_size: 96
    .language:       OpenCL C
    .language_version:
      - 2
      - 0
    .max_flat_workgroup_size: 128
    .name:           _ZN9rocsparseL18bsrxmvn_4x4_kernelILj128ELj8EfiiaafEEvT3_20rocsparse_direction_NS_24const_host_device_scalarIT1_EES1_PKS1_PKT2_SA_S7_PKT4_PKT5_S5_PT6_21rocsparse_index_base_b
    .private_segment_fixed_size: 0
    .sgpr_count:     26
    .sgpr_spill_count: 0
    .symbol:         _ZN9rocsparseL18bsrxmvn_4x4_kernelILj128ELj8EfiiaafEEvT3_20rocsparse_direction_NS_24const_host_device_scalarIT1_EES1_PKS1_PKT2_SA_S7_PKT4_PKT5_S5_PT6_21rocsparse_index_base_b.kd
    .uniform_work_group_size: 1
    .uses_dynamic_stack: false
    .vgpr_count:     38
    .vgpr_spill_count: 0
    .wavefront_size: 64
  - .args:
      - .offset:         0
        .size:           4
        .value_kind:     by_value
      - .offset:         4
        .size:           4
        .value_kind:     by_value
      - .offset:         8
        .size:           8
        .value_kind:     by_value
      - .offset:         16
        .size:           4
        .value_kind:     by_value
      - .actual_access:  read_only
        .address_space:  global
        .offset:         24
        .size:           8
        .value_kind:     global_buffer
      - .actual_access:  read_only
        .address_space:  global
        .offset:         32
        .size:           8
        .value_kind:     global_buffer
      - .actual_access:  read_only
        .address_space:  global
        .offset:         40
        .size:           8
        .value_kind:     global_buffer
      - .actual_access:  read_only
        .address_space:  global
        .offset:         48
        .size:           8
        .value_kind:     global_buffer
      - .actual_access:  read_only
        .address_space:  global
        .offset:         56
        .size:           8
        .value_kind:     global_buffer
      - .actual_access:  read_only
        .address_space:  global
        .offset:         64
        .size:           8
        .value_kind:     global_buffer
      - .offset:         72
        .size:           8
        .value_kind:     by_value
      - .address_space:  global
        .offset:         80
        .size:           8
        .value_kind:     global_buffer
      - .offset:         88
        .size:           4
        .value_kind:     by_value
      - .offset:         92
        .size:           1
        .value_kind:     by_value
    .group_segment_fixed_size: 0
    .kernarg_segment_align: 8
    .kernarg_segment_size: 96
    .language:       OpenCL C
    .language_version:
      - 2
      - 0
    .max_flat_workgroup_size: 128
    .name:           _ZN9rocsparseL18bsrxmvn_4x4_kernelILj128ELj16EfiiaafEEvT3_20rocsparse_direction_NS_24const_host_device_scalarIT1_EES1_PKS1_PKT2_SA_S7_PKT4_PKT5_S5_PT6_21rocsparse_index_base_b
    .private_segment_fixed_size: 0
    .sgpr_count:     26
    .sgpr_spill_count: 0
    .symbol:         _ZN9rocsparseL18bsrxmvn_4x4_kernelILj128ELj16EfiiaafEEvT3_20rocsparse_direction_NS_24const_host_device_scalarIT1_EES1_PKS1_PKT2_SA_S7_PKT4_PKT5_S5_PT6_21rocsparse_index_base_b.kd
    .uniform_work_group_size: 1
    .uses_dynamic_stack: false
    .vgpr_count:     38
    .vgpr_spill_count: 0
    .wavefront_size: 64
  - .args:
      - .offset:         0
        .size:           4
        .value_kind:     by_value
      - .offset:         4
        .size:           4
        .value_kind:     by_value
      - .offset:         8
        .size:           8
        .value_kind:     by_value
      - .offset:         16
        .size:           4
        .value_kind:     by_value
      - .actual_access:  read_only
        .address_space:  global
        .offset:         24
        .size:           8
        .value_kind:     global_buffer
      - .actual_access:  read_only
        .address_space:  global
        .offset:         32
        .size:           8
        .value_kind:     global_buffer
      - .actual_access:  read_only
        .address_space:  global
        .offset:         40
        .size:           8
        .value_kind:     global_buffer
      - .actual_access:  read_only
        .address_space:  global
        .offset:         48
        .size:           8
        .value_kind:     global_buffer
      - .actual_access:  read_only
        .address_space:  global
        .offset:         56
        .size:           8
        .value_kind:     global_buffer
      - .actual_access:  read_only
        .address_space:  global
        .offset:         64
        .size:           8
        .value_kind:     global_buffer
      - .offset:         72
        .size:           8
        .value_kind:     by_value
      - .address_space:  global
        .offset:         80
        .size:           8
        .value_kind:     global_buffer
      - .offset:         88
        .size:           4
        .value_kind:     by_value
      - .offset:         92
        .size:           1
        .value_kind:     by_value
    .group_segment_fixed_size: 0
    .kernarg_segment_align: 8
    .kernarg_segment_size: 96
    .language:       OpenCL C
    .language_version:
      - 2
      - 0
    .max_flat_workgroup_size: 128
    .name:           _ZN9rocsparseL18bsrxmvn_4x4_kernelILj128ELj32EfiiaafEEvT3_20rocsparse_direction_NS_24const_host_device_scalarIT1_EES1_PKS1_PKT2_SA_S7_PKT4_PKT5_S5_PT6_21rocsparse_index_base_b
    .private_segment_fixed_size: 0
    .sgpr_count:     26
    .sgpr_spill_count: 0
    .symbol:         _ZN9rocsparseL18bsrxmvn_4x4_kernelILj128ELj32EfiiaafEEvT3_20rocsparse_direction_NS_24const_host_device_scalarIT1_EES1_PKS1_PKT2_SA_S7_PKT4_PKT5_S5_PT6_21rocsparse_index_base_b.kd
    .uniform_work_group_size: 1
    .uses_dynamic_stack: false
    .vgpr_count:     38
    .vgpr_spill_count: 0
    .wavefront_size: 64
  - .args:
      - .offset:         0
        .size:           4
        .value_kind:     by_value
      - .offset:         4
        .size:           4
        .value_kind:     by_value
      - .offset:         8
        .size:           8
        .value_kind:     by_value
      - .offset:         16
        .size:           4
        .value_kind:     by_value
      - .actual_access:  read_only
        .address_space:  global
        .offset:         24
        .size:           8
        .value_kind:     global_buffer
      - .actual_access:  read_only
        .address_space:  global
        .offset:         32
        .size:           8
        .value_kind:     global_buffer
      - .actual_access:  read_only
        .address_space:  global
        .offset:         40
        .size:           8
        .value_kind:     global_buffer
      - .actual_access:  read_only
        .address_space:  global
        .offset:         48
        .size:           8
        .value_kind:     global_buffer
      - .actual_access:  read_only
        .address_space:  global
        .offset:         56
        .size:           8
        .value_kind:     global_buffer
      - .actual_access:  read_only
        .address_space:  global
        .offset:         64
        .size:           8
        .value_kind:     global_buffer
      - .offset:         72
        .size:           8
        .value_kind:     by_value
      - .address_space:  global
        .offset:         80
        .size:           8
        .value_kind:     global_buffer
      - .offset:         88
        .size:           4
        .value_kind:     by_value
      - .offset:         92
        .size:           1
        .value_kind:     by_value
    .group_segment_fixed_size: 0
    .kernarg_segment_align: 8
    .kernarg_segment_size: 96
    .language:       OpenCL C
    .language_version:
      - 2
      - 0
    .max_flat_workgroup_size: 128
    .name:           _ZN9rocsparseL18bsrxmvn_4x4_kernelILj128ELj64EfiiaafEEvT3_20rocsparse_direction_NS_24const_host_device_scalarIT1_EES1_PKS1_PKT2_SA_S7_PKT4_PKT5_S5_PT6_21rocsparse_index_base_b
    .private_segment_fixed_size: 0
    .sgpr_count:     26
    .sgpr_spill_count: 0
    .symbol:         _ZN9rocsparseL18bsrxmvn_4x4_kernelILj128ELj64EfiiaafEEvT3_20rocsparse_direction_NS_24const_host_device_scalarIT1_EES1_PKS1_PKT2_SA_S7_PKT4_PKT5_S5_PT6_21rocsparse_index_base_b.kd
    .uniform_work_group_size: 1
    .uses_dynamic_stack: false
    .vgpr_count:     38
    .vgpr_spill_count: 0
    .wavefront_size: 64
  - .args:
      - .offset:         0
        .size:           4
        .value_kind:     by_value
      - .offset:         4
        .size:           4
        .value_kind:     by_value
      - .offset:         8
        .size:           8
        .value_kind:     by_value
      - .offset:         16
        .size:           4
        .value_kind:     by_value
      - .actual_access:  read_only
        .address_space:  global
        .offset:         24
        .size:           8
        .value_kind:     global_buffer
      - .actual_access:  read_only
        .address_space:  global
        .offset:         32
        .size:           8
        .value_kind:     global_buffer
      - .actual_access:  read_only
        .address_space:  global
        .offset:         40
        .size:           8
        .value_kind:     global_buffer
      - .actual_access:  read_only
        .address_space:  global
        .offset:         48
        .size:           8
        .value_kind:     global_buffer
      - .actual_access:  read_only
        .address_space:  global
        .offset:         56
        .size:           8
        .value_kind:     global_buffer
      - .actual_access:  read_only
        .address_space:  global
        .offset:         64
        .size:           8
        .value_kind:     global_buffer
      - .offset:         72
        .size:           8
        .value_kind:     by_value
      - .address_space:  global
        .offset:         80
        .size:           8
        .value_kind:     global_buffer
      - .offset:         88
        .size:           4
        .value_kind:     by_value
      - .offset:         92
        .size:           1
        .value_kind:     by_value
    .group_segment_fixed_size: 0
    .kernarg_segment_align: 8
    .kernarg_segment_size: 96
    .language:       OpenCL C
    .language_version:
      - 2
      - 0
    .max_flat_workgroup_size: 128
    .name:           _ZN9rocsparseL18bsrxmvn_4x4_kernelILj128ELj4EfliaafEEvT3_20rocsparse_direction_NS_24const_host_device_scalarIT1_EES1_PKS1_PKT2_SA_S7_PKT4_PKT5_S5_PT6_21rocsparse_index_base_b
    .private_segment_fixed_size: 0
    .sgpr_count:     26
    .sgpr_spill_count: 0
    .symbol:         _ZN9rocsparseL18bsrxmvn_4x4_kernelILj128ELj4EfliaafEEvT3_20rocsparse_direction_NS_24const_host_device_scalarIT1_EES1_PKS1_PKT2_SA_S7_PKT4_PKT5_S5_PT6_21rocsparse_index_base_b.kd
    .uniform_work_group_size: 1
    .uses_dynamic_stack: false
    .vgpr_count:     45
    .vgpr_spill_count: 0
    .wavefront_size: 64
  - .args:
      - .offset:         0
        .size:           4
        .value_kind:     by_value
      - .offset:         4
        .size:           4
        .value_kind:     by_value
      - .offset:         8
        .size:           8
        .value_kind:     by_value
      - .offset:         16
        .size:           4
        .value_kind:     by_value
      - .actual_access:  read_only
        .address_space:  global
        .offset:         24
        .size:           8
        .value_kind:     global_buffer
      - .actual_access:  read_only
        .address_space:  global
        .offset:         32
        .size:           8
        .value_kind:     global_buffer
      - .actual_access:  read_only
        .address_space:  global
        .offset:         40
        .size:           8
        .value_kind:     global_buffer
      - .actual_access:  read_only
        .address_space:  global
        .offset:         48
        .size:           8
        .value_kind:     global_buffer
      - .actual_access:  read_only
        .address_space:  global
        .offset:         56
        .size:           8
        .value_kind:     global_buffer
      - .actual_access:  read_only
        .address_space:  global
        .offset:         64
        .size:           8
        .value_kind:     global_buffer
      - .offset:         72
        .size:           8
        .value_kind:     by_value
      - .address_space:  global
        .offset:         80
        .size:           8
        .value_kind:     global_buffer
      - .offset:         88
        .size:           4
        .value_kind:     by_value
      - .offset:         92
        .size:           1
        .value_kind:     by_value
    .group_segment_fixed_size: 0
    .kernarg_segment_align: 8
    .kernarg_segment_size: 96
    .language:       OpenCL C
    .language_version:
      - 2
      - 0
    .max_flat_workgroup_size: 128
    .name:           _ZN9rocsparseL18bsrxmvn_4x4_kernelILj128ELj8EfliaafEEvT3_20rocsparse_direction_NS_24const_host_device_scalarIT1_EES1_PKS1_PKT2_SA_S7_PKT4_PKT5_S5_PT6_21rocsparse_index_base_b
    .private_segment_fixed_size: 0
    .sgpr_count:     26
    .sgpr_spill_count: 0
    .symbol:         _ZN9rocsparseL18bsrxmvn_4x4_kernelILj128ELj8EfliaafEEvT3_20rocsparse_direction_NS_24const_host_device_scalarIT1_EES1_PKS1_PKT2_SA_S7_PKT4_PKT5_S5_PT6_21rocsparse_index_base_b.kd
    .uniform_work_group_size: 1
    .uses_dynamic_stack: false
    .vgpr_count:     45
    .vgpr_spill_count: 0
    .wavefront_size: 64
  - .args:
      - .offset:         0
        .size:           4
        .value_kind:     by_value
      - .offset:         4
        .size:           4
        .value_kind:     by_value
      - .offset:         8
        .size:           8
        .value_kind:     by_value
      - .offset:         16
        .size:           4
        .value_kind:     by_value
      - .actual_access:  read_only
        .address_space:  global
        .offset:         24
        .size:           8
        .value_kind:     global_buffer
      - .actual_access:  read_only
        .address_space:  global
        .offset:         32
        .size:           8
        .value_kind:     global_buffer
      - .actual_access:  read_only
        .address_space:  global
        .offset:         40
        .size:           8
        .value_kind:     global_buffer
      - .actual_access:  read_only
        .address_space:  global
        .offset:         48
        .size:           8
        .value_kind:     global_buffer
      - .actual_access:  read_only
        .address_space:  global
        .offset:         56
        .size:           8
        .value_kind:     global_buffer
      - .actual_access:  read_only
        .address_space:  global
        .offset:         64
        .size:           8
        .value_kind:     global_buffer
      - .offset:         72
        .size:           8
        .value_kind:     by_value
      - .address_space:  global
        .offset:         80
        .size:           8
        .value_kind:     global_buffer
      - .offset:         88
        .size:           4
        .value_kind:     by_value
      - .offset:         92
        .size:           1
        .value_kind:     by_value
    .group_segment_fixed_size: 0
    .kernarg_segment_align: 8
    .kernarg_segment_size: 96
    .language:       OpenCL C
    .language_version:
      - 2
      - 0
    .max_flat_workgroup_size: 128
    .name:           _ZN9rocsparseL18bsrxmvn_4x4_kernelILj128ELj16EfliaafEEvT3_20rocsparse_direction_NS_24const_host_device_scalarIT1_EES1_PKS1_PKT2_SA_S7_PKT4_PKT5_S5_PT6_21rocsparse_index_base_b
    .private_segment_fixed_size: 0
    .sgpr_count:     26
    .sgpr_spill_count: 0
    .symbol:         _ZN9rocsparseL18bsrxmvn_4x4_kernelILj128ELj16EfliaafEEvT3_20rocsparse_direction_NS_24const_host_device_scalarIT1_EES1_PKS1_PKT2_SA_S7_PKT4_PKT5_S5_PT6_21rocsparse_index_base_b.kd
    .uniform_work_group_size: 1
    .uses_dynamic_stack: false
    .vgpr_count:     45
    .vgpr_spill_count: 0
    .wavefront_size: 64
  - .args:
      - .offset:         0
        .size:           4
        .value_kind:     by_value
      - .offset:         4
        .size:           4
        .value_kind:     by_value
      - .offset:         8
        .size:           8
        .value_kind:     by_value
      - .offset:         16
        .size:           4
        .value_kind:     by_value
      - .actual_access:  read_only
        .address_space:  global
        .offset:         24
        .size:           8
        .value_kind:     global_buffer
      - .actual_access:  read_only
        .address_space:  global
        .offset:         32
        .size:           8
        .value_kind:     global_buffer
      - .actual_access:  read_only
        .address_space:  global
        .offset:         40
        .size:           8
        .value_kind:     global_buffer
      - .actual_access:  read_only
        .address_space:  global
        .offset:         48
        .size:           8
        .value_kind:     global_buffer
      - .actual_access:  read_only
        .address_space:  global
        .offset:         56
        .size:           8
        .value_kind:     global_buffer
      - .actual_access:  read_only
        .address_space:  global
        .offset:         64
        .size:           8
        .value_kind:     global_buffer
      - .offset:         72
        .size:           8
        .value_kind:     by_value
      - .address_space:  global
        .offset:         80
        .size:           8
        .value_kind:     global_buffer
      - .offset:         88
        .size:           4
        .value_kind:     by_value
      - .offset:         92
        .size:           1
        .value_kind:     by_value
    .group_segment_fixed_size: 0
    .kernarg_segment_align: 8
    .kernarg_segment_size: 96
    .language:       OpenCL C
    .language_version:
      - 2
      - 0
    .max_flat_workgroup_size: 128
    .name:           _ZN9rocsparseL18bsrxmvn_4x4_kernelILj128ELj32EfliaafEEvT3_20rocsparse_direction_NS_24const_host_device_scalarIT1_EES1_PKS1_PKT2_SA_S7_PKT4_PKT5_S5_PT6_21rocsparse_index_base_b
    .private_segment_fixed_size: 0
    .sgpr_count:     26
    .sgpr_spill_count: 0
    .symbol:         _ZN9rocsparseL18bsrxmvn_4x4_kernelILj128ELj32EfliaafEEvT3_20rocsparse_direction_NS_24const_host_device_scalarIT1_EES1_PKS1_PKT2_SA_S7_PKT4_PKT5_S5_PT6_21rocsparse_index_base_b.kd
    .uniform_work_group_size: 1
    .uses_dynamic_stack: false
    .vgpr_count:     45
    .vgpr_spill_count: 0
    .wavefront_size: 64
  - .args:
      - .offset:         0
        .size:           4
        .value_kind:     by_value
      - .offset:         4
        .size:           4
        .value_kind:     by_value
      - .offset:         8
        .size:           8
        .value_kind:     by_value
      - .offset:         16
        .size:           4
        .value_kind:     by_value
      - .actual_access:  read_only
        .address_space:  global
        .offset:         24
        .size:           8
        .value_kind:     global_buffer
      - .actual_access:  read_only
        .address_space:  global
        .offset:         32
        .size:           8
        .value_kind:     global_buffer
      - .actual_access:  read_only
        .address_space:  global
        .offset:         40
        .size:           8
        .value_kind:     global_buffer
      - .actual_access:  read_only
        .address_space:  global
        .offset:         48
        .size:           8
        .value_kind:     global_buffer
      - .actual_access:  read_only
        .address_space:  global
        .offset:         56
        .size:           8
        .value_kind:     global_buffer
      - .actual_access:  read_only
        .address_space:  global
        .offset:         64
        .size:           8
        .value_kind:     global_buffer
      - .offset:         72
        .size:           8
        .value_kind:     by_value
      - .address_space:  global
        .offset:         80
        .size:           8
        .value_kind:     global_buffer
      - .offset:         88
        .size:           4
        .value_kind:     by_value
      - .offset:         92
        .size:           1
        .value_kind:     by_value
    .group_segment_fixed_size: 0
    .kernarg_segment_align: 8
    .kernarg_segment_size: 96
    .language:       OpenCL C
    .language_version:
      - 2
      - 0
    .max_flat_workgroup_size: 128
    .name:           _ZN9rocsparseL18bsrxmvn_4x4_kernelILj128ELj64EfliaafEEvT3_20rocsparse_direction_NS_24const_host_device_scalarIT1_EES1_PKS1_PKT2_SA_S7_PKT4_PKT5_S5_PT6_21rocsparse_index_base_b
    .private_segment_fixed_size: 0
    .sgpr_count:     26
    .sgpr_spill_count: 0
    .symbol:         _ZN9rocsparseL18bsrxmvn_4x4_kernelILj128ELj64EfliaafEEvT3_20rocsparse_direction_NS_24const_host_device_scalarIT1_EES1_PKS1_PKT2_SA_S7_PKT4_PKT5_S5_PT6_21rocsparse_index_base_b.kd
    .uniform_work_group_size: 1
    .uses_dynamic_stack: false
    .vgpr_count:     45
    .vgpr_spill_count: 0
    .wavefront_size: 64
  - .args:
      - .offset:         0
        .size:           8
        .value_kind:     by_value
      - .offset:         8
        .size:           4
        .value_kind:     by_value
      - .offset:         16
        .size:           8
        .value_kind:     by_value
      - .offset:         24
        .size:           8
        .value_kind:     by_value
      - .actual_access:  read_only
        .address_space:  global
        .offset:         32
        .size:           8
        .value_kind:     global_buffer
      - .actual_access:  read_only
        .address_space:  global
        .offset:         40
        .size:           8
        .value_kind:     global_buffer
      - .actual_access:  read_only
        .address_space:  global
        .offset:         48
        .size:           8
        .value_kind:     global_buffer
      - .actual_access:  read_only
        .address_space:  global
        .offset:         56
        .size:           8
        .value_kind:     global_buffer
      - .actual_access:  read_only
        .address_space:  global
        .offset:         64
        .size:           8
        .value_kind:     global_buffer
      - .actual_access:  read_only
        .address_space:  global
        .offset:         72
        .size:           8
        .value_kind:     global_buffer
      - .offset:         80
        .size:           8
        .value_kind:     by_value
      - .address_space:  global
        .offset:         88
        .size:           8
        .value_kind:     global_buffer
      - .offset:         96
        .size:           4
        .value_kind:     by_value
      - .offset:         100
        .size:           1
        .value_kind:     by_value
    .group_segment_fixed_size: 0
    .kernarg_segment_align: 8
    .kernarg_segment_size: 104
    .language:       OpenCL C
    .language_version:
      - 2
      - 0
    .max_flat_workgroup_size: 128
    .name:           _ZN9rocsparseL18bsrxmvn_4x4_kernelILj128ELj4EfllaafEEvT3_20rocsparse_direction_NS_24const_host_device_scalarIT1_EES1_PKS1_PKT2_SA_S7_PKT4_PKT5_S5_PT6_21rocsparse_index_base_b
    .private_segment_fixed_size: 0
    .sgpr_count:     24
    .sgpr_spill_count: 0
    .symbol:         _ZN9rocsparseL18bsrxmvn_4x4_kernelILj128ELj4EfllaafEEvT3_20rocsparse_direction_NS_24const_host_device_scalarIT1_EES1_PKS1_PKT2_SA_S7_PKT4_PKT5_S5_PT6_21rocsparse_index_base_b.kd
    .uniform_work_group_size: 1
    .uses_dynamic_stack: false
    .vgpr_count:     48
    .vgpr_spill_count: 0
    .wavefront_size: 64
  - .args:
      - .offset:         0
        .size:           8
        .value_kind:     by_value
      - .offset:         8
        .size:           4
        .value_kind:     by_value
      - .offset:         16
        .size:           8
        .value_kind:     by_value
      - .offset:         24
        .size:           8
        .value_kind:     by_value
      - .actual_access:  read_only
        .address_space:  global
        .offset:         32
        .size:           8
        .value_kind:     global_buffer
      - .actual_access:  read_only
        .address_space:  global
        .offset:         40
        .size:           8
        .value_kind:     global_buffer
      - .actual_access:  read_only
        .address_space:  global
        .offset:         48
        .size:           8
        .value_kind:     global_buffer
      - .actual_access:  read_only
        .address_space:  global
        .offset:         56
        .size:           8
        .value_kind:     global_buffer
      - .actual_access:  read_only
        .address_space:  global
        .offset:         64
        .size:           8
        .value_kind:     global_buffer
      - .actual_access:  read_only
        .address_space:  global
        .offset:         72
        .size:           8
        .value_kind:     global_buffer
      - .offset:         80
        .size:           8
        .value_kind:     by_value
      - .address_space:  global
        .offset:         88
        .size:           8
        .value_kind:     global_buffer
      - .offset:         96
        .size:           4
        .value_kind:     by_value
      - .offset:         100
        .size:           1
        .value_kind:     by_value
    .group_segment_fixed_size: 0
    .kernarg_segment_align: 8
    .kernarg_segment_size: 104
    .language:       OpenCL C
    .language_version:
      - 2
      - 0
    .max_flat_workgroup_size: 128
    .name:           _ZN9rocsparseL18bsrxmvn_4x4_kernelILj128ELj8EfllaafEEvT3_20rocsparse_direction_NS_24const_host_device_scalarIT1_EES1_PKS1_PKT2_SA_S7_PKT4_PKT5_S5_PT6_21rocsparse_index_base_b
    .private_segment_fixed_size: 0
    .sgpr_count:     26
    .sgpr_spill_count: 0
    .symbol:         _ZN9rocsparseL18bsrxmvn_4x4_kernelILj128ELj8EfllaafEEvT3_20rocsparse_direction_NS_24const_host_device_scalarIT1_EES1_PKS1_PKT2_SA_S7_PKT4_PKT5_S5_PT6_21rocsparse_index_base_b.kd
    .uniform_work_group_size: 1
    .uses_dynamic_stack: false
    .vgpr_count:     48
    .vgpr_spill_count: 0
    .wavefront_size: 64
  - .args:
      - .offset:         0
        .size:           8
        .value_kind:     by_value
      - .offset:         8
        .size:           4
        .value_kind:     by_value
      - .offset:         16
        .size:           8
        .value_kind:     by_value
      - .offset:         24
        .size:           8
        .value_kind:     by_value
      - .actual_access:  read_only
        .address_space:  global
        .offset:         32
        .size:           8
        .value_kind:     global_buffer
      - .actual_access:  read_only
        .address_space:  global
        .offset:         40
        .size:           8
        .value_kind:     global_buffer
      - .actual_access:  read_only
        .address_space:  global
        .offset:         48
        .size:           8
        .value_kind:     global_buffer
      - .actual_access:  read_only
        .address_space:  global
        .offset:         56
        .size:           8
        .value_kind:     global_buffer
      - .actual_access:  read_only
        .address_space:  global
        .offset:         64
        .size:           8
        .value_kind:     global_buffer
      - .actual_access:  read_only
        .address_space:  global
        .offset:         72
        .size:           8
        .value_kind:     global_buffer
      - .offset:         80
        .size:           8
        .value_kind:     by_value
      - .address_space:  global
        .offset:         88
        .size:           8
        .value_kind:     global_buffer
      - .offset:         96
        .size:           4
        .value_kind:     by_value
      - .offset:         100
        .size:           1
        .value_kind:     by_value
    .group_segment_fixed_size: 0
    .kernarg_segment_align: 8
    .kernarg_segment_size: 104
    .language:       OpenCL C
    .language_version:
      - 2
      - 0
    .max_flat_workgroup_size: 128
    .name:           _ZN9rocsparseL18bsrxmvn_4x4_kernelILj128ELj16EfllaafEEvT3_20rocsparse_direction_NS_24const_host_device_scalarIT1_EES1_PKS1_PKT2_SA_S7_PKT4_PKT5_S5_PT6_21rocsparse_index_base_b
    .private_segment_fixed_size: 0
    .sgpr_count:     26
    .sgpr_spill_count: 0
    .symbol:         _ZN9rocsparseL18bsrxmvn_4x4_kernelILj128ELj16EfllaafEEvT3_20rocsparse_direction_NS_24const_host_device_scalarIT1_EES1_PKS1_PKT2_SA_S7_PKT4_PKT5_S5_PT6_21rocsparse_index_base_b.kd
    .uniform_work_group_size: 1
    .uses_dynamic_stack: false
    .vgpr_count:     48
    .vgpr_spill_count: 0
    .wavefront_size: 64
  - .args:
      - .offset:         0
        .size:           8
        .value_kind:     by_value
      - .offset:         8
        .size:           4
        .value_kind:     by_value
      - .offset:         16
        .size:           8
        .value_kind:     by_value
      - .offset:         24
        .size:           8
        .value_kind:     by_value
      - .actual_access:  read_only
        .address_space:  global
        .offset:         32
        .size:           8
        .value_kind:     global_buffer
      - .actual_access:  read_only
        .address_space:  global
        .offset:         40
        .size:           8
        .value_kind:     global_buffer
      - .actual_access:  read_only
        .address_space:  global
        .offset:         48
        .size:           8
        .value_kind:     global_buffer
      - .actual_access:  read_only
        .address_space:  global
        .offset:         56
        .size:           8
        .value_kind:     global_buffer
      - .actual_access:  read_only
        .address_space:  global
        .offset:         64
        .size:           8
        .value_kind:     global_buffer
      - .actual_access:  read_only
        .address_space:  global
        .offset:         72
        .size:           8
        .value_kind:     global_buffer
      - .offset:         80
        .size:           8
        .value_kind:     by_value
      - .address_space:  global
        .offset:         88
        .size:           8
        .value_kind:     global_buffer
      - .offset:         96
        .size:           4
        .value_kind:     by_value
      - .offset:         100
        .size:           1
        .value_kind:     by_value
    .group_segment_fixed_size: 0
    .kernarg_segment_align: 8
    .kernarg_segment_size: 104
    .language:       OpenCL C
    .language_version:
      - 2
      - 0
    .max_flat_workgroup_size: 128
    .name:           _ZN9rocsparseL18bsrxmvn_4x4_kernelILj128ELj32EfllaafEEvT3_20rocsparse_direction_NS_24const_host_device_scalarIT1_EES1_PKS1_PKT2_SA_S7_PKT4_PKT5_S5_PT6_21rocsparse_index_base_b
    .private_segment_fixed_size: 0
    .sgpr_count:     26
    .sgpr_spill_count: 0
    .symbol:         _ZN9rocsparseL18bsrxmvn_4x4_kernelILj128ELj32EfllaafEEvT3_20rocsparse_direction_NS_24const_host_device_scalarIT1_EES1_PKS1_PKT2_SA_S7_PKT4_PKT5_S5_PT6_21rocsparse_index_base_b.kd
    .uniform_work_group_size: 1
    .uses_dynamic_stack: false
    .vgpr_count:     48
    .vgpr_spill_count: 0
    .wavefront_size: 64
  - .args:
      - .offset:         0
        .size:           8
        .value_kind:     by_value
      - .offset:         8
        .size:           4
        .value_kind:     by_value
      - .offset:         16
        .size:           8
        .value_kind:     by_value
      - .offset:         24
        .size:           8
        .value_kind:     by_value
      - .actual_access:  read_only
        .address_space:  global
        .offset:         32
        .size:           8
        .value_kind:     global_buffer
      - .actual_access:  read_only
        .address_space:  global
        .offset:         40
        .size:           8
        .value_kind:     global_buffer
      - .actual_access:  read_only
        .address_space:  global
        .offset:         48
        .size:           8
        .value_kind:     global_buffer
      - .actual_access:  read_only
        .address_space:  global
        .offset:         56
        .size:           8
        .value_kind:     global_buffer
      - .actual_access:  read_only
        .address_space:  global
        .offset:         64
        .size:           8
        .value_kind:     global_buffer
      - .actual_access:  read_only
        .address_space:  global
        .offset:         72
        .size:           8
        .value_kind:     global_buffer
      - .offset:         80
        .size:           8
        .value_kind:     by_value
      - .address_space:  global
        .offset:         88
        .size:           8
        .value_kind:     global_buffer
      - .offset:         96
        .size:           4
        .value_kind:     by_value
      - .offset:         100
        .size:           1
        .value_kind:     by_value
    .group_segment_fixed_size: 0
    .kernarg_segment_align: 8
    .kernarg_segment_size: 104
    .language:       OpenCL C
    .language_version:
      - 2
      - 0
    .max_flat_workgroup_size: 128
    .name:           _ZN9rocsparseL18bsrxmvn_4x4_kernelILj128ELj64EfllaafEEvT3_20rocsparse_direction_NS_24const_host_device_scalarIT1_EES1_PKS1_PKT2_SA_S7_PKT4_PKT5_S5_PT6_21rocsparse_index_base_b
    .private_segment_fixed_size: 0
    .sgpr_count:     26
    .sgpr_spill_count: 0
    .symbol:         _ZN9rocsparseL18bsrxmvn_4x4_kernelILj128ELj64EfllaafEEvT3_20rocsparse_direction_NS_24const_host_device_scalarIT1_EES1_PKS1_PKT2_SA_S7_PKT4_PKT5_S5_PT6_21rocsparse_index_base_b.kd
    .uniform_work_group_size: 1
    .uses_dynamic_stack: false
    .vgpr_count:     48
    .vgpr_spill_count: 0
    .wavefront_size: 64
  - .args:
      - .offset:         0
        .size:           4
        .value_kind:     by_value
      - .offset:         4
        .size:           4
        .value_kind:     by_value
      - .offset:         8
        .size:           8
        .value_kind:     by_value
      - .offset:         16
        .size:           4
        .value_kind:     by_value
      - .actual_access:  read_only
        .address_space:  global
        .offset:         24
        .size:           8
        .value_kind:     global_buffer
      - .actual_access:  read_only
        .address_space:  global
        .offset:         32
        .size:           8
        .value_kind:     global_buffer
      - .actual_access:  read_only
        .address_space:  global
        .offset:         40
        .size:           8
        .value_kind:     global_buffer
      - .actual_access:  read_only
        .address_space:  global
        .offset:         48
        .size:           8
        .value_kind:     global_buffer
      - .actual_access:  read_only
        .address_space:  global
        .offset:         56
        .size:           8
        .value_kind:     global_buffer
      - .actual_access:  read_only
        .address_space:  global
        .offset:         64
        .size:           8
        .value_kind:     global_buffer
      - .offset:         72
        .size:           8
        .value_kind:     by_value
      - .address_space:  global
        .offset:         80
        .size:           8
        .value_kind:     global_buffer
      - .offset:         88
        .size:           4
        .value_kind:     by_value
      - .offset:         92
        .size:           1
        .value_kind:     by_value
    .group_segment_fixed_size: 0
    .kernarg_segment_align: 8
    .kernarg_segment_size: 96
    .language:       OpenCL C
    .language_version:
      - 2
      - 0
    .max_flat_workgroup_size: 128
    .name:           _ZN9rocsparseL18bsrxmvn_4x4_kernelILj128ELj4EfiiDF16_DF16_fEEvT3_20rocsparse_direction_NS_24const_host_device_scalarIT1_EES1_PKS1_PKT2_SA_S7_PKT4_PKT5_S5_PT6_21rocsparse_index_base_b
    .private_segment_fixed_size: 0
    .sgpr_count:     26
    .sgpr_spill_count: 0
    .symbol:         _ZN9rocsparseL18bsrxmvn_4x4_kernelILj128ELj4EfiiDF16_DF16_fEEvT3_20rocsparse_direction_NS_24const_host_device_scalarIT1_EES1_PKS1_PKT2_SA_S7_PKT4_PKT5_S5_PT6_21rocsparse_index_base_b.kd
    .uniform_work_group_size: 1
    .uses_dynamic_stack: false
    .vgpr_count:     41
    .vgpr_spill_count: 0
    .wavefront_size: 64
  - .args:
      - .offset:         0
        .size:           4
        .value_kind:     by_value
      - .offset:         4
        .size:           4
        .value_kind:     by_value
      - .offset:         8
        .size:           8
        .value_kind:     by_value
      - .offset:         16
        .size:           4
        .value_kind:     by_value
      - .actual_access:  read_only
        .address_space:  global
        .offset:         24
        .size:           8
        .value_kind:     global_buffer
      - .actual_access:  read_only
        .address_space:  global
        .offset:         32
        .size:           8
        .value_kind:     global_buffer
      - .actual_access:  read_only
        .address_space:  global
        .offset:         40
        .size:           8
        .value_kind:     global_buffer
      - .actual_access:  read_only
        .address_space:  global
        .offset:         48
        .size:           8
        .value_kind:     global_buffer
      - .actual_access:  read_only
        .address_space:  global
        .offset:         56
        .size:           8
        .value_kind:     global_buffer
      - .actual_access:  read_only
        .address_space:  global
        .offset:         64
        .size:           8
        .value_kind:     global_buffer
      - .offset:         72
        .size:           8
        .value_kind:     by_value
      - .address_space:  global
        .offset:         80
        .size:           8
        .value_kind:     global_buffer
      - .offset:         88
        .size:           4
        .value_kind:     by_value
      - .offset:         92
        .size:           1
        .value_kind:     by_value
    .group_segment_fixed_size: 0
    .kernarg_segment_align: 8
    .kernarg_segment_size: 96
    .language:       OpenCL C
    .language_version:
      - 2
      - 0
    .max_flat_workgroup_size: 128
    .name:           _ZN9rocsparseL18bsrxmvn_4x4_kernelILj128ELj8EfiiDF16_DF16_fEEvT3_20rocsparse_direction_NS_24const_host_device_scalarIT1_EES1_PKS1_PKT2_SA_S7_PKT4_PKT5_S5_PT6_21rocsparse_index_base_b
    .private_segment_fixed_size: 0
    .sgpr_count:     26
    .sgpr_spill_count: 0
    .symbol:         _ZN9rocsparseL18bsrxmvn_4x4_kernelILj128ELj8EfiiDF16_DF16_fEEvT3_20rocsparse_direction_NS_24const_host_device_scalarIT1_EES1_PKS1_PKT2_SA_S7_PKT4_PKT5_S5_PT6_21rocsparse_index_base_b.kd
    .uniform_work_group_size: 1
    .uses_dynamic_stack: false
    .vgpr_count:     41
    .vgpr_spill_count: 0
    .wavefront_size: 64
  - .args:
      - .offset:         0
        .size:           4
        .value_kind:     by_value
      - .offset:         4
        .size:           4
        .value_kind:     by_value
      - .offset:         8
        .size:           8
        .value_kind:     by_value
      - .offset:         16
        .size:           4
        .value_kind:     by_value
      - .actual_access:  read_only
        .address_space:  global
        .offset:         24
        .size:           8
        .value_kind:     global_buffer
      - .actual_access:  read_only
        .address_space:  global
        .offset:         32
        .size:           8
        .value_kind:     global_buffer
      - .actual_access:  read_only
        .address_space:  global
        .offset:         40
        .size:           8
        .value_kind:     global_buffer
      - .actual_access:  read_only
        .address_space:  global
        .offset:         48
        .size:           8
        .value_kind:     global_buffer
      - .actual_access:  read_only
        .address_space:  global
        .offset:         56
        .size:           8
        .value_kind:     global_buffer
      - .actual_access:  read_only
        .address_space:  global
        .offset:         64
        .size:           8
        .value_kind:     global_buffer
      - .offset:         72
        .size:           8
        .value_kind:     by_value
      - .address_space:  global
        .offset:         80
        .size:           8
        .value_kind:     global_buffer
      - .offset:         88
        .size:           4
        .value_kind:     by_value
      - .offset:         92
        .size:           1
        .value_kind:     by_value
    .group_segment_fixed_size: 0
    .kernarg_segment_align: 8
    .kernarg_segment_size: 96
    .language:       OpenCL C
    .language_version:
      - 2
      - 0
    .max_flat_workgroup_size: 128
    .name:           _ZN9rocsparseL18bsrxmvn_4x4_kernelILj128ELj16EfiiDF16_DF16_fEEvT3_20rocsparse_direction_NS_24const_host_device_scalarIT1_EES1_PKS1_PKT2_SA_S7_PKT4_PKT5_S5_PT6_21rocsparse_index_base_b
    .private_segment_fixed_size: 0
    .sgpr_count:     26
    .sgpr_spill_count: 0
    .symbol:         _ZN9rocsparseL18bsrxmvn_4x4_kernelILj128ELj16EfiiDF16_DF16_fEEvT3_20rocsparse_direction_NS_24const_host_device_scalarIT1_EES1_PKS1_PKT2_SA_S7_PKT4_PKT5_S5_PT6_21rocsparse_index_base_b.kd
    .uniform_work_group_size: 1
    .uses_dynamic_stack: false
    .vgpr_count:     41
    .vgpr_spill_count: 0
    .wavefront_size: 64
  - .args:
      - .offset:         0
        .size:           4
        .value_kind:     by_value
      - .offset:         4
        .size:           4
        .value_kind:     by_value
      - .offset:         8
        .size:           8
        .value_kind:     by_value
      - .offset:         16
        .size:           4
        .value_kind:     by_value
      - .actual_access:  read_only
        .address_space:  global
        .offset:         24
        .size:           8
        .value_kind:     global_buffer
      - .actual_access:  read_only
        .address_space:  global
        .offset:         32
        .size:           8
        .value_kind:     global_buffer
      - .actual_access:  read_only
        .address_space:  global
        .offset:         40
        .size:           8
        .value_kind:     global_buffer
      - .actual_access:  read_only
        .address_space:  global
        .offset:         48
        .size:           8
        .value_kind:     global_buffer
      - .actual_access:  read_only
        .address_space:  global
        .offset:         56
        .size:           8
        .value_kind:     global_buffer
      - .actual_access:  read_only
        .address_space:  global
        .offset:         64
        .size:           8
        .value_kind:     global_buffer
      - .offset:         72
        .size:           8
        .value_kind:     by_value
      - .address_space:  global
        .offset:         80
        .size:           8
        .value_kind:     global_buffer
      - .offset:         88
        .size:           4
        .value_kind:     by_value
      - .offset:         92
        .size:           1
        .value_kind:     by_value
    .group_segment_fixed_size: 0
    .kernarg_segment_align: 8
    .kernarg_segment_size: 96
    .language:       OpenCL C
    .language_version:
      - 2
      - 0
    .max_flat_workgroup_size: 128
    .name:           _ZN9rocsparseL18bsrxmvn_4x4_kernelILj128ELj32EfiiDF16_DF16_fEEvT3_20rocsparse_direction_NS_24const_host_device_scalarIT1_EES1_PKS1_PKT2_SA_S7_PKT4_PKT5_S5_PT6_21rocsparse_index_base_b
    .private_segment_fixed_size: 0
    .sgpr_count:     26
    .sgpr_spill_count: 0
    .symbol:         _ZN9rocsparseL18bsrxmvn_4x4_kernelILj128ELj32EfiiDF16_DF16_fEEvT3_20rocsparse_direction_NS_24const_host_device_scalarIT1_EES1_PKS1_PKT2_SA_S7_PKT4_PKT5_S5_PT6_21rocsparse_index_base_b.kd
    .uniform_work_group_size: 1
    .uses_dynamic_stack: false
    .vgpr_count:     41
    .vgpr_spill_count: 0
    .wavefront_size: 64
  - .args:
      - .offset:         0
        .size:           4
        .value_kind:     by_value
      - .offset:         4
        .size:           4
        .value_kind:     by_value
      - .offset:         8
        .size:           8
        .value_kind:     by_value
      - .offset:         16
        .size:           4
        .value_kind:     by_value
      - .actual_access:  read_only
        .address_space:  global
        .offset:         24
        .size:           8
        .value_kind:     global_buffer
      - .actual_access:  read_only
        .address_space:  global
        .offset:         32
        .size:           8
        .value_kind:     global_buffer
      - .actual_access:  read_only
        .address_space:  global
        .offset:         40
        .size:           8
        .value_kind:     global_buffer
      - .actual_access:  read_only
        .address_space:  global
        .offset:         48
        .size:           8
        .value_kind:     global_buffer
      - .actual_access:  read_only
        .address_space:  global
        .offset:         56
        .size:           8
        .value_kind:     global_buffer
      - .actual_access:  read_only
        .address_space:  global
        .offset:         64
        .size:           8
        .value_kind:     global_buffer
      - .offset:         72
        .size:           8
        .value_kind:     by_value
      - .address_space:  global
        .offset:         80
        .size:           8
        .value_kind:     global_buffer
      - .offset:         88
        .size:           4
        .value_kind:     by_value
      - .offset:         92
        .size:           1
        .value_kind:     by_value
    .group_segment_fixed_size: 0
    .kernarg_segment_align: 8
    .kernarg_segment_size: 96
    .language:       OpenCL C
    .language_version:
      - 2
      - 0
    .max_flat_workgroup_size: 128
    .name:           _ZN9rocsparseL18bsrxmvn_4x4_kernelILj128ELj64EfiiDF16_DF16_fEEvT3_20rocsparse_direction_NS_24const_host_device_scalarIT1_EES1_PKS1_PKT2_SA_S7_PKT4_PKT5_S5_PT6_21rocsparse_index_base_b
    .private_segment_fixed_size: 0
    .sgpr_count:     26
    .sgpr_spill_count: 0
    .symbol:         _ZN9rocsparseL18bsrxmvn_4x4_kernelILj128ELj64EfiiDF16_DF16_fEEvT3_20rocsparse_direction_NS_24const_host_device_scalarIT1_EES1_PKS1_PKT2_SA_S7_PKT4_PKT5_S5_PT6_21rocsparse_index_base_b.kd
    .uniform_work_group_size: 1
    .uses_dynamic_stack: false
    .vgpr_count:     36
    .vgpr_spill_count: 0
    .wavefront_size: 64
  - .args:
      - .offset:         0
        .size:           4
        .value_kind:     by_value
      - .offset:         4
        .size:           4
        .value_kind:     by_value
      - .offset:         8
        .size:           8
        .value_kind:     by_value
      - .offset:         16
        .size:           4
        .value_kind:     by_value
      - .actual_access:  read_only
        .address_space:  global
        .offset:         24
        .size:           8
        .value_kind:     global_buffer
      - .actual_access:  read_only
        .address_space:  global
        .offset:         32
        .size:           8
        .value_kind:     global_buffer
      - .actual_access:  read_only
        .address_space:  global
        .offset:         40
        .size:           8
        .value_kind:     global_buffer
      - .actual_access:  read_only
        .address_space:  global
        .offset:         48
        .size:           8
        .value_kind:     global_buffer
      - .actual_access:  read_only
        .address_space:  global
        .offset:         56
        .size:           8
        .value_kind:     global_buffer
      - .actual_access:  read_only
        .address_space:  global
        .offset:         64
        .size:           8
        .value_kind:     global_buffer
      - .offset:         72
        .size:           8
        .value_kind:     by_value
      - .address_space:  global
        .offset:         80
        .size:           8
        .value_kind:     global_buffer
      - .offset:         88
        .size:           4
        .value_kind:     by_value
      - .offset:         92
        .size:           1
        .value_kind:     by_value
    .group_segment_fixed_size: 0
    .kernarg_segment_align: 8
    .kernarg_segment_size: 96
    .language:       OpenCL C
    .language_version:
      - 2
      - 0
    .max_flat_workgroup_size: 128
    .name:           _ZN9rocsparseL18bsrxmvn_4x4_kernelILj128ELj4EfliDF16_DF16_fEEvT3_20rocsparse_direction_NS_24const_host_device_scalarIT1_EES1_PKS1_PKT2_SA_S7_PKT4_PKT5_S5_PT6_21rocsparse_index_base_b
    .private_segment_fixed_size: 0
    .sgpr_count:     26
    .sgpr_spill_count: 0
    .symbol:         _ZN9rocsparseL18bsrxmvn_4x4_kernelILj128ELj4EfliDF16_DF16_fEEvT3_20rocsparse_direction_NS_24const_host_device_scalarIT1_EES1_PKS1_PKT2_SA_S7_PKT4_PKT5_S5_PT6_21rocsparse_index_base_b.kd
    .uniform_work_group_size: 1
    .uses_dynamic_stack: false
    .vgpr_count:     50
    .vgpr_spill_count: 0
    .wavefront_size: 64
  - .args:
      - .offset:         0
        .size:           4
        .value_kind:     by_value
      - .offset:         4
        .size:           4
        .value_kind:     by_value
      - .offset:         8
        .size:           8
        .value_kind:     by_value
      - .offset:         16
        .size:           4
        .value_kind:     by_value
      - .actual_access:  read_only
        .address_space:  global
        .offset:         24
        .size:           8
        .value_kind:     global_buffer
      - .actual_access:  read_only
        .address_space:  global
        .offset:         32
        .size:           8
        .value_kind:     global_buffer
      - .actual_access:  read_only
        .address_space:  global
        .offset:         40
        .size:           8
        .value_kind:     global_buffer
      - .actual_access:  read_only
        .address_space:  global
        .offset:         48
        .size:           8
        .value_kind:     global_buffer
      - .actual_access:  read_only
        .address_space:  global
        .offset:         56
        .size:           8
        .value_kind:     global_buffer
      - .actual_access:  read_only
        .address_space:  global
        .offset:         64
        .size:           8
        .value_kind:     global_buffer
      - .offset:         72
        .size:           8
        .value_kind:     by_value
      - .address_space:  global
        .offset:         80
        .size:           8
        .value_kind:     global_buffer
      - .offset:         88
        .size:           4
        .value_kind:     by_value
      - .offset:         92
        .size:           1
        .value_kind:     by_value
    .group_segment_fixed_size: 0
    .kernarg_segment_align: 8
    .kernarg_segment_size: 96
    .language:       OpenCL C
    .language_version:
      - 2
      - 0
    .max_flat_workgroup_size: 128
    .name:           _ZN9rocsparseL18bsrxmvn_4x4_kernelILj128ELj8EfliDF16_DF16_fEEvT3_20rocsparse_direction_NS_24const_host_device_scalarIT1_EES1_PKS1_PKT2_SA_S7_PKT4_PKT5_S5_PT6_21rocsparse_index_base_b
    .private_segment_fixed_size: 0
    .sgpr_count:     26
    .sgpr_spill_count: 0
    .symbol:         _ZN9rocsparseL18bsrxmvn_4x4_kernelILj128ELj8EfliDF16_DF16_fEEvT3_20rocsparse_direction_NS_24const_host_device_scalarIT1_EES1_PKS1_PKT2_SA_S7_PKT4_PKT5_S5_PT6_21rocsparse_index_base_b.kd
    .uniform_work_group_size: 1
    .uses_dynamic_stack: false
    .vgpr_count:     50
    .vgpr_spill_count: 0
    .wavefront_size: 64
  - .args:
      - .offset:         0
        .size:           4
        .value_kind:     by_value
      - .offset:         4
        .size:           4
        .value_kind:     by_value
      - .offset:         8
        .size:           8
        .value_kind:     by_value
      - .offset:         16
        .size:           4
        .value_kind:     by_value
      - .actual_access:  read_only
        .address_space:  global
        .offset:         24
        .size:           8
        .value_kind:     global_buffer
      - .actual_access:  read_only
        .address_space:  global
        .offset:         32
        .size:           8
        .value_kind:     global_buffer
      - .actual_access:  read_only
        .address_space:  global
        .offset:         40
        .size:           8
        .value_kind:     global_buffer
      - .actual_access:  read_only
        .address_space:  global
        .offset:         48
        .size:           8
        .value_kind:     global_buffer
      - .actual_access:  read_only
        .address_space:  global
        .offset:         56
        .size:           8
        .value_kind:     global_buffer
      - .actual_access:  read_only
        .address_space:  global
        .offset:         64
        .size:           8
        .value_kind:     global_buffer
      - .offset:         72
        .size:           8
        .value_kind:     by_value
      - .address_space:  global
        .offset:         80
        .size:           8
        .value_kind:     global_buffer
      - .offset:         88
        .size:           4
        .value_kind:     by_value
      - .offset:         92
        .size:           1
        .value_kind:     by_value
    .group_segment_fixed_size: 0
    .kernarg_segment_align: 8
    .kernarg_segment_size: 96
    .language:       OpenCL C
    .language_version:
      - 2
      - 0
    .max_flat_workgroup_size: 128
    .name:           _ZN9rocsparseL18bsrxmvn_4x4_kernelILj128ELj16EfliDF16_DF16_fEEvT3_20rocsparse_direction_NS_24const_host_device_scalarIT1_EES1_PKS1_PKT2_SA_S7_PKT4_PKT5_S5_PT6_21rocsparse_index_base_b
    .private_segment_fixed_size: 0
    .sgpr_count:     26
    .sgpr_spill_count: 0
    .symbol:         _ZN9rocsparseL18bsrxmvn_4x4_kernelILj128ELj16EfliDF16_DF16_fEEvT3_20rocsparse_direction_NS_24const_host_device_scalarIT1_EES1_PKS1_PKT2_SA_S7_PKT4_PKT5_S5_PT6_21rocsparse_index_base_b.kd
    .uniform_work_group_size: 1
    .uses_dynamic_stack: false
    .vgpr_count:     50
    .vgpr_spill_count: 0
    .wavefront_size: 64
  - .args:
      - .offset:         0
        .size:           4
        .value_kind:     by_value
      - .offset:         4
        .size:           4
        .value_kind:     by_value
      - .offset:         8
        .size:           8
        .value_kind:     by_value
      - .offset:         16
        .size:           4
        .value_kind:     by_value
      - .actual_access:  read_only
        .address_space:  global
        .offset:         24
        .size:           8
        .value_kind:     global_buffer
      - .actual_access:  read_only
        .address_space:  global
        .offset:         32
        .size:           8
        .value_kind:     global_buffer
      - .actual_access:  read_only
        .address_space:  global
        .offset:         40
        .size:           8
        .value_kind:     global_buffer
      - .actual_access:  read_only
        .address_space:  global
        .offset:         48
        .size:           8
        .value_kind:     global_buffer
      - .actual_access:  read_only
        .address_space:  global
        .offset:         56
        .size:           8
        .value_kind:     global_buffer
      - .actual_access:  read_only
        .address_space:  global
        .offset:         64
        .size:           8
        .value_kind:     global_buffer
      - .offset:         72
        .size:           8
        .value_kind:     by_value
      - .address_space:  global
        .offset:         80
        .size:           8
        .value_kind:     global_buffer
      - .offset:         88
        .size:           4
        .value_kind:     by_value
      - .offset:         92
        .size:           1
        .value_kind:     by_value
    .group_segment_fixed_size: 0
    .kernarg_segment_align: 8
    .kernarg_segment_size: 96
    .language:       OpenCL C
    .language_version:
      - 2
      - 0
    .max_flat_workgroup_size: 128
    .name:           _ZN9rocsparseL18bsrxmvn_4x4_kernelILj128ELj32EfliDF16_DF16_fEEvT3_20rocsparse_direction_NS_24const_host_device_scalarIT1_EES1_PKS1_PKT2_SA_S7_PKT4_PKT5_S5_PT6_21rocsparse_index_base_b
    .private_segment_fixed_size: 0
    .sgpr_count:     28
    .sgpr_spill_count: 0
    .symbol:         _ZN9rocsparseL18bsrxmvn_4x4_kernelILj128ELj32EfliDF16_DF16_fEEvT3_20rocsparse_direction_NS_24const_host_device_scalarIT1_EES1_PKS1_PKT2_SA_S7_PKT4_PKT5_S5_PT6_21rocsparse_index_base_b.kd
    .uniform_work_group_size: 1
    .uses_dynamic_stack: false
    .vgpr_count:     50
    .vgpr_spill_count: 0
    .wavefront_size: 64
  - .args:
      - .offset:         0
        .size:           4
        .value_kind:     by_value
      - .offset:         4
        .size:           4
        .value_kind:     by_value
      - .offset:         8
        .size:           8
        .value_kind:     by_value
      - .offset:         16
        .size:           4
        .value_kind:     by_value
      - .actual_access:  read_only
        .address_space:  global
        .offset:         24
        .size:           8
        .value_kind:     global_buffer
      - .actual_access:  read_only
        .address_space:  global
        .offset:         32
        .size:           8
        .value_kind:     global_buffer
      - .actual_access:  read_only
        .address_space:  global
        .offset:         40
        .size:           8
        .value_kind:     global_buffer
      - .actual_access:  read_only
        .address_space:  global
        .offset:         48
        .size:           8
        .value_kind:     global_buffer
      - .actual_access:  read_only
        .address_space:  global
        .offset:         56
        .size:           8
        .value_kind:     global_buffer
      - .actual_access:  read_only
        .address_space:  global
        .offset:         64
        .size:           8
        .value_kind:     global_buffer
      - .offset:         72
        .size:           8
        .value_kind:     by_value
      - .address_space:  global
        .offset:         80
        .size:           8
        .value_kind:     global_buffer
      - .offset:         88
        .size:           4
        .value_kind:     by_value
      - .offset:         92
        .size:           1
        .value_kind:     by_value
    .group_segment_fixed_size: 0
    .kernarg_segment_align: 8
    .kernarg_segment_size: 96
    .language:       OpenCL C
    .language_version:
      - 2
      - 0
    .max_flat_workgroup_size: 128
    .name:           _ZN9rocsparseL18bsrxmvn_4x4_kernelILj128ELj64EfliDF16_DF16_fEEvT3_20rocsparse_direction_NS_24const_host_device_scalarIT1_EES1_PKS1_PKT2_SA_S7_PKT4_PKT5_S5_PT6_21rocsparse_index_base_b
    .private_segment_fixed_size: 0
    .sgpr_count:     28
    .sgpr_spill_count: 0
    .symbol:         _ZN9rocsparseL18bsrxmvn_4x4_kernelILj128ELj64EfliDF16_DF16_fEEvT3_20rocsparse_direction_NS_24const_host_device_scalarIT1_EES1_PKS1_PKT2_SA_S7_PKT4_PKT5_S5_PT6_21rocsparse_index_base_b.kd
    .uniform_work_group_size: 1
    .uses_dynamic_stack: false
    .vgpr_count:     47
    .vgpr_spill_count: 0
    .wavefront_size: 64
  - .args:
      - .offset:         0
        .size:           8
        .value_kind:     by_value
      - .offset:         8
        .size:           4
        .value_kind:     by_value
      - .offset:         16
        .size:           8
        .value_kind:     by_value
      - .offset:         24
        .size:           8
        .value_kind:     by_value
      - .actual_access:  read_only
        .address_space:  global
        .offset:         32
        .size:           8
        .value_kind:     global_buffer
      - .actual_access:  read_only
        .address_space:  global
        .offset:         40
        .size:           8
        .value_kind:     global_buffer
      - .actual_access:  read_only
        .address_space:  global
        .offset:         48
        .size:           8
        .value_kind:     global_buffer
      - .actual_access:  read_only
        .address_space:  global
        .offset:         56
        .size:           8
        .value_kind:     global_buffer
      - .actual_access:  read_only
        .address_space:  global
        .offset:         64
        .size:           8
        .value_kind:     global_buffer
      - .actual_access:  read_only
        .address_space:  global
        .offset:         72
        .size:           8
        .value_kind:     global_buffer
      - .offset:         80
        .size:           8
        .value_kind:     by_value
      - .address_space:  global
        .offset:         88
        .size:           8
        .value_kind:     global_buffer
      - .offset:         96
        .size:           4
        .value_kind:     by_value
      - .offset:         100
        .size:           1
        .value_kind:     by_value
    .group_segment_fixed_size: 0
    .kernarg_segment_align: 8
    .kernarg_segment_size: 104
    .language:       OpenCL C
    .language_version:
      - 2
      - 0
    .max_flat_workgroup_size: 128
    .name:           _ZN9rocsparseL18bsrxmvn_4x4_kernelILj128ELj4EfllDF16_DF16_fEEvT3_20rocsparse_direction_NS_24const_host_device_scalarIT1_EES1_PKS1_PKT2_SA_S7_PKT4_PKT5_S5_PT6_21rocsparse_index_base_b
    .private_segment_fixed_size: 0
    .sgpr_count:     26
    .sgpr_spill_count: 0
    .symbol:         _ZN9rocsparseL18bsrxmvn_4x4_kernelILj128ELj4EfllDF16_DF16_fEEvT3_20rocsparse_direction_NS_24const_host_device_scalarIT1_EES1_PKS1_PKT2_SA_S7_PKT4_PKT5_S5_PT6_21rocsparse_index_base_b.kd
    .uniform_work_group_size: 1
    .uses_dynamic_stack: false
    .vgpr_count:     53
    .vgpr_spill_count: 0
    .wavefront_size: 64
  - .args:
      - .offset:         0
        .size:           8
        .value_kind:     by_value
      - .offset:         8
        .size:           4
        .value_kind:     by_value
      - .offset:         16
        .size:           8
        .value_kind:     by_value
      - .offset:         24
        .size:           8
        .value_kind:     by_value
      - .actual_access:  read_only
        .address_space:  global
        .offset:         32
        .size:           8
        .value_kind:     global_buffer
      - .actual_access:  read_only
        .address_space:  global
        .offset:         40
        .size:           8
        .value_kind:     global_buffer
      - .actual_access:  read_only
        .address_space:  global
        .offset:         48
        .size:           8
        .value_kind:     global_buffer
      - .actual_access:  read_only
        .address_space:  global
        .offset:         56
        .size:           8
        .value_kind:     global_buffer
      - .actual_access:  read_only
        .address_space:  global
        .offset:         64
        .size:           8
        .value_kind:     global_buffer
      - .actual_access:  read_only
        .address_space:  global
        .offset:         72
        .size:           8
        .value_kind:     global_buffer
      - .offset:         80
        .size:           8
        .value_kind:     by_value
      - .address_space:  global
        .offset:         88
        .size:           8
        .value_kind:     global_buffer
      - .offset:         96
        .size:           4
        .value_kind:     by_value
      - .offset:         100
        .size:           1
        .value_kind:     by_value
    .group_segment_fixed_size: 0
    .kernarg_segment_align: 8
    .kernarg_segment_size: 104
    .language:       OpenCL C
    .language_version:
      - 2
      - 0
    .max_flat_workgroup_size: 128
    .name:           _ZN9rocsparseL18bsrxmvn_4x4_kernelILj128ELj8EfllDF16_DF16_fEEvT3_20rocsparse_direction_NS_24const_host_device_scalarIT1_EES1_PKS1_PKT2_SA_S7_PKT4_PKT5_S5_PT6_21rocsparse_index_base_b
    .private_segment_fixed_size: 0
    .sgpr_count:     26
    .sgpr_spill_count: 0
    .symbol:         _ZN9rocsparseL18bsrxmvn_4x4_kernelILj128ELj8EfllDF16_DF16_fEEvT3_20rocsparse_direction_NS_24const_host_device_scalarIT1_EES1_PKS1_PKT2_SA_S7_PKT4_PKT5_S5_PT6_21rocsparse_index_base_b.kd
    .uniform_work_group_size: 1
    .uses_dynamic_stack: false
    .vgpr_count:     53
    .vgpr_spill_count: 0
    .wavefront_size: 64
  - .args:
      - .offset:         0
        .size:           8
        .value_kind:     by_value
      - .offset:         8
        .size:           4
        .value_kind:     by_value
      - .offset:         16
        .size:           8
        .value_kind:     by_value
      - .offset:         24
        .size:           8
        .value_kind:     by_value
      - .actual_access:  read_only
        .address_space:  global
        .offset:         32
        .size:           8
        .value_kind:     global_buffer
      - .actual_access:  read_only
        .address_space:  global
        .offset:         40
        .size:           8
        .value_kind:     global_buffer
      - .actual_access:  read_only
        .address_space:  global
        .offset:         48
        .size:           8
        .value_kind:     global_buffer
      - .actual_access:  read_only
        .address_space:  global
        .offset:         56
        .size:           8
        .value_kind:     global_buffer
      - .actual_access:  read_only
        .address_space:  global
        .offset:         64
        .size:           8
        .value_kind:     global_buffer
      - .actual_access:  read_only
        .address_space:  global
        .offset:         72
        .size:           8
        .value_kind:     global_buffer
      - .offset:         80
        .size:           8
        .value_kind:     by_value
      - .address_space:  global
        .offset:         88
        .size:           8
        .value_kind:     global_buffer
      - .offset:         96
        .size:           4
        .value_kind:     by_value
      - .offset:         100
        .size:           1
        .value_kind:     by_value
    .group_segment_fixed_size: 0
    .kernarg_segment_align: 8
    .kernarg_segment_size: 104
    .language:       OpenCL C
    .language_version:
      - 2
      - 0
    .max_flat_workgroup_size: 128
    .name:           _ZN9rocsparseL18bsrxmvn_4x4_kernelILj128ELj16EfllDF16_DF16_fEEvT3_20rocsparse_direction_NS_24const_host_device_scalarIT1_EES1_PKS1_PKT2_SA_S7_PKT4_PKT5_S5_PT6_21rocsparse_index_base_b
    .private_segment_fixed_size: 0
    .sgpr_count:     26
    .sgpr_spill_count: 0
    .symbol:         _ZN9rocsparseL18bsrxmvn_4x4_kernelILj128ELj16EfllDF16_DF16_fEEvT3_20rocsparse_direction_NS_24const_host_device_scalarIT1_EES1_PKS1_PKT2_SA_S7_PKT4_PKT5_S5_PT6_21rocsparse_index_base_b.kd
    .uniform_work_group_size: 1
    .uses_dynamic_stack: false
    .vgpr_count:     53
    .vgpr_spill_count: 0
    .wavefront_size: 64
  - .args:
      - .offset:         0
        .size:           8
        .value_kind:     by_value
      - .offset:         8
        .size:           4
        .value_kind:     by_value
      - .offset:         16
        .size:           8
        .value_kind:     by_value
      - .offset:         24
        .size:           8
        .value_kind:     by_value
      - .actual_access:  read_only
        .address_space:  global
        .offset:         32
        .size:           8
        .value_kind:     global_buffer
      - .actual_access:  read_only
        .address_space:  global
        .offset:         40
        .size:           8
        .value_kind:     global_buffer
      - .actual_access:  read_only
        .address_space:  global
        .offset:         48
        .size:           8
        .value_kind:     global_buffer
      - .actual_access:  read_only
        .address_space:  global
        .offset:         56
        .size:           8
        .value_kind:     global_buffer
      - .actual_access:  read_only
        .address_space:  global
        .offset:         64
        .size:           8
        .value_kind:     global_buffer
      - .actual_access:  read_only
        .address_space:  global
        .offset:         72
        .size:           8
        .value_kind:     global_buffer
      - .offset:         80
        .size:           8
        .value_kind:     by_value
      - .address_space:  global
        .offset:         88
        .size:           8
        .value_kind:     global_buffer
      - .offset:         96
        .size:           4
        .value_kind:     by_value
      - .offset:         100
        .size:           1
        .value_kind:     by_value
    .group_segment_fixed_size: 0
    .kernarg_segment_align: 8
    .kernarg_segment_size: 104
    .language:       OpenCL C
    .language_version:
      - 2
      - 0
    .max_flat_workgroup_size: 128
    .name:           _ZN9rocsparseL18bsrxmvn_4x4_kernelILj128ELj32EfllDF16_DF16_fEEvT3_20rocsparse_direction_NS_24const_host_device_scalarIT1_EES1_PKS1_PKT2_SA_S7_PKT4_PKT5_S5_PT6_21rocsparse_index_base_b
    .private_segment_fixed_size: 0
    .sgpr_count:     26
    .sgpr_spill_count: 0
    .symbol:         _ZN9rocsparseL18bsrxmvn_4x4_kernelILj128ELj32EfllDF16_DF16_fEEvT3_20rocsparse_direction_NS_24const_host_device_scalarIT1_EES1_PKS1_PKT2_SA_S7_PKT4_PKT5_S5_PT6_21rocsparse_index_base_b.kd
    .uniform_work_group_size: 1
    .uses_dynamic_stack: false
    .vgpr_count:     53
    .vgpr_spill_count: 0
    .wavefront_size: 64
  - .args:
      - .offset:         0
        .size:           8
        .value_kind:     by_value
      - .offset:         8
        .size:           4
        .value_kind:     by_value
      - .offset:         16
        .size:           8
        .value_kind:     by_value
      - .offset:         24
        .size:           8
        .value_kind:     by_value
      - .actual_access:  read_only
        .address_space:  global
        .offset:         32
        .size:           8
        .value_kind:     global_buffer
      - .actual_access:  read_only
        .address_space:  global
        .offset:         40
        .size:           8
        .value_kind:     global_buffer
      - .actual_access:  read_only
        .address_space:  global
        .offset:         48
        .size:           8
        .value_kind:     global_buffer
      - .actual_access:  read_only
        .address_space:  global
        .offset:         56
        .size:           8
        .value_kind:     global_buffer
      - .actual_access:  read_only
        .address_space:  global
        .offset:         64
        .size:           8
        .value_kind:     global_buffer
      - .actual_access:  read_only
        .address_space:  global
        .offset:         72
        .size:           8
        .value_kind:     global_buffer
      - .offset:         80
        .size:           8
        .value_kind:     by_value
      - .address_space:  global
        .offset:         88
        .size:           8
        .value_kind:     global_buffer
      - .offset:         96
        .size:           4
        .value_kind:     by_value
      - .offset:         100
        .size:           1
        .value_kind:     by_value
    .group_segment_fixed_size: 0
    .kernarg_segment_align: 8
    .kernarg_segment_size: 104
    .language:       OpenCL C
    .language_version:
      - 2
      - 0
    .max_flat_workgroup_size: 128
    .name:           _ZN9rocsparseL18bsrxmvn_4x4_kernelILj128ELj64EfllDF16_DF16_fEEvT3_20rocsparse_direction_NS_24const_host_device_scalarIT1_EES1_PKS1_PKT2_SA_S7_PKT4_PKT5_S5_PT6_21rocsparse_index_base_b
    .private_segment_fixed_size: 0
    .sgpr_count:     26
    .sgpr_spill_count: 0
    .symbol:         _ZN9rocsparseL18bsrxmvn_4x4_kernelILj128ELj64EfllDF16_DF16_fEEvT3_20rocsparse_direction_NS_24const_host_device_scalarIT1_EES1_PKS1_PKT2_SA_S7_PKT4_PKT5_S5_PT6_21rocsparse_index_base_b.kd
    .uniform_work_group_size: 1
    .uses_dynamic_stack: false
    .vgpr_count:     51
    .vgpr_spill_count: 0
    .wavefront_size: 64
  - .args:
      - .offset:         0
        .size:           4
        .value_kind:     by_value
      - .offset:         4
        .size:           4
        .value_kind:     by_value
      - .offset:         8
        .size:           8
        .value_kind:     by_value
      - .offset:         16
        .size:           4
        .value_kind:     by_value
      - .actual_access:  read_only
        .address_space:  global
        .offset:         24
        .size:           8
        .value_kind:     global_buffer
      - .actual_access:  read_only
        .address_space:  global
        .offset:         32
        .size:           8
        .value_kind:     global_buffer
      - .actual_access:  read_only
        .address_space:  global
        .offset:         40
        .size:           8
        .value_kind:     global_buffer
      - .actual_access:  read_only
        .address_space:  global
        .offset:         48
        .size:           8
        .value_kind:     global_buffer
      - .actual_access:  read_only
        .address_space:  global
        .offset:         56
        .size:           8
        .value_kind:     global_buffer
      - .actual_access:  read_only
        .address_space:  global
        .offset:         64
        .size:           8
        .value_kind:     global_buffer
      - .offset:         72
        .size:           8
        .value_kind:     by_value
      - .address_space:  global
        .offset:         80
        .size:           8
        .value_kind:     global_buffer
      - .offset:         88
        .size:           4
        .value_kind:     by_value
      - .offset:         92
        .size:           1
        .value_kind:     by_value
    .group_segment_fixed_size: 0
    .kernarg_segment_align: 8
    .kernarg_segment_size: 96
    .language:       OpenCL C
    .language_version:
      - 2
      - 0
    .max_flat_workgroup_size: 128
    .name:           _ZN9rocsparseL18bsrxmvn_4x4_kernelILj128ELj4Efii18rocsparse_bfloat16S1_fEEvT3_20rocsparse_direction_NS_24const_host_device_scalarIT1_EES2_PKS2_PKT2_SB_S8_PKT4_PKT5_S6_PT6_21rocsparse_index_base_b
    .private_segment_fixed_size: 0
    .sgpr_count:     26
    .sgpr_spill_count: 0
    .symbol:         _ZN9rocsparseL18bsrxmvn_4x4_kernelILj128ELj4Efii18rocsparse_bfloat16S1_fEEvT3_20rocsparse_direction_NS_24const_host_device_scalarIT1_EES2_PKS2_PKT2_SB_S8_PKT4_PKT5_S6_PT6_21rocsparse_index_base_b.kd
    .uniform_work_group_size: 1
    .uses_dynamic_stack: false
    .vgpr_count:     38
    .vgpr_spill_count: 0
    .wavefront_size: 64
  - .args:
      - .offset:         0
        .size:           4
        .value_kind:     by_value
      - .offset:         4
        .size:           4
        .value_kind:     by_value
      - .offset:         8
        .size:           8
        .value_kind:     by_value
      - .offset:         16
        .size:           4
        .value_kind:     by_value
      - .actual_access:  read_only
        .address_space:  global
        .offset:         24
        .size:           8
        .value_kind:     global_buffer
      - .actual_access:  read_only
        .address_space:  global
        .offset:         32
        .size:           8
        .value_kind:     global_buffer
      - .actual_access:  read_only
        .address_space:  global
        .offset:         40
        .size:           8
        .value_kind:     global_buffer
      - .actual_access:  read_only
        .address_space:  global
        .offset:         48
        .size:           8
        .value_kind:     global_buffer
      - .actual_access:  read_only
        .address_space:  global
        .offset:         56
        .size:           8
        .value_kind:     global_buffer
      - .actual_access:  read_only
        .address_space:  global
        .offset:         64
        .size:           8
        .value_kind:     global_buffer
      - .offset:         72
        .size:           8
        .value_kind:     by_value
      - .address_space:  global
        .offset:         80
        .size:           8
        .value_kind:     global_buffer
      - .offset:         88
        .size:           4
        .value_kind:     by_value
      - .offset:         92
        .size:           1
        .value_kind:     by_value
    .group_segment_fixed_size: 0
    .kernarg_segment_align: 8
    .kernarg_segment_size: 96
    .language:       OpenCL C
    .language_version:
      - 2
      - 0
    .max_flat_workgroup_size: 128
    .name:           _ZN9rocsparseL18bsrxmvn_4x4_kernelILj128ELj8Efii18rocsparse_bfloat16S1_fEEvT3_20rocsparse_direction_NS_24const_host_device_scalarIT1_EES2_PKS2_PKT2_SB_S8_PKT4_PKT5_S6_PT6_21rocsparse_index_base_b
    .private_segment_fixed_size: 0
    .sgpr_count:     26
    .sgpr_spill_count: 0
    .symbol:         _ZN9rocsparseL18bsrxmvn_4x4_kernelILj128ELj8Efii18rocsparse_bfloat16S1_fEEvT3_20rocsparse_direction_NS_24const_host_device_scalarIT1_EES2_PKS2_PKT2_SB_S8_PKT4_PKT5_S6_PT6_21rocsparse_index_base_b.kd
    .uniform_work_group_size: 1
    .uses_dynamic_stack: false
    .vgpr_count:     38
    .vgpr_spill_count: 0
    .wavefront_size: 64
  - .args:
      - .offset:         0
        .size:           4
        .value_kind:     by_value
      - .offset:         4
        .size:           4
        .value_kind:     by_value
      - .offset:         8
        .size:           8
        .value_kind:     by_value
      - .offset:         16
        .size:           4
        .value_kind:     by_value
      - .actual_access:  read_only
        .address_space:  global
        .offset:         24
        .size:           8
        .value_kind:     global_buffer
      - .actual_access:  read_only
        .address_space:  global
        .offset:         32
        .size:           8
        .value_kind:     global_buffer
      - .actual_access:  read_only
        .address_space:  global
        .offset:         40
        .size:           8
        .value_kind:     global_buffer
      - .actual_access:  read_only
        .address_space:  global
        .offset:         48
        .size:           8
        .value_kind:     global_buffer
      - .actual_access:  read_only
        .address_space:  global
        .offset:         56
        .size:           8
        .value_kind:     global_buffer
      - .actual_access:  read_only
        .address_space:  global
        .offset:         64
        .size:           8
        .value_kind:     global_buffer
      - .offset:         72
        .size:           8
        .value_kind:     by_value
      - .address_space:  global
        .offset:         80
        .size:           8
        .value_kind:     global_buffer
      - .offset:         88
        .size:           4
        .value_kind:     by_value
      - .offset:         92
        .size:           1
        .value_kind:     by_value
    .group_segment_fixed_size: 0
    .kernarg_segment_align: 8
    .kernarg_segment_size: 96
    .language:       OpenCL C
    .language_version:
      - 2
      - 0
    .max_flat_workgroup_size: 128
    .name:           _ZN9rocsparseL18bsrxmvn_4x4_kernelILj128ELj16Efii18rocsparse_bfloat16S1_fEEvT3_20rocsparse_direction_NS_24const_host_device_scalarIT1_EES2_PKS2_PKT2_SB_S8_PKT4_PKT5_S6_PT6_21rocsparse_index_base_b
    .private_segment_fixed_size: 0
    .sgpr_count:     26
    .sgpr_spill_count: 0
    .symbol:         _ZN9rocsparseL18bsrxmvn_4x4_kernelILj128ELj16Efii18rocsparse_bfloat16S1_fEEvT3_20rocsparse_direction_NS_24const_host_device_scalarIT1_EES2_PKS2_PKT2_SB_S8_PKT4_PKT5_S6_PT6_21rocsparse_index_base_b.kd
    .uniform_work_group_size: 1
    .uses_dynamic_stack: false
    .vgpr_count:     38
    .vgpr_spill_count: 0
    .wavefront_size: 64
  - .args:
      - .offset:         0
        .size:           4
        .value_kind:     by_value
      - .offset:         4
        .size:           4
        .value_kind:     by_value
      - .offset:         8
        .size:           8
        .value_kind:     by_value
      - .offset:         16
        .size:           4
        .value_kind:     by_value
      - .actual_access:  read_only
        .address_space:  global
        .offset:         24
        .size:           8
        .value_kind:     global_buffer
      - .actual_access:  read_only
        .address_space:  global
        .offset:         32
        .size:           8
        .value_kind:     global_buffer
      - .actual_access:  read_only
        .address_space:  global
        .offset:         40
        .size:           8
        .value_kind:     global_buffer
      - .actual_access:  read_only
        .address_space:  global
        .offset:         48
        .size:           8
        .value_kind:     global_buffer
      - .actual_access:  read_only
        .address_space:  global
        .offset:         56
        .size:           8
        .value_kind:     global_buffer
      - .actual_access:  read_only
        .address_space:  global
        .offset:         64
        .size:           8
        .value_kind:     global_buffer
      - .offset:         72
        .size:           8
        .value_kind:     by_value
      - .address_space:  global
        .offset:         80
        .size:           8
        .value_kind:     global_buffer
      - .offset:         88
        .size:           4
        .value_kind:     by_value
      - .offset:         92
        .size:           1
        .value_kind:     by_value
    .group_segment_fixed_size: 0
    .kernarg_segment_align: 8
    .kernarg_segment_size: 96
    .language:       OpenCL C
    .language_version:
      - 2
      - 0
    .max_flat_workgroup_size: 128
    .name:           _ZN9rocsparseL18bsrxmvn_4x4_kernelILj128ELj32Efii18rocsparse_bfloat16S1_fEEvT3_20rocsparse_direction_NS_24const_host_device_scalarIT1_EES2_PKS2_PKT2_SB_S8_PKT4_PKT5_S6_PT6_21rocsparse_index_base_b
    .private_segment_fixed_size: 0
    .sgpr_count:     26
    .sgpr_spill_count: 0
    .symbol:         _ZN9rocsparseL18bsrxmvn_4x4_kernelILj128ELj32Efii18rocsparse_bfloat16S1_fEEvT3_20rocsparse_direction_NS_24const_host_device_scalarIT1_EES2_PKS2_PKT2_SB_S8_PKT4_PKT5_S6_PT6_21rocsparse_index_base_b.kd
    .uniform_work_group_size: 1
    .uses_dynamic_stack: false
    .vgpr_count:     38
    .vgpr_spill_count: 0
    .wavefront_size: 64
  - .args:
      - .offset:         0
        .size:           4
        .value_kind:     by_value
      - .offset:         4
        .size:           4
        .value_kind:     by_value
      - .offset:         8
        .size:           8
        .value_kind:     by_value
      - .offset:         16
        .size:           4
        .value_kind:     by_value
      - .actual_access:  read_only
        .address_space:  global
        .offset:         24
        .size:           8
        .value_kind:     global_buffer
      - .actual_access:  read_only
        .address_space:  global
        .offset:         32
        .size:           8
        .value_kind:     global_buffer
      - .actual_access:  read_only
        .address_space:  global
        .offset:         40
        .size:           8
        .value_kind:     global_buffer
      - .actual_access:  read_only
        .address_space:  global
        .offset:         48
        .size:           8
        .value_kind:     global_buffer
      - .actual_access:  read_only
        .address_space:  global
        .offset:         56
        .size:           8
        .value_kind:     global_buffer
      - .actual_access:  read_only
        .address_space:  global
        .offset:         64
        .size:           8
        .value_kind:     global_buffer
      - .offset:         72
        .size:           8
        .value_kind:     by_value
      - .address_space:  global
        .offset:         80
        .size:           8
        .value_kind:     global_buffer
      - .offset:         88
        .size:           4
        .value_kind:     by_value
      - .offset:         92
        .size:           1
        .value_kind:     by_value
    .group_segment_fixed_size: 0
    .kernarg_segment_align: 8
    .kernarg_segment_size: 96
    .language:       OpenCL C
    .language_version:
      - 2
      - 0
    .max_flat_workgroup_size: 128
    .name:           _ZN9rocsparseL18bsrxmvn_4x4_kernelILj128ELj64Efii18rocsparse_bfloat16S1_fEEvT3_20rocsparse_direction_NS_24const_host_device_scalarIT1_EES2_PKS2_PKT2_SB_S8_PKT4_PKT5_S6_PT6_21rocsparse_index_base_b
    .private_segment_fixed_size: 0
    .sgpr_count:     26
    .sgpr_spill_count: 0
    .symbol:         _ZN9rocsparseL18bsrxmvn_4x4_kernelILj128ELj64Efii18rocsparse_bfloat16S1_fEEvT3_20rocsparse_direction_NS_24const_host_device_scalarIT1_EES2_PKS2_PKT2_SB_S8_PKT4_PKT5_S6_PT6_21rocsparse_index_base_b.kd
    .uniform_work_group_size: 1
    .uses_dynamic_stack: false
    .vgpr_count:     38
    .vgpr_spill_count: 0
    .wavefront_size: 64
  - .args:
      - .offset:         0
        .size:           4
        .value_kind:     by_value
      - .offset:         4
        .size:           4
        .value_kind:     by_value
      - .offset:         8
        .size:           8
        .value_kind:     by_value
      - .offset:         16
        .size:           4
        .value_kind:     by_value
      - .actual_access:  read_only
        .address_space:  global
        .offset:         24
        .size:           8
        .value_kind:     global_buffer
      - .actual_access:  read_only
        .address_space:  global
        .offset:         32
        .size:           8
        .value_kind:     global_buffer
      - .actual_access:  read_only
        .address_space:  global
        .offset:         40
        .size:           8
        .value_kind:     global_buffer
      - .actual_access:  read_only
        .address_space:  global
        .offset:         48
        .size:           8
        .value_kind:     global_buffer
      - .actual_access:  read_only
        .address_space:  global
        .offset:         56
        .size:           8
        .value_kind:     global_buffer
      - .actual_access:  read_only
        .address_space:  global
        .offset:         64
        .size:           8
        .value_kind:     global_buffer
      - .offset:         72
        .size:           8
        .value_kind:     by_value
      - .address_space:  global
        .offset:         80
        .size:           8
        .value_kind:     global_buffer
      - .offset:         88
        .size:           4
        .value_kind:     by_value
      - .offset:         92
        .size:           1
        .value_kind:     by_value
    .group_segment_fixed_size: 0
    .kernarg_segment_align: 8
    .kernarg_segment_size: 96
    .language:       OpenCL C
    .language_version:
      - 2
      - 0
    .max_flat_workgroup_size: 128
    .name:           _ZN9rocsparseL18bsrxmvn_4x4_kernelILj128ELj4Efli18rocsparse_bfloat16S1_fEEvT3_20rocsparse_direction_NS_24const_host_device_scalarIT1_EES2_PKS2_PKT2_SB_S8_PKT4_PKT5_S6_PT6_21rocsparse_index_base_b
    .private_segment_fixed_size: 0
    .sgpr_count:     26
    .sgpr_spill_count: 0
    .symbol:         _ZN9rocsparseL18bsrxmvn_4x4_kernelILj128ELj4Efli18rocsparse_bfloat16S1_fEEvT3_20rocsparse_direction_NS_24const_host_device_scalarIT1_EES2_PKS2_PKT2_SB_S8_PKT4_PKT5_S6_PT6_21rocsparse_index_base_b.kd
    .uniform_work_group_size: 1
    .uses_dynamic_stack: false
    .vgpr_count:     45
    .vgpr_spill_count: 0
    .wavefront_size: 64
  - .args:
      - .offset:         0
        .size:           4
        .value_kind:     by_value
      - .offset:         4
        .size:           4
        .value_kind:     by_value
      - .offset:         8
        .size:           8
        .value_kind:     by_value
      - .offset:         16
        .size:           4
        .value_kind:     by_value
      - .actual_access:  read_only
        .address_space:  global
        .offset:         24
        .size:           8
        .value_kind:     global_buffer
      - .actual_access:  read_only
        .address_space:  global
        .offset:         32
        .size:           8
        .value_kind:     global_buffer
      - .actual_access:  read_only
        .address_space:  global
        .offset:         40
        .size:           8
        .value_kind:     global_buffer
      - .actual_access:  read_only
        .address_space:  global
        .offset:         48
        .size:           8
        .value_kind:     global_buffer
      - .actual_access:  read_only
        .address_space:  global
        .offset:         56
        .size:           8
        .value_kind:     global_buffer
      - .actual_access:  read_only
        .address_space:  global
        .offset:         64
        .size:           8
        .value_kind:     global_buffer
      - .offset:         72
        .size:           8
        .value_kind:     by_value
      - .address_space:  global
        .offset:         80
        .size:           8
        .value_kind:     global_buffer
      - .offset:         88
        .size:           4
        .value_kind:     by_value
      - .offset:         92
        .size:           1
        .value_kind:     by_value
    .group_segment_fixed_size: 0
    .kernarg_segment_align: 8
    .kernarg_segment_size: 96
    .language:       OpenCL C
    .language_version:
      - 2
      - 0
    .max_flat_workgroup_size: 128
    .name:           _ZN9rocsparseL18bsrxmvn_4x4_kernelILj128ELj8Efli18rocsparse_bfloat16S1_fEEvT3_20rocsparse_direction_NS_24const_host_device_scalarIT1_EES2_PKS2_PKT2_SB_S8_PKT4_PKT5_S6_PT6_21rocsparse_index_base_b
    .private_segment_fixed_size: 0
    .sgpr_count:     26
    .sgpr_spill_count: 0
    .symbol:         _ZN9rocsparseL18bsrxmvn_4x4_kernelILj128ELj8Efli18rocsparse_bfloat16S1_fEEvT3_20rocsparse_direction_NS_24const_host_device_scalarIT1_EES2_PKS2_PKT2_SB_S8_PKT4_PKT5_S6_PT6_21rocsparse_index_base_b.kd
    .uniform_work_group_size: 1
    .uses_dynamic_stack: false
    .vgpr_count:     45
    .vgpr_spill_count: 0
    .wavefront_size: 64
  - .args:
      - .offset:         0
        .size:           4
        .value_kind:     by_value
      - .offset:         4
        .size:           4
        .value_kind:     by_value
      - .offset:         8
        .size:           8
        .value_kind:     by_value
      - .offset:         16
        .size:           4
        .value_kind:     by_value
      - .actual_access:  read_only
        .address_space:  global
        .offset:         24
        .size:           8
        .value_kind:     global_buffer
      - .actual_access:  read_only
        .address_space:  global
        .offset:         32
        .size:           8
        .value_kind:     global_buffer
      - .actual_access:  read_only
        .address_space:  global
        .offset:         40
        .size:           8
        .value_kind:     global_buffer
      - .actual_access:  read_only
        .address_space:  global
        .offset:         48
        .size:           8
        .value_kind:     global_buffer
      - .actual_access:  read_only
        .address_space:  global
        .offset:         56
        .size:           8
        .value_kind:     global_buffer
      - .actual_access:  read_only
        .address_space:  global
        .offset:         64
        .size:           8
        .value_kind:     global_buffer
      - .offset:         72
        .size:           8
        .value_kind:     by_value
      - .address_space:  global
        .offset:         80
        .size:           8
        .value_kind:     global_buffer
      - .offset:         88
        .size:           4
        .value_kind:     by_value
      - .offset:         92
        .size:           1
        .value_kind:     by_value
    .group_segment_fixed_size: 0
    .kernarg_segment_align: 8
    .kernarg_segment_size: 96
    .language:       OpenCL C
    .language_version:
      - 2
      - 0
    .max_flat_workgroup_size: 128
    .name:           _ZN9rocsparseL18bsrxmvn_4x4_kernelILj128ELj16Efli18rocsparse_bfloat16S1_fEEvT3_20rocsparse_direction_NS_24const_host_device_scalarIT1_EES2_PKS2_PKT2_SB_S8_PKT4_PKT5_S6_PT6_21rocsparse_index_base_b
    .private_segment_fixed_size: 0
    .sgpr_count:     26
    .sgpr_spill_count: 0
    .symbol:         _ZN9rocsparseL18bsrxmvn_4x4_kernelILj128ELj16Efli18rocsparse_bfloat16S1_fEEvT3_20rocsparse_direction_NS_24const_host_device_scalarIT1_EES2_PKS2_PKT2_SB_S8_PKT4_PKT5_S6_PT6_21rocsparse_index_base_b.kd
    .uniform_work_group_size: 1
    .uses_dynamic_stack: false
    .vgpr_count:     45
    .vgpr_spill_count: 0
    .wavefront_size: 64
  - .args:
      - .offset:         0
        .size:           4
        .value_kind:     by_value
      - .offset:         4
        .size:           4
        .value_kind:     by_value
      - .offset:         8
        .size:           8
        .value_kind:     by_value
      - .offset:         16
        .size:           4
        .value_kind:     by_value
      - .actual_access:  read_only
        .address_space:  global
        .offset:         24
        .size:           8
        .value_kind:     global_buffer
      - .actual_access:  read_only
        .address_space:  global
        .offset:         32
        .size:           8
        .value_kind:     global_buffer
      - .actual_access:  read_only
        .address_space:  global
        .offset:         40
        .size:           8
        .value_kind:     global_buffer
      - .actual_access:  read_only
        .address_space:  global
        .offset:         48
        .size:           8
        .value_kind:     global_buffer
      - .actual_access:  read_only
        .address_space:  global
        .offset:         56
        .size:           8
        .value_kind:     global_buffer
      - .actual_access:  read_only
        .address_space:  global
        .offset:         64
        .size:           8
        .value_kind:     global_buffer
      - .offset:         72
        .size:           8
        .value_kind:     by_value
      - .address_space:  global
        .offset:         80
        .size:           8
        .value_kind:     global_buffer
      - .offset:         88
        .size:           4
        .value_kind:     by_value
      - .offset:         92
        .size:           1
        .value_kind:     by_value
    .group_segment_fixed_size: 0
    .kernarg_segment_align: 8
    .kernarg_segment_size: 96
    .language:       OpenCL C
    .language_version:
      - 2
      - 0
    .max_flat_workgroup_size: 128
    .name:           _ZN9rocsparseL18bsrxmvn_4x4_kernelILj128ELj32Efli18rocsparse_bfloat16S1_fEEvT3_20rocsparse_direction_NS_24const_host_device_scalarIT1_EES2_PKS2_PKT2_SB_S8_PKT4_PKT5_S6_PT6_21rocsparse_index_base_b
    .private_segment_fixed_size: 0
    .sgpr_count:     26
    .sgpr_spill_count: 0
    .symbol:         _ZN9rocsparseL18bsrxmvn_4x4_kernelILj128ELj32Efli18rocsparse_bfloat16S1_fEEvT3_20rocsparse_direction_NS_24const_host_device_scalarIT1_EES2_PKS2_PKT2_SB_S8_PKT4_PKT5_S6_PT6_21rocsparse_index_base_b.kd
    .uniform_work_group_size: 1
    .uses_dynamic_stack: false
    .vgpr_count:     45
    .vgpr_spill_count: 0
    .wavefront_size: 64
  - .args:
      - .offset:         0
        .size:           4
        .value_kind:     by_value
      - .offset:         4
        .size:           4
        .value_kind:     by_value
      - .offset:         8
        .size:           8
        .value_kind:     by_value
      - .offset:         16
        .size:           4
        .value_kind:     by_value
      - .actual_access:  read_only
        .address_space:  global
        .offset:         24
        .size:           8
        .value_kind:     global_buffer
      - .actual_access:  read_only
        .address_space:  global
        .offset:         32
        .size:           8
        .value_kind:     global_buffer
      - .actual_access:  read_only
        .address_space:  global
        .offset:         40
        .size:           8
        .value_kind:     global_buffer
      - .actual_access:  read_only
        .address_space:  global
        .offset:         48
        .size:           8
        .value_kind:     global_buffer
      - .actual_access:  read_only
        .address_space:  global
        .offset:         56
        .size:           8
        .value_kind:     global_buffer
      - .actual_access:  read_only
        .address_space:  global
        .offset:         64
        .size:           8
        .value_kind:     global_buffer
      - .offset:         72
        .size:           8
        .value_kind:     by_value
      - .address_space:  global
        .offset:         80
        .size:           8
        .value_kind:     global_buffer
      - .offset:         88
        .size:           4
        .value_kind:     by_value
      - .offset:         92
        .size:           1
        .value_kind:     by_value
    .group_segment_fixed_size: 0
    .kernarg_segment_align: 8
    .kernarg_segment_size: 96
    .language:       OpenCL C
    .language_version:
      - 2
      - 0
    .max_flat_workgroup_size: 128
    .name:           _ZN9rocsparseL18bsrxmvn_4x4_kernelILj128ELj64Efli18rocsparse_bfloat16S1_fEEvT3_20rocsparse_direction_NS_24const_host_device_scalarIT1_EES2_PKS2_PKT2_SB_S8_PKT4_PKT5_S6_PT6_21rocsparse_index_base_b
    .private_segment_fixed_size: 0
    .sgpr_count:     26
    .sgpr_spill_count: 0
    .symbol:         _ZN9rocsparseL18bsrxmvn_4x4_kernelILj128ELj64Efli18rocsparse_bfloat16S1_fEEvT3_20rocsparse_direction_NS_24const_host_device_scalarIT1_EES2_PKS2_PKT2_SB_S8_PKT4_PKT5_S6_PT6_21rocsparse_index_base_b.kd
    .uniform_work_group_size: 1
    .uses_dynamic_stack: false
    .vgpr_count:     45
    .vgpr_spill_count: 0
    .wavefront_size: 64
  - .args:
      - .offset:         0
        .size:           8
        .value_kind:     by_value
      - .offset:         8
        .size:           4
        .value_kind:     by_value
      - .offset:         16
        .size:           8
        .value_kind:     by_value
      - .offset:         24
        .size:           8
        .value_kind:     by_value
      - .actual_access:  read_only
        .address_space:  global
        .offset:         32
        .size:           8
        .value_kind:     global_buffer
      - .actual_access:  read_only
        .address_space:  global
        .offset:         40
        .size:           8
        .value_kind:     global_buffer
      - .actual_access:  read_only
        .address_space:  global
        .offset:         48
        .size:           8
        .value_kind:     global_buffer
      - .actual_access:  read_only
        .address_space:  global
        .offset:         56
        .size:           8
        .value_kind:     global_buffer
      - .actual_access:  read_only
        .address_space:  global
        .offset:         64
        .size:           8
        .value_kind:     global_buffer
      - .actual_access:  read_only
        .address_space:  global
        .offset:         72
        .size:           8
        .value_kind:     global_buffer
      - .offset:         80
        .size:           8
        .value_kind:     by_value
      - .address_space:  global
        .offset:         88
        .size:           8
        .value_kind:     global_buffer
      - .offset:         96
        .size:           4
        .value_kind:     by_value
      - .offset:         100
        .size:           1
        .value_kind:     by_value
    .group_segment_fixed_size: 0
    .kernarg_segment_align: 8
    .kernarg_segment_size: 104
    .language:       OpenCL C
    .language_version:
      - 2
      - 0
    .max_flat_workgroup_size: 128
    .name:           _ZN9rocsparseL18bsrxmvn_4x4_kernelILj128ELj4Efll18rocsparse_bfloat16S1_fEEvT3_20rocsparse_direction_NS_24const_host_device_scalarIT1_EES2_PKS2_PKT2_SB_S8_PKT4_PKT5_S6_PT6_21rocsparse_index_base_b
    .private_segment_fixed_size: 0
    .sgpr_count:     26
    .sgpr_spill_count: 0
    .symbol:         _ZN9rocsparseL18bsrxmvn_4x4_kernelILj128ELj4Efll18rocsparse_bfloat16S1_fEEvT3_20rocsparse_direction_NS_24const_host_device_scalarIT1_EES2_PKS2_PKT2_SB_S8_PKT4_PKT5_S6_PT6_21rocsparse_index_base_b.kd
    .uniform_work_group_size: 1
    .uses_dynamic_stack: false
    .vgpr_count:     48
    .vgpr_spill_count: 0
    .wavefront_size: 64
  - .args:
      - .offset:         0
        .size:           8
        .value_kind:     by_value
      - .offset:         8
        .size:           4
        .value_kind:     by_value
      - .offset:         16
        .size:           8
        .value_kind:     by_value
      - .offset:         24
        .size:           8
        .value_kind:     by_value
      - .actual_access:  read_only
        .address_space:  global
        .offset:         32
        .size:           8
        .value_kind:     global_buffer
      - .actual_access:  read_only
        .address_space:  global
        .offset:         40
        .size:           8
        .value_kind:     global_buffer
      - .actual_access:  read_only
        .address_space:  global
        .offset:         48
        .size:           8
        .value_kind:     global_buffer
      - .actual_access:  read_only
        .address_space:  global
        .offset:         56
        .size:           8
        .value_kind:     global_buffer
      - .actual_access:  read_only
        .address_space:  global
        .offset:         64
        .size:           8
        .value_kind:     global_buffer
      - .actual_access:  read_only
        .address_space:  global
        .offset:         72
        .size:           8
        .value_kind:     global_buffer
      - .offset:         80
        .size:           8
        .value_kind:     by_value
      - .address_space:  global
        .offset:         88
        .size:           8
        .value_kind:     global_buffer
      - .offset:         96
        .size:           4
        .value_kind:     by_value
      - .offset:         100
        .size:           1
        .value_kind:     by_value
    .group_segment_fixed_size: 0
    .kernarg_segment_align: 8
    .kernarg_segment_size: 104
    .language:       OpenCL C
    .language_version:
      - 2
      - 0
    .max_flat_workgroup_size: 128
    .name:           _ZN9rocsparseL18bsrxmvn_4x4_kernelILj128ELj8Efll18rocsparse_bfloat16S1_fEEvT3_20rocsparse_direction_NS_24const_host_device_scalarIT1_EES2_PKS2_PKT2_SB_S8_PKT4_PKT5_S6_PT6_21rocsparse_index_base_b
    .private_segment_fixed_size: 0
    .sgpr_count:     26
    .sgpr_spill_count: 0
    .symbol:         _ZN9rocsparseL18bsrxmvn_4x4_kernelILj128ELj8Efll18rocsparse_bfloat16S1_fEEvT3_20rocsparse_direction_NS_24const_host_device_scalarIT1_EES2_PKS2_PKT2_SB_S8_PKT4_PKT5_S6_PT6_21rocsparse_index_base_b.kd
    .uniform_work_group_size: 1
    .uses_dynamic_stack: false
    .vgpr_count:     48
    .vgpr_spill_count: 0
    .wavefront_size: 64
  - .args:
      - .offset:         0
        .size:           8
        .value_kind:     by_value
      - .offset:         8
        .size:           4
        .value_kind:     by_value
      - .offset:         16
        .size:           8
        .value_kind:     by_value
      - .offset:         24
        .size:           8
        .value_kind:     by_value
      - .actual_access:  read_only
        .address_space:  global
        .offset:         32
        .size:           8
        .value_kind:     global_buffer
      - .actual_access:  read_only
        .address_space:  global
        .offset:         40
        .size:           8
        .value_kind:     global_buffer
      - .actual_access:  read_only
        .address_space:  global
        .offset:         48
        .size:           8
        .value_kind:     global_buffer
      - .actual_access:  read_only
        .address_space:  global
        .offset:         56
        .size:           8
        .value_kind:     global_buffer
      - .actual_access:  read_only
        .address_space:  global
        .offset:         64
        .size:           8
        .value_kind:     global_buffer
      - .actual_access:  read_only
        .address_space:  global
        .offset:         72
        .size:           8
        .value_kind:     global_buffer
      - .offset:         80
        .size:           8
        .value_kind:     by_value
      - .address_space:  global
        .offset:         88
        .size:           8
        .value_kind:     global_buffer
      - .offset:         96
        .size:           4
        .value_kind:     by_value
      - .offset:         100
        .size:           1
        .value_kind:     by_value
    .group_segment_fixed_size: 0
    .kernarg_segment_align: 8
    .kernarg_segment_size: 104
    .language:       OpenCL C
    .language_version:
      - 2
      - 0
    .max_flat_workgroup_size: 128
    .name:           _ZN9rocsparseL18bsrxmvn_4x4_kernelILj128ELj16Efll18rocsparse_bfloat16S1_fEEvT3_20rocsparse_direction_NS_24const_host_device_scalarIT1_EES2_PKS2_PKT2_SB_S8_PKT4_PKT5_S6_PT6_21rocsparse_index_base_b
    .private_segment_fixed_size: 0
    .sgpr_count:     26
    .sgpr_spill_count: 0
    .symbol:         _ZN9rocsparseL18bsrxmvn_4x4_kernelILj128ELj16Efll18rocsparse_bfloat16S1_fEEvT3_20rocsparse_direction_NS_24const_host_device_scalarIT1_EES2_PKS2_PKT2_SB_S8_PKT4_PKT5_S6_PT6_21rocsparse_index_base_b.kd
    .uniform_work_group_size: 1
    .uses_dynamic_stack: false
    .vgpr_count:     48
    .vgpr_spill_count: 0
    .wavefront_size: 64
  - .args:
      - .offset:         0
        .size:           8
        .value_kind:     by_value
      - .offset:         8
        .size:           4
        .value_kind:     by_value
      - .offset:         16
        .size:           8
        .value_kind:     by_value
      - .offset:         24
        .size:           8
        .value_kind:     by_value
      - .actual_access:  read_only
        .address_space:  global
        .offset:         32
        .size:           8
        .value_kind:     global_buffer
      - .actual_access:  read_only
        .address_space:  global
        .offset:         40
        .size:           8
        .value_kind:     global_buffer
      - .actual_access:  read_only
        .address_space:  global
        .offset:         48
        .size:           8
        .value_kind:     global_buffer
      - .actual_access:  read_only
        .address_space:  global
        .offset:         56
        .size:           8
        .value_kind:     global_buffer
      - .actual_access:  read_only
        .address_space:  global
        .offset:         64
        .size:           8
        .value_kind:     global_buffer
      - .actual_access:  read_only
        .address_space:  global
        .offset:         72
        .size:           8
        .value_kind:     global_buffer
      - .offset:         80
        .size:           8
        .value_kind:     by_value
      - .address_space:  global
        .offset:         88
        .size:           8
        .value_kind:     global_buffer
      - .offset:         96
        .size:           4
        .value_kind:     by_value
      - .offset:         100
        .size:           1
        .value_kind:     by_value
    .group_segment_fixed_size: 0
    .kernarg_segment_align: 8
    .kernarg_segment_size: 104
    .language:       OpenCL C
    .language_version:
      - 2
      - 0
    .max_flat_workgroup_size: 128
    .name:           _ZN9rocsparseL18bsrxmvn_4x4_kernelILj128ELj32Efll18rocsparse_bfloat16S1_fEEvT3_20rocsparse_direction_NS_24const_host_device_scalarIT1_EES2_PKS2_PKT2_SB_S8_PKT4_PKT5_S6_PT6_21rocsparse_index_base_b
    .private_segment_fixed_size: 0
    .sgpr_count:     26
    .sgpr_spill_count: 0
    .symbol:         _ZN9rocsparseL18bsrxmvn_4x4_kernelILj128ELj32Efll18rocsparse_bfloat16S1_fEEvT3_20rocsparse_direction_NS_24const_host_device_scalarIT1_EES2_PKS2_PKT2_SB_S8_PKT4_PKT5_S6_PT6_21rocsparse_index_base_b.kd
    .uniform_work_group_size: 1
    .uses_dynamic_stack: false
    .vgpr_count:     48
    .vgpr_spill_count: 0
    .wavefront_size: 64
  - .args:
      - .offset:         0
        .size:           8
        .value_kind:     by_value
      - .offset:         8
        .size:           4
        .value_kind:     by_value
      - .offset:         16
        .size:           8
        .value_kind:     by_value
      - .offset:         24
        .size:           8
        .value_kind:     by_value
      - .actual_access:  read_only
        .address_space:  global
        .offset:         32
        .size:           8
        .value_kind:     global_buffer
      - .actual_access:  read_only
        .address_space:  global
        .offset:         40
        .size:           8
        .value_kind:     global_buffer
      - .actual_access:  read_only
        .address_space:  global
        .offset:         48
        .size:           8
        .value_kind:     global_buffer
      - .actual_access:  read_only
        .address_space:  global
        .offset:         56
        .size:           8
        .value_kind:     global_buffer
      - .actual_access:  read_only
        .address_space:  global
        .offset:         64
        .size:           8
        .value_kind:     global_buffer
      - .actual_access:  read_only
        .address_space:  global
        .offset:         72
        .size:           8
        .value_kind:     global_buffer
      - .offset:         80
        .size:           8
        .value_kind:     by_value
      - .address_space:  global
        .offset:         88
        .size:           8
        .value_kind:     global_buffer
      - .offset:         96
        .size:           4
        .value_kind:     by_value
      - .offset:         100
        .size:           1
        .value_kind:     by_value
    .group_segment_fixed_size: 0
    .kernarg_segment_align: 8
    .kernarg_segment_size: 104
    .language:       OpenCL C
    .language_version:
      - 2
      - 0
    .max_flat_workgroup_size: 128
    .name:           _ZN9rocsparseL18bsrxmvn_4x4_kernelILj128ELj64Efll18rocsparse_bfloat16S1_fEEvT3_20rocsparse_direction_NS_24const_host_device_scalarIT1_EES2_PKS2_PKT2_SB_S8_PKT4_PKT5_S6_PT6_21rocsparse_index_base_b
    .private_segment_fixed_size: 0
    .sgpr_count:     26
    .sgpr_spill_count: 0
    .symbol:         _ZN9rocsparseL18bsrxmvn_4x4_kernelILj128ELj64Efll18rocsparse_bfloat16S1_fEEvT3_20rocsparse_direction_NS_24const_host_device_scalarIT1_EES2_PKS2_PKT2_SB_S8_PKT4_PKT5_S6_PT6_21rocsparse_index_base_b.kd
    .uniform_work_group_size: 1
    .uses_dynamic_stack: false
    .vgpr_count:     48
    .vgpr_spill_count: 0
    .wavefront_size: 64
  - .args:
      - .offset:         0
        .size:           4
        .value_kind:     by_value
      - .offset:         4
        .size:           4
        .value_kind:     by_value
      - .offset:         8
        .size:           8
        .value_kind:     by_value
      - .offset:         16
        .size:           4
        .value_kind:     by_value
      - .actual_access:  read_only
        .address_space:  global
        .offset:         24
        .size:           8
        .value_kind:     global_buffer
      - .actual_access:  read_only
        .address_space:  global
        .offset:         32
        .size:           8
        .value_kind:     global_buffer
      - .actual_access:  read_only
        .address_space:  global
        .offset:         40
        .size:           8
        .value_kind:     global_buffer
      - .actual_access:  read_only
        .address_space:  global
        .offset:         48
        .size:           8
        .value_kind:     global_buffer
      - .actual_access:  read_only
        .address_space:  global
        .offset:         56
        .size:           8
        .value_kind:     global_buffer
      - .actual_access:  read_only
        .address_space:  global
        .offset:         64
        .size:           8
        .value_kind:     global_buffer
      - .offset:         72
        .size:           8
        .value_kind:     by_value
      - .address_space:  global
        .offset:         80
        .size:           8
        .value_kind:     global_buffer
      - .offset:         88
        .size:           4
        .value_kind:     by_value
      - .offset:         92
        .size:           1
        .value_kind:     by_value
    .group_segment_fixed_size: 0
    .kernarg_segment_align: 8
    .kernarg_segment_size: 96
    .language:       OpenCL C
    .language_version:
      - 2
      - 0
    .max_flat_workgroup_size: 128
    .name:           _ZN9rocsparseL18bsrxmvn_4x4_kernelILj128ELj4E21rocsparse_complex_numIfEiifS2_S2_EEvT3_20rocsparse_direction_NS_24const_host_device_scalarIT1_EES3_PKS3_PKT2_SC_S9_PKT4_PKT5_S7_PT6_21rocsparse_index_base_b
    .private_segment_fixed_size: 0
    .sgpr_count:     22
    .sgpr_spill_count: 0
    .symbol:         _ZN9rocsparseL18bsrxmvn_4x4_kernelILj128ELj4E21rocsparse_complex_numIfEiifS2_S2_EEvT3_20rocsparse_direction_NS_24const_host_device_scalarIT1_EES3_PKS3_PKT2_SC_S9_PKT4_PKT5_S7_PT6_21rocsparse_index_base_b.kd
    .uniform_work_group_size: 1
    .uses_dynamic_stack: false
    .vgpr_count:     54
    .vgpr_spill_count: 0
    .wavefront_size: 64
  - .args:
      - .offset:         0
        .size:           4
        .value_kind:     by_value
      - .offset:         4
        .size:           4
        .value_kind:     by_value
      - .offset:         8
        .size:           8
        .value_kind:     by_value
      - .offset:         16
        .size:           4
        .value_kind:     by_value
      - .actual_access:  read_only
        .address_space:  global
        .offset:         24
        .size:           8
        .value_kind:     global_buffer
      - .actual_access:  read_only
        .address_space:  global
        .offset:         32
        .size:           8
        .value_kind:     global_buffer
      - .actual_access:  read_only
        .address_space:  global
        .offset:         40
        .size:           8
        .value_kind:     global_buffer
      - .actual_access:  read_only
        .address_space:  global
        .offset:         48
        .size:           8
        .value_kind:     global_buffer
      - .actual_access:  read_only
        .address_space:  global
        .offset:         56
        .size:           8
        .value_kind:     global_buffer
      - .actual_access:  read_only
        .address_space:  global
        .offset:         64
        .size:           8
        .value_kind:     global_buffer
      - .offset:         72
        .size:           8
        .value_kind:     by_value
      - .address_space:  global
        .offset:         80
        .size:           8
        .value_kind:     global_buffer
      - .offset:         88
        .size:           4
        .value_kind:     by_value
      - .offset:         92
        .size:           1
        .value_kind:     by_value
    .group_segment_fixed_size: 0
    .kernarg_segment_align: 8
    .kernarg_segment_size: 96
    .language:       OpenCL C
    .language_version:
      - 2
      - 0
    .max_flat_workgroup_size: 128
    .name:           _ZN9rocsparseL18bsrxmvn_4x4_kernelILj128ELj8E21rocsparse_complex_numIfEiifS2_S2_EEvT3_20rocsparse_direction_NS_24const_host_device_scalarIT1_EES3_PKS3_PKT2_SC_S9_PKT4_PKT5_S7_PT6_21rocsparse_index_base_b
    .private_segment_fixed_size: 0
    .sgpr_count:     22
    .sgpr_spill_count: 0
    .symbol:         _ZN9rocsparseL18bsrxmvn_4x4_kernelILj128ELj8E21rocsparse_complex_numIfEiifS2_S2_EEvT3_20rocsparse_direction_NS_24const_host_device_scalarIT1_EES3_PKS3_PKT2_SC_S9_PKT4_PKT5_S7_PT6_21rocsparse_index_base_b.kd
    .uniform_work_group_size: 1
    .uses_dynamic_stack: false
    .vgpr_count:     54
    .vgpr_spill_count: 0
    .wavefront_size: 64
  - .args:
      - .offset:         0
        .size:           4
        .value_kind:     by_value
      - .offset:         4
        .size:           4
        .value_kind:     by_value
      - .offset:         8
        .size:           8
        .value_kind:     by_value
      - .offset:         16
        .size:           4
        .value_kind:     by_value
      - .actual_access:  read_only
        .address_space:  global
        .offset:         24
        .size:           8
        .value_kind:     global_buffer
      - .actual_access:  read_only
        .address_space:  global
        .offset:         32
        .size:           8
        .value_kind:     global_buffer
      - .actual_access:  read_only
        .address_space:  global
        .offset:         40
        .size:           8
        .value_kind:     global_buffer
      - .actual_access:  read_only
        .address_space:  global
        .offset:         48
        .size:           8
        .value_kind:     global_buffer
      - .actual_access:  read_only
        .address_space:  global
        .offset:         56
        .size:           8
        .value_kind:     global_buffer
      - .actual_access:  read_only
        .address_space:  global
        .offset:         64
        .size:           8
        .value_kind:     global_buffer
      - .offset:         72
        .size:           8
        .value_kind:     by_value
      - .address_space:  global
        .offset:         80
        .size:           8
        .value_kind:     global_buffer
      - .offset:         88
        .size:           4
        .value_kind:     by_value
      - .offset:         92
        .size:           1
        .value_kind:     by_value
    .group_segment_fixed_size: 0
    .kernarg_segment_align: 8
    .kernarg_segment_size: 96
    .language:       OpenCL C
    .language_version:
      - 2
      - 0
    .max_flat_workgroup_size: 128
    .name:           _ZN9rocsparseL18bsrxmvn_4x4_kernelILj128ELj16E21rocsparse_complex_numIfEiifS2_S2_EEvT3_20rocsparse_direction_NS_24const_host_device_scalarIT1_EES3_PKS3_PKT2_SC_S9_PKT4_PKT5_S7_PT6_21rocsparse_index_base_b
    .private_segment_fixed_size: 0
    .sgpr_count:     22
    .sgpr_spill_count: 0
    .symbol:         _ZN9rocsparseL18bsrxmvn_4x4_kernelILj128ELj16E21rocsparse_complex_numIfEiifS2_S2_EEvT3_20rocsparse_direction_NS_24const_host_device_scalarIT1_EES3_PKS3_PKT2_SC_S9_PKT4_PKT5_S7_PT6_21rocsparse_index_base_b.kd
    .uniform_work_group_size: 1
    .uses_dynamic_stack: false
    .vgpr_count:     54
    .vgpr_spill_count: 0
    .wavefront_size: 64
  - .args:
      - .offset:         0
        .size:           4
        .value_kind:     by_value
      - .offset:         4
        .size:           4
        .value_kind:     by_value
      - .offset:         8
        .size:           8
        .value_kind:     by_value
      - .offset:         16
        .size:           4
        .value_kind:     by_value
      - .actual_access:  read_only
        .address_space:  global
        .offset:         24
        .size:           8
        .value_kind:     global_buffer
      - .actual_access:  read_only
        .address_space:  global
        .offset:         32
        .size:           8
        .value_kind:     global_buffer
      - .actual_access:  read_only
        .address_space:  global
        .offset:         40
        .size:           8
        .value_kind:     global_buffer
      - .actual_access:  read_only
        .address_space:  global
        .offset:         48
        .size:           8
        .value_kind:     global_buffer
      - .actual_access:  read_only
        .address_space:  global
        .offset:         56
        .size:           8
        .value_kind:     global_buffer
      - .actual_access:  read_only
        .address_space:  global
        .offset:         64
        .size:           8
        .value_kind:     global_buffer
      - .offset:         72
        .size:           8
        .value_kind:     by_value
      - .address_space:  global
        .offset:         80
        .size:           8
        .value_kind:     global_buffer
      - .offset:         88
        .size:           4
        .value_kind:     by_value
      - .offset:         92
        .size:           1
        .value_kind:     by_value
    .group_segment_fixed_size: 0
    .kernarg_segment_align: 8
    .kernarg_segment_size: 96
    .language:       OpenCL C
    .language_version:
      - 2
      - 0
    .max_flat_workgroup_size: 128
    .name:           _ZN9rocsparseL18bsrxmvn_4x4_kernelILj128ELj32E21rocsparse_complex_numIfEiifS2_S2_EEvT3_20rocsparse_direction_NS_24const_host_device_scalarIT1_EES3_PKS3_PKT2_SC_S9_PKT4_PKT5_S7_PT6_21rocsparse_index_base_b
    .private_segment_fixed_size: 0
    .sgpr_count:     22
    .sgpr_spill_count: 0
    .symbol:         _ZN9rocsparseL18bsrxmvn_4x4_kernelILj128ELj32E21rocsparse_complex_numIfEiifS2_S2_EEvT3_20rocsparse_direction_NS_24const_host_device_scalarIT1_EES3_PKS3_PKT2_SC_S9_PKT4_PKT5_S7_PT6_21rocsparse_index_base_b.kd
    .uniform_work_group_size: 1
    .uses_dynamic_stack: false
    .vgpr_count:     56
    .vgpr_spill_count: 0
    .wavefront_size: 64
  - .args:
      - .offset:         0
        .size:           4
        .value_kind:     by_value
      - .offset:         4
        .size:           4
        .value_kind:     by_value
      - .offset:         8
        .size:           8
        .value_kind:     by_value
      - .offset:         16
        .size:           4
        .value_kind:     by_value
      - .actual_access:  read_only
        .address_space:  global
        .offset:         24
        .size:           8
        .value_kind:     global_buffer
      - .actual_access:  read_only
        .address_space:  global
        .offset:         32
        .size:           8
        .value_kind:     global_buffer
      - .actual_access:  read_only
        .address_space:  global
        .offset:         40
        .size:           8
        .value_kind:     global_buffer
      - .actual_access:  read_only
        .address_space:  global
        .offset:         48
        .size:           8
        .value_kind:     global_buffer
      - .actual_access:  read_only
        .address_space:  global
        .offset:         56
        .size:           8
        .value_kind:     global_buffer
      - .actual_access:  read_only
        .address_space:  global
        .offset:         64
        .size:           8
        .value_kind:     global_buffer
      - .offset:         72
        .size:           8
        .value_kind:     by_value
      - .address_space:  global
        .offset:         80
        .size:           8
        .value_kind:     global_buffer
      - .offset:         88
        .size:           4
        .value_kind:     by_value
      - .offset:         92
        .size:           1
        .value_kind:     by_value
    .group_segment_fixed_size: 0
    .kernarg_segment_align: 8
    .kernarg_segment_size: 96
    .language:       OpenCL C
    .language_version:
      - 2
      - 0
    .max_flat_workgroup_size: 128
    .name:           _ZN9rocsparseL18bsrxmvn_4x4_kernelILj128ELj64E21rocsparse_complex_numIfEiifS2_S2_EEvT3_20rocsparse_direction_NS_24const_host_device_scalarIT1_EES3_PKS3_PKT2_SC_S9_PKT4_PKT5_S7_PT6_21rocsparse_index_base_b
    .private_segment_fixed_size: 0
    .sgpr_count:     24
    .sgpr_spill_count: 0
    .symbol:         _ZN9rocsparseL18bsrxmvn_4x4_kernelILj128ELj64E21rocsparse_complex_numIfEiifS2_S2_EEvT3_20rocsparse_direction_NS_24const_host_device_scalarIT1_EES3_PKS3_PKT2_SC_S9_PKT4_PKT5_S7_PT6_21rocsparse_index_base_b.kd
    .uniform_work_group_size: 1
    .uses_dynamic_stack: false
    .vgpr_count:     55
    .vgpr_spill_count: 0
    .wavefront_size: 64
  - .args:
      - .offset:         0
        .size:           4
        .value_kind:     by_value
      - .offset:         4
        .size:           4
        .value_kind:     by_value
      - .offset:         8
        .size:           8
        .value_kind:     by_value
      - .offset:         16
        .size:           4
        .value_kind:     by_value
      - .actual_access:  read_only
        .address_space:  global
        .offset:         24
        .size:           8
        .value_kind:     global_buffer
      - .actual_access:  read_only
        .address_space:  global
        .offset:         32
        .size:           8
        .value_kind:     global_buffer
      - .actual_access:  read_only
        .address_space:  global
        .offset:         40
        .size:           8
        .value_kind:     global_buffer
      - .actual_access:  read_only
        .address_space:  global
        .offset:         48
        .size:           8
        .value_kind:     global_buffer
      - .actual_access:  read_only
        .address_space:  global
        .offset:         56
        .size:           8
        .value_kind:     global_buffer
      - .actual_access:  read_only
        .address_space:  global
        .offset:         64
        .size:           8
        .value_kind:     global_buffer
      - .offset:         72
        .size:           8
        .value_kind:     by_value
      - .address_space:  global
        .offset:         80
        .size:           8
        .value_kind:     global_buffer
      - .offset:         88
        .size:           4
        .value_kind:     by_value
      - .offset:         92
        .size:           1
        .value_kind:     by_value
    .group_segment_fixed_size: 0
    .kernarg_segment_align: 8
    .kernarg_segment_size: 96
    .language:       OpenCL C
    .language_version:
      - 2
      - 0
    .max_flat_workgroup_size: 128
    .name:           _ZN9rocsparseL18bsrxmvn_4x4_kernelILj128ELj4E21rocsparse_complex_numIfElifS2_S2_EEvT3_20rocsparse_direction_NS_24const_host_device_scalarIT1_EES3_PKS3_PKT2_SC_S9_PKT4_PKT5_S7_PT6_21rocsparse_index_base_b
    .private_segment_fixed_size: 0
    .sgpr_count:     22
    .sgpr_spill_count: 0
    .symbol:         _ZN9rocsparseL18bsrxmvn_4x4_kernelILj128ELj4E21rocsparse_complex_numIfElifS2_S2_EEvT3_20rocsparse_direction_NS_24const_host_device_scalarIT1_EES3_PKS3_PKT2_SC_S9_PKT4_PKT5_S7_PT6_21rocsparse_index_base_b.kd
    .uniform_work_group_size: 1
    .uses_dynamic_stack: false
    .vgpr_count:     59
    .vgpr_spill_count: 0
    .wavefront_size: 64
  - .args:
      - .offset:         0
        .size:           4
        .value_kind:     by_value
      - .offset:         4
        .size:           4
        .value_kind:     by_value
      - .offset:         8
        .size:           8
        .value_kind:     by_value
      - .offset:         16
        .size:           4
        .value_kind:     by_value
      - .actual_access:  read_only
        .address_space:  global
        .offset:         24
        .size:           8
        .value_kind:     global_buffer
      - .actual_access:  read_only
        .address_space:  global
        .offset:         32
        .size:           8
        .value_kind:     global_buffer
      - .actual_access:  read_only
        .address_space:  global
        .offset:         40
        .size:           8
        .value_kind:     global_buffer
      - .actual_access:  read_only
        .address_space:  global
        .offset:         48
        .size:           8
        .value_kind:     global_buffer
      - .actual_access:  read_only
        .address_space:  global
        .offset:         56
        .size:           8
        .value_kind:     global_buffer
      - .actual_access:  read_only
        .address_space:  global
        .offset:         64
        .size:           8
        .value_kind:     global_buffer
      - .offset:         72
        .size:           8
        .value_kind:     by_value
      - .address_space:  global
        .offset:         80
        .size:           8
        .value_kind:     global_buffer
      - .offset:         88
        .size:           4
        .value_kind:     by_value
      - .offset:         92
        .size:           1
        .value_kind:     by_value
    .group_segment_fixed_size: 0
    .kernarg_segment_align: 8
    .kernarg_segment_size: 96
    .language:       OpenCL C
    .language_version:
      - 2
      - 0
    .max_flat_workgroup_size: 128
    .name:           _ZN9rocsparseL18bsrxmvn_4x4_kernelILj128ELj8E21rocsparse_complex_numIfElifS2_S2_EEvT3_20rocsparse_direction_NS_24const_host_device_scalarIT1_EES3_PKS3_PKT2_SC_S9_PKT4_PKT5_S7_PT6_21rocsparse_index_base_b
    .private_segment_fixed_size: 0
    .sgpr_count:     22
    .sgpr_spill_count: 0
    .symbol:         _ZN9rocsparseL18bsrxmvn_4x4_kernelILj128ELj8E21rocsparse_complex_numIfElifS2_S2_EEvT3_20rocsparse_direction_NS_24const_host_device_scalarIT1_EES3_PKS3_PKT2_SC_S9_PKT4_PKT5_S7_PT6_21rocsparse_index_base_b.kd
    .uniform_work_group_size: 1
    .uses_dynamic_stack: false
    .vgpr_count:     59
    .vgpr_spill_count: 0
    .wavefront_size: 64
  - .args:
      - .offset:         0
        .size:           4
        .value_kind:     by_value
      - .offset:         4
        .size:           4
        .value_kind:     by_value
      - .offset:         8
        .size:           8
        .value_kind:     by_value
      - .offset:         16
        .size:           4
        .value_kind:     by_value
      - .actual_access:  read_only
        .address_space:  global
        .offset:         24
        .size:           8
        .value_kind:     global_buffer
      - .actual_access:  read_only
        .address_space:  global
        .offset:         32
        .size:           8
        .value_kind:     global_buffer
      - .actual_access:  read_only
        .address_space:  global
        .offset:         40
        .size:           8
        .value_kind:     global_buffer
      - .actual_access:  read_only
        .address_space:  global
        .offset:         48
        .size:           8
        .value_kind:     global_buffer
      - .actual_access:  read_only
        .address_space:  global
        .offset:         56
        .size:           8
        .value_kind:     global_buffer
      - .actual_access:  read_only
        .address_space:  global
        .offset:         64
        .size:           8
        .value_kind:     global_buffer
      - .offset:         72
        .size:           8
        .value_kind:     by_value
      - .address_space:  global
        .offset:         80
        .size:           8
        .value_kind:     global_buffer
      - .offset:         88
        .size:           4
        .value_kind:     by_value
      - .offset:         92
        .size:           1
        .value_kind:     by_value
    .group_segment_fixed_size: 0
    .kernarg_segment_align: 8
    .kernarg_segment_size: 96
    .language:       OpenCL C
    .language_version:
      - 2
      - 0
    .max_flat_workgroup_size: 128
    .name:           _ZN9rocsparseL18bsrxmvn_4x4_kernelILj128ELj16E21rocsparse_complex_numIfElifS2_S2_EEvT3_20rocsparse_direction_NS_24const_host_device_scalarIT1_EES3_PKS3_PKT2_SC_S9_PKT4_PKT5_S7_PT6_21rocsparse_index_base_b
    .private_segment_fixed_size: 0
    .sgpr_count:     22
    .sgpr_spill_count: 0
    .symbol:         _ZN9rocsparseL18bsrxmvn_4x4_kernelILj128ELj16E21rocsparse_complex_numIfElifS2_S2_EEvT3_20rocsparse_direction_NS_24const_host_device_scalarIT1_EES3_PKS3_PKT2_SC_S9_PKT4_PKT5_S7_PT6_21rocsparse_index_base_b.kd
    .uniform_work_group_size: 1
    .uses_dynamic_stack: false
    .vgpr_count:     59
    .vgpr_spill_count: 0
    .wavefront_size: 64
  - .args:
      - .offset:         0
        .size:           4
        .value_kind:     by_value
      - .offset:         4
        .size:           4
        .value_kind:     by_value
      - .offset:         8
        .size:           8
        .value_kind:     by_value
      - .offset:         16
        .size:           4
        .value_kind:     by_value
      - .actual_access:  read_only
        .address_space:  global
        .offset:         24
        .size:           8
        .value_kind:     global_buffer
      - .actual_access:  read_only
        .address_space:  global
        .offset:         32
        .size:           8
        .value_kind:     global_buffer
      - .actual_access:  read_only
        .address_space:  global
        .offset:         40
        .size:           8
        .value_kind:     global_buffer
      - .actual_access:  read_only
        .address_space:  global
        .offset:         48
        .size:           8
        .value_kind:     global_buffer
      - .actual_access:  read_only
        .address_space:  global
        .offset:         56
        .size:           8
        .value_kind:     global_buffer
      - .actual_access:  read_only
        .address_space:  global
        .offset:         64
        .size:           8
        .value_kind:     global_buffer
      - .offset:         72
        .size:           8
        .value_kind:     by_value
      - .address_space:  global
        .offset:         80
        .size:           8
        .value_kind:     global_buffer
      - .offset:         88
        .size:           4
        .value_kind:     by_value
      - .offset:         92
        .size:           1
        .value_kind:     by_value
    .group_segment_fixed_size: 0
    .kernarg_segment_align: 8
    .kernarg_segment_size: 96
    .language:       OpenCL C
    .language_version:
      - 2
      - 0
    .max_flat_workgroup_size: 128
    .name:           _ZN9rocsparseL18bsrxmvn_4x4_kernelILj128ELj32E21rocsparse_complex_numIfElifS2_S2_EEvT3_20rocsparse_direction_NS_24const_host_device_scalarIT1_EES3_PKS3_PKT2_SC_S9_PKT4_PKT5_S7_PT6_21rocsparse_index_base_b
    .private_segment_fixed_size: 0
    .sgpr_count:     22
    .sgpr_spill_count: 0
    .symbol:         _ZN9rocsparseL18bsrxmvn_4x4_kernelILj128ELj32E21rocsparse_complex_numIfElifS2_S2_EEvT3_20rocsparse_direction_NS_24const_host_device_scalarIT1_EES3_PKS3_PKT2_SC_S9_PKT4_PKT5_S7_PT6_21rocsparse_index_base_b.kd
    .uniform_work_group_size: 1
    .uses_dynamic_stack: false
    .vgpr_count:     59
    .vgpr_spill_count: 0
    .wavefront_size: 64
  - .args:
      - .offset:         0
        .size:           4
        .value_kind:     by_value
      - .offset:         4
        .size:           4
        .value_kind:     by_value
      - .offset:         8
        .size:           8
        .value_kind:     by_value
      - .offset:         16
        .size:           4
        .value_kind:     by_value
      - .actual_access:  read_only
        .address_space:  global
        .offset:         24
        .size:           8
        .value_kind:     global_buffer
      - .actual_access:  read_only
        .address_space:  global
        .offset:         32
        .size:           8
        .value_kind:     global_buffer
      - .actual_access:  read_only
        .address_space:  global
        .offset:         40
        .size:           8
        .value_kind:     global_buffer
      - .actual_access:  read_only
        .address_space:  global
        .offset:         48
        .size:           8
        .value_kind:     global_buffer
      - .actual_access:  read_only
        .address_space:  global
        .offset:         56
        .size:           8
        .value_kind:     global_buffer
      - .actual_access:  read_only
        .address_space:  global
        .offset:         64
        .size:           8
        .value_kind:     global_buffer
      - .offset:         72
        .size:           8
        .value_kind:     by_value
      - .address_space:  global
        .offset:         80
        .size:           8
        .value_kind:     global_buffer
      - .offset:         88
        .size:           4
        .value_kind:     by_value
      - .offset:         92
        .size:           1
        .value_kind:     by_value
    .group_segment_fixed_size: 0
    .kernarg_segment_align: 8
    .kernarg_segment_size: 96
    .language:       OpenCL C
    .language_version:
      - 2
      - 0
    .max_flat_workgroup_size: 128
    .name:           _ZN9rocsparseL18bsrxmvn_4x4_kernelILj128ELj64E21rocsparse_complex_numIfElifS2_S2_EEvT3_20rocsparse_direction_NS_24const_host_device_scalarIT1_EES3_PKS3_PKT2_SC_S9_PKT4_PKT5_S7_PT6_21rocsparse_index_base_b
    .private_segment_fixed_size: 0
    .sgpr_count:     24
    .sgpr_spill_count: 0
    .symbol:         _ZN9rocsparseL18bsrxmvn_4x4_kernelILj128ELj64E21rocsparse_complex_numIfElifS2_S2_EEvT3_20rocsparse_direction_NS_24const_host_device_scalarIT1_EES3_PKS3_PKT2_SC_S9_PKT4_PKT5_S7_PT6_21rocsparse_index_base_b.kd
    .uniform_work_group_size: 1
    .uses_dynamic_stack: false
    .vgpr_count:     59
    .vgpr_spill_count: 0
    .wavefront_size: 64
  - .args:
      - .offset:         0
        .size:           8
        .value_kind:     by_value
      - .offset:         8
        .size:           4
        .value_kind:     by_value
      - .offset:         16
        .size:           8
        .value_kind:     by_value
      - .offset:         24
        .size:           8
        .value_kind:     by_value
      - .actual_access:  read_only
        .address_space:  global
        .offset:         32
        .size:           8
        .value_kind:     global_buffer
      - .actual_access:  read_only
        .address_space:  global
        .offset:         40
        .size:           8
        .value_kind:     global_buffer
      - .actual_access:  read_only
        .address_space:  global
        .offset:         48
        .size:           8
        .value_kind:     global_buffer
      - .actual_access:  read_only
        .address_space:  global
        .offset:         56
        .size:           8
        .value_kind:     global_buffer
      - .actual_access:  read_only
        .address_space:  global
        .offset:         64
        .size:           8
        .value_kind:     global_buffer
      - .actual_access:  read_only
        .address_space:  global
        .offset:         72
        .size:           8
        .value_kind:     global_buffer
      - .offset:         80
        .size:           8
        .value_kind:     by_value
      - .address_space:  global
        .offset:         88
        .size:           8
        .value_kind:     global_buffer
      - .offset:         96
        .size:           4
        .value_kind:     by_value
      - .offset:         100
        .size:           1
        .value_kind:     by_value
    .group_segment_fixed_size: 0
    .kernarg_segment_align: 8
    .kernarg_segment_size: 104
    .language:       OpenCL C
    .language_version:
      - 2
      - 0
    .max_flat_workgroup_size: 128
    .name:           _ZN9rocsparseL18bsrxmvn_4x4_kernelILj128ELj4E21rocsparse_complex_numIfEllfS2_S2_EEvT3_20rocsparse_direction_NS_24const_host_device_scalarIT1_EES3_PKS3_PKT2_SC_S9_PKT4_PKT5_S7_PT6_21rocsparse_index_base_b
    .private_segment_fixed_size: 0
    .sgpr_count:     21
    .sgpr_spill_count: 0
    .symbol:         _ZN9rocsparseL18bsrxmvn_4x4_kernelILj128ELj4E21rocsparse_complex_numIfEllfS2_S2_EEvT3_20rocsparse_direction_NS_24const_host_device_scalarIT1_EES3_PKS3_PKT2_SC_S9_PKT4_PKT5_S7_PT6_21rocsparse_index_base_b.kd
    .uniform_work_group_size: 1
    .uses_dynamic_stack: false
    .vgpr_count:     62
    .vgpr_spill_count: 0
    .wavefront_size: 64
  - .args:
      - .offset:         0
        .size:           8
        .value_kind:     by_value
      - .offset:         8
        .size:           4
        .value_kind:     by_value
      - .offset:         16
        .size:           8
        .value_kind:     by_value
      - .offset:         24
        .size:           8
        .value_kind:     by_value
      - .actual_access:  read_only
        .address_space:  global
        .offset:         32
        .size:           8
        .value_kind:     global_buffer
      - .actual_access:  read_only
        .address_space:  global
        .offset:         40
        .size:           8
        .value_kind:     global_buffer
      - .actual_access:  read_only
        .address_space:  global
        .offset:         48
        .size:           8
        .value_kind:     global_buffer
      - .actual_access:  read_only
        .address_space:  global
        .offset:         56
        .size:           8
        .value_kind:     global_buffer
      - .actual_access:  read_only
        .address_space:  global
        .offset:         64
        .size:           8
        .value_kind:     global_buffer
      - .actual_access:  read_only
        .address_space:  global
        .offset:         72
        .size:           8
        .value_kind:     global_buffer
      - .offset:         80
        .size:           8
        .value_kind:     by_value
      - .address_space:  global
        .offset:         88
        .size:           8
        .value_kind:     global_buffer
      - .offset:         96
        .size:           4
        .value_kind:     by_value
      - .offset:         100
        .size:           1
        .value_kind:     by_value
    .group_segment_fixed_size: 0
    .kernarg_segment_align: 8
    .kernarg_segment_size: 104
    .language:       OpenCL C
    .language_version:
      - 2
      - 0
    .max_flat_workgroup_size: 128
    .name:           _ZN9rocsparseL18bsrxmvn_4x4_kernelILj128ELj8E21rocsparse_complex_numIfEllfS2_S2_EEvT3_20rocsparse_direction_NS_24const_host_device_scalarIT1_EES3_PKS3_PKT2_SC_S9_PKT4_PKT5_S7_PT6_21rocsparse_index_base_b
    .private_segment_fixed_size: 0
    .sgpr_count:     21
    .sgpr_spill_count: 0
    .symbol:         _ZN9rocsparseL18bsrxmvn_4x4_kernelILj128ELj8E21rocsparse_complex_numIfEllfS2_S2_EEvT3_20rocsparse_direction_NS_24const_host_device_scalarIT1_EES3_PKS3_PKT2_SC_S9_PKT4_PKT5_S7_PT6_21rocsparse_index_base_b.kd
    .uniform_work_group_size: 1
    .uses_dynamic_stack: false
    .vgpr_count:     62
    .vgpr_spill_count: 0
    .wavefront_size: 64
  - .args:
      - .offset:         0
        .size:           8
        .value_kind:     by_value
      - .offset:         8
        .size:           4
        .value_kind:     by_value
      - .offset:         16
        .size:           8
        .value_kind:     by_value
      - .offset:         24
        .size:           8
        .value_kind:     by_value
      - .actual_access:  read_only
        .address_space:  global
        .offset:         32
        .size:           8
        .value_kind:     global_buffer
      - .actual_access:  read_only
        .address_space:  global
        .offset:         40
        .size:           8
        .value_kind:     global_buffer
      - .actual_access:  read_only
        .address_space:  global
        .offset:         48
        .size:           8
        .value_kind:     global_buffer
      - .actual_access:  read_only
        .address_space:  global
        .offset:         56
        .size:           8
        .value_kind:     global_buffer
      - .actual_access:  read_only
        .address_space:  global
        .offset:         64
        .size:           8
        .value_kind:     global_buffer
      - .actual_access:  read_only
        .address_space:  global
        .offset:         72
        .size:           8
        .value_kind:     global_buffer
      - .offset:         80
        .size:           8
        .value_kind:     by_value
      - .address_space:  global
        .offset:         88
        .size:           8
        .value_kind:     global_buffer
      - .offset:         96
        .size:           4
        .value_kind:     by_value
      - .offset:         100
        .size:           1
        .value_kind:     by_value
    .group_segment_fixed_size: 0
    .kernarg_segment_align: 8
    .kernarg_segment_size: 104
    .language:       OpenCL C
    .language_version:
      - 2
      - 0
    .max_flat_workgroup_size: 128
    .name:           _ZN9rocsparseL18bsrxmvn_4x4_kernelILj128ELj16E21rocsparse_complex_numIfEllfS2_S2_EEvT3_20rocsparse_direction_NS_24const_host_device_scalarIT1_EES3_PKS3_PKT2_SC_S9_PKT4_PKT5_S7_PT6_21rocsparse_index_base_b
    .private_segment_fixed_size: 0
    .sgpr_count:     21
    .sgpr_spill_count: 0
    .symbol:         _ZN9rocsparseL18bsrxmvn_4x4_kernelILj128ELj16E21rocsparse_complex_numIfEllfS2_S2_EEvT3_20rocsparse_direction_NS_24const_host_device_scalarIT1_EES3_PKS3_PKT2_SC_S9_PKT4_PKT5_S7_PT6_21rocsparse_index_base_b.kd
    .uniform_work_group_size: 1
    .uses_dynamic_stack: false
    .vgpr_count:     62
    .vgpr_spill_count: 0
    .wavefront_size: 64
  - .args:
      - .offset:         0
        .size:           8
        .value_kind:     by_value
      - .offset:         8
        .size:           4
        .value_kind:     by_value
      - .offset:         16
        .size:           8
        .value_kind:     by_value
      - .offset:         24
        .size:           8
        .value_kind:     by_value
      - .actual_access:  read_only
        .address_space:  global
        .offset:         32
        .size:           8
        .value_kind:     global_buffer
      - .actual_access:  read_only
        .address_space:  global
        .offset:         40
        .size:           8
        .value_kind:     global_buffer
      - .actual_access:  read_only
        .address_space:  global
        .offset:         48
        .size:           8
        .value_kind:     global_buffer
      - .actual_access:  read_only
        .address_space:  global
        .offset:         56
        .size:           8
        .value_kind:     global_buffer
      - .actual_access:  read_only
        .address_space:  global
        .offset:         64
        .size:           8
        .value_kind:     global_buffer
      - .actual_access:  read_only
        .address_space:  global
        .offset:         72
        .size:           8
        .value_kind:     global_buffer
      - .offset:         80
        .size:           8
        .value_kind:     by_value
      - .address_space:  global
        .offset:         88
        .size:           8
        .value_kind:     global_buffer
      - .offset:         96
        .size:           4
        .value_kind:     by_value
      - .offset:         100
        .size:           1
        .value_kind:     by_value
    .group_segment_fixed_size: 0
    .kernarg_segment_align: 8
    .kernarg_segment_size: 104
    .language:       OpenCL C
    .language_version:
      - 2
      - 0
    .max_flat_workgroup_size: 128
    .name:           _ZN9rocsparseL18bsrxmvn_4x4_kernelILj128ELj32E21rocsparse_complex_numIfEllfS2_S2_EEvT3_20rocsparse_direction_NS_24const_host_device_scalarIT1_EES3_PKS3_PKT2_SC_S9_PKT4_PKT5_S7_PT6_21rocsparse_index_base_b
    .private_segment_fixed_size: 0
    .sgpr_count:     21
    .sgpr_spill_count: 0
    .symbol:         _ZN9rocsparseL18bsrxmvn_4x4_kernelILj128ELj32E21rocsparse_complex_numIfEllfS2_S2_EEvT3_20rocsparse_direction_NS_24const_host_device_scalarIT1_EES3_PKS3_PKT2_SC_S9_PKT4_PKT5_S7_PT6_21rocsparse_index_base_b.kd
    .uniform_work_group_size: 1
    .uses_dynamic_stack: false
    .vgpr_count:     62
    .vgpr_spill_count: 0
    .wavefront_size: 64
  - .args:
      - .offset:         0
        .size:           8
        .value_kind:     by_value
      - .offset:         8
        .size:           4
        .value_kind:     by_value
      - .offset:         16
        .size:           8
        .value_kind:     by_value
      - .offset:         24
        .size:           8
        .value_kind:     by_value
      - .actual_access:  read_only
        .address_space:  global
        .offset:         32
        .size:           8
        .value_kind:     global_buffer
      - .actual_access:  read_only
        .address_space:  global
        .offset:         40
        .size:           8
        .value_kind:     global_buffer
      - .actual_access:  read_only
        .address_space:  global
        .offset:         48
        .size:           8
        .value_kind:     global_buffer
      - .actual_access:  read_only
        .address_space:  global
        .offset:         56
        .size:           8
        .value_kind:     global_buffer
      - .actual_access:  read_only
        .address_space:  global
        .offset:         64
        .size:           8
        .value_kind:     global_buffer
      - .actual_access:  read_only
        .address_space:  global
        .offset:         72
        .size:           8
        .value_kind:     global_buffer
      - .offset:         80
        .size:           8
        .value_kind:     by_value
      - .address_space:  global
        .offset:         88
        .size:           8
        .value_kind:     global_buffer
      - .offset:         96
        .size:           4
        .value_kind:     by_value
      - .offset:         100
        .size:           1
        .value_kind:     by_value
    .group_segment_fixed_size: 0
    .kernarg_segment_align: 8
    .kernarg_segment_size: 104
    .language:       OpenCL C
    .language_version:
      - 2
      - 0
    .max_flat_workgroup_size: 128
    .name:           _ZN9rocsparseL18bsrxmvn_4x4_kernelILj128ELj64E21rocsparse_complex_numIfEllfS2_S2_EEvT3_20rocsparse_direction_NS_24const_host_device_scalarIT1_EES3_PKS3_PKT2_SC_S9_PKT4_PKT5_S7_PT6_21rocsparse_index_base_b
    .private_segment_fixed_size: 0
    .sgpr_count:     23
    .sgpr_spill_count: 0
    .symbol:         _ZN9rocsparseL18bsrxmvn_4x4_kernelILj128ELj64E21rocsparse_complex_numIfEllfS2_S2_EEvT3_20rocsparse_direction_NS_24const_host_device_scalarIT1_EES3_PKS3_PKT2_SC_S9_PKT4_PKT5_S7_PT6_21rocsparse_index_base_b.kd
    .uniform_work_group_size: 1
    .uses_dynamic_stack: false
    .vgpr_count:     62
    .vgpr_spill_count: 0
    .wavefront_size: 64
  - .args:
      - .offset:         0
        .size:           4
        .value_kind:     by_value
      - .offset:         4
        .size:           4
        .value_kind:     by_value
      - .offset:         8
        .size:           16
        .value_kind:     by_value
      - .offset:         24
        .size:           4
        .value_kind:     by_value
      - .actual_access:  read_only
        .address_space:  global
        .offset:         32
        .size:           8
        .value_kind:     global_buffer
      - .actual_access:  read_only
        .address_space:  global
        .offset:         40
        .size:           8
        .value_kind:     global_buffer
      - .actual_access:  read_only
        .address_space:  global
        .offset:         48
        .size:           8
        .value_kind:     global_buffer
      - .actual_access:  read_only
        .address_space:  global
        .offset:         56
        .size:           8
        .value_kind:     global_buffer
      - .actual_access:  read_only
        .address_space:  global
        .offset:         64
        .size:           8
        .value_kind:     global_buffer
      - .actual_access:  read_only
        .address_space:  global
        .offset:         72
        .size:           8
        .value_kind:     global_buffer
      - .offset:         80
        .size:           16
        .value_kind:     by_value
      - .address_space:  global
        .offset:         96
        .size:           8
        .value_kind:     global_buffer
      - .offset:         104
        .size:           4
        .value_kind:     by_value
      - .offset:         108
        .size:           1
        .value_kind:     by_value
    .group_segment_fixed_size: 0
    .kernarg_segment_align: 8
    .kernarg_segment_size: 112
    .language:       OpenCL C
    .language_version:
      - 2
      - 0
    .max_flat_workgroup_size: 128
    .name:           _ZN9rocsparseL18bsrxmvn_4x4_kernelILj128ELj4E21rocsparse_complex_numIdEiidS2_S2_EEvT3_20rocsparse_direction_NS_24const_host_device_scalarIT1_EES3_PKS3_PKT2_SC_S9_PKT4_PKT5_S7_PT6_21rocsparse_index_base_b
    .private_segment_fixed_size: 0
    .sgpr_count:     24
    .sgpr_spill_count: 0
    .symbol:         _ZN9rocsparseL18bsrxmvn_4x4_kernelILj128ELj4E21rocsparse_complex_numIdEiidS2_S2_EEvT3_20rocsparse_direction_NS_24const_host_device_scalarIT1_EES3_PKS3_PKT2_SC_S9_PKT4_PKT5_S7_PT6_21rocsparse_index_base_b.kd
    .uniform_work_group_size: 1
    .uses_dynamic_stack: false
    .vgpr_count:     85
    .vgpr_spill_count: 0
    .wavefront_size: 64
  - .args:
      - .offset:         0
        .size:           4
        .value_kind:     by_value
      - .offset:         4
        .size:           4
        .value_kind:     by_value
      - .offset:         8
        .size:           16
        .value_kind:     by_value
      - .offset:         24
        .size:           4
        .value_kind:     by_value
      - .actual_access:  read_only
        .address_space:  global
        .offset:         32
        .size:           8
        .value_kind:     global_buffer
      - .actual_access:  read_only
        .address_space:  global
        .offset:         40
        .size:           8
        .value_kind:     global_buffer
      - .actual_access:  read_only
        .address_space:  global
        .offset:         48
        .size:           8
        .value_kind:     global_buffer
      - .actual_access:  read_only
        .address_space:  global
        .offset:         56
        .size:           8
        .value_kind:     global_buffer
      - .actual_access:  read_only
        .address_space:  global
        .offset:         64
        .size:           8
        .value_kind:     global_buffer
      - .actual_access:  read_only
        .address_space:  global
        .offset:         72
        .size:           8
        .value_kind:     global_buffer
      - .offset:         80
        .size:           16
        .value_kind:     by_value
      - .address_space:  global
        .offset:         96
        .size:           8
        .value_kind:     global_buffer
      - .offset:         104
        .size:           4
        .value_kind:     by_value
      - .offset:         108
        .size:           1
        .value_kind:     by_value
    .group_segment_fixed_size: 0
    .kernarg_segment_align: 8
    .kernarg_segment_size: 112
    .language:       OpenCL C
    .language_version:
      - 2
      - 0
    .max_flat_workgroup_size: 128
    .name:           _ZN9rocsparseL18bsrxmvn_4x4_kernelILj128ELj8E21rocsparse_complex_numIdEiidS2_S2_EEvT3_20rocsparse_direction_NS_24const_host_device_scalarIT1_EES3_PKS3_PKT2_SC_S9_PKT4_PKT5_S7_PT6_21rocsparse_index_base_b
    .private_segment_fixed_size: 0
    .sgpr_count:     24
    .sgpr_spill_count: 0
    .symbol:         _ZN9rocsparseL18bsrxmvn_4x4_kernelILj128ELj8E21rocsparse_complex_numIdEiidS2_S2_EEvT3_20rocsparse_direction_NS_24const_host_device_scalarIT1_EES3_PKS3_PKT2_SC_S9_PKT4_PKT5_S7_PT6_21rocsparse_index_base_b.kd
    .uniform_work_group_size: 1
    .uses_dynamic_stack: false
    .vgpr_count:     85
    .vgpr_spill_count: 0
    .wavefront_size: 64
  - .args:
      - .offset:         0
        .size:           4
        .value_kind:     by_value
      - .offset:         4
        .size:           4
        .value_kind:     by_value
      - .offset:         8
        .size:           16
        .value_kind:     by_value
      - .offset:         24
        .size:           4
        .value_kind:     by_value
      - .actual_access:  read_only
        .address_space:  global
        .offset:         32
        .size:           8
        .value_kind:     global_buffer
      - .actual_access:  read_only
        .address_space:  global
        .offset:         40
        .size:           8
        .value_kind:     global_buffer
      - .actual_access:  read_only
        .address_space:  global
        .offset:         48
        .size:           8
        .value_kind:     global_buffer
      - .actual_access:  read_only
        .address_space:  global
        .offset:         56
        .size:           8
        .value_kind:     global_buffer
      - .actual_access:  read_only
        .address_space:  global
        .offset:         64
        .size:           8
        .value_kind:     global_buffer
      - .actual_access:  read_only
        .address_space:  global
        .offset:         72
        .size:           8
        .value_kind:     global_buffer
      - .offset:         80
        .size:           16
        .value_kind:     by_value
      - .address_space:  global
        .offset:         96
        .size:           8
        .value_kind:     global_buffer
      - .offset:         104
        .size:           4
        .value_kind:     by_value
      - .offset:         108
        .size:           1
        .value_kind:     by_value
    .group_segment_fixed_size: 0
    .kernarg_segment_align: 8
    .kernarg_segment_size: 112
    .language:       OpenCL C
    .language_version:
      - 2
      - 0
    .max_flat_workgroup_size: 128
    .name:           _ZN9rocsparseL18bsrxmvn_4x4_kernelILj128ELj16E21rocsparse_complex_numIdEiidS2_S2_EEvT3_20rocsparse_direction_NS_24const_host_device_scalarIT1_EES3_PKS3_PKT2_SC_S9_PKT4_PKT5_S7_PT6_21rocsparse_index_base_b
    .private_segment_fixed_size: 0
    .sgpr_count:     24
    .sgpr_spill_count: 0
    .symbol:         _ZN9rocsparseL18bsrxmvn_4x4_kernelILj128ELj16E21rocsparse_complex_numIdEiidS2_S2_EEvT3_20rocsparse_direction_NS_24const_host_device_scalarIT1_EES3_PKS3_PKT2_SC_S9_PKT4_PKT5_S7_PT6_21rocsparse_index_base_b.kd
    .uniform_work_group_size: 1
    .uses_dynamic_stack: false
    .vgpr_count:     85
    .vgpr_spill_count: 0
    .wavefront_size: 64
  - .args:
      - .offset:         0
        .size:           4
        .value_kind:     by_value
      - .offset:         4
        .size:           4
        .value_kind:     by_value
      - .offset:         8
        .size:           16
        .value_kind:     by_value
      - .offset:         24
        .size:           4
        .value_kind:     by_value
      - .actual_access:  read_only
        .address_space:  global
        .offset:         32
        .size:           8
        .value_kind:     global_buffer
      - .actual_access:  read_only
        .address_space:  global
        .offset:         40
        .size:           8
        .value_kind:     global_buffer
      - .actual_access:  read_only
        .address_space:  global
        .offset:         48
        .size:           8
        .value_kind:     global_buffer
      - .actual_access:  read_only
        .address_space:  global
        .offset:         56
        .size:           8
        .value_kind:     global_buffer
      - .actual_access:  read_only
        .address_space:  global
        .offset:         64
        .size:           8
        .value_kind:     global_buffer
      - .actual_access:  read_only
        .address_space:  global
        .offset:         72
        .size:           8
        .value_kind:     global_buffer
      - .offset:         80
        .size:           16
        .value_kind:     by_value
      - .address_space:  global
        .offset:         96
        .size:           8
        .value_kind:     global_buffer
      - .offset:         104
        .size:           4
        .value_kind:     by_value
      - .offset:         108
        .size:           1
        .value_kind:     by_value
    .group_segment_fixed_size: 0
    .kernarg_segment_align: 8
    .kernarg_segment_size: 112
    .language:       OpenCL C
    .language_version:
      - 2
      - 0
    .max_flat_workgroup_size: 128
    .name:           _ZN9rocsparseL18bsrxmvn_4x4_kernelILj128ELj32E21rocsparse_complex_numIdEiidS2_S2_EEvT3_20rocsparse_direction_NS_24const_host_device_scalarIT1_EES3_PKS3_PKT2_SC_S9_PKT4_PKT5_S7_PT6_21rocsparse_index_base_b
    .private_segment_fixed_size: 0
    .sgpr_count:     26
    .sgpr_spill_count: 0
    .symbol:         _ZN9rocsparseL18bsrxmvn_4x4_kernelILj128ELj32E21rocsparse_complex_numIdEiidS2_S2_EEvT3_20rocsparse_direction_NS_24const_host_device_scalarIT1_EES3_PKS3_PKT2_SC_S9_PKT4_PKT5_S7_PT6_21rocsparse_index_base_b.kd
    .uniform_work_group_size: 1
    .uses_dynamic_stack: false
    .vgpr_count:     85
    .vgpr_spill_count: 0
    .wavefront_size: 64
  - .args:
      - .offset:         0
        .size:           4
        .value_kind:     by_value
      - .offset:         4
        .size:           4
        .value_kind:     by_value
      - .offset:         8
        .size:           16
        .value_kind:     by_value
      - .offset:         24
        .size:           4
        .value_kind:     by_value
      - .actual_access:  read_only
        .address_space:  global
        .offset:         32
        .size:           8
        .value_kind:     global_buffer
      - .actual_access:  read_only
        .address_space:  global
        .offset:         40
        .size:           8
        .value_kind:     global_buffer
      - .actual_access:  read_only
        .address_space:  global
        .offset:         48
        .size:           8
        .value_kind:     global_buffer
      - .actual_access:  read_only
        .address_space:  global
        .offset:         56
        .size:           8
        .value_kind:     global_buffer
      - .actual_access:  read_only
        .address_space:  global
        .offset:         64
        .size:           8
        .value_kind:     global_buffer
      - .actual_access:  read_only
        .address_space:  global
        .offset:         72
        .size:           8
        .value_kind:     global_buffer
      - .offset:         80
        .size:           16
        .value_kind:     by_value
      - .address_space:  global
        .offset:         96
        .size:           8
        .value_kind:     global_buffer
      - .offset:         104
        .size:           4
        .value_kind:     by_value
      - .offset:         108
        .size:           1
        .value_kind:     by_value
    .group_segment_fixed_size: 0
    .kernarg_segment_align: 8
    .kernarg_segment_size: 112
    .language:       OpenCL C
    .language_version:
      - 2
      - 0
    .max_flat_workgroup_size: 128
    .name:           _ZN9rocsparseL18bsrxmvn_4x4_kernelILj128ELj64E21rocsparse_complex_numIdEiidS2_S2_EEvT3_20rocsparse_direction_NS_24const_host_device_scalarIT1_EES3_PKS3_PKT2_SC_S9_PKT4_PKT5_S7_PT6_21rocsparse_index_base_b
    .private_segment_fixed_size: 0
    .sgpr_count:     26
    .sgpr_spill_count: 0
    .symbol:         _ZN9rocsparseL18bsrxmvn_4x4_kernelILj128ELj64E21rocsparse_complex_numIdEiidS2_S2_EEvT3_20rocsparse_direction_NS_24const_host_device_scalarIT1_EES3_PKS3_PKT2_SC_S9_PKT4_PKT5_S7_PT6_21rocsparse_index_base_b.kd
    .uniform_work_group_size: 1
    .uses_dynamic_stack: false
    .vgpr_count:     87
    .vgpr_spill_count: 0
    .wavefront_size: 64
  - .args:
      - .offset:         0
        .size:           4
        .value_kind:     by_value
      - .offset:         4
        .size:           4
        .value_kind:     by_value
      - .offset:         8
        .size:           16
        .value_kind:     by_value
      - .offset:         24
        .size:           4
        .value_kind:     by_value
      - .actual_access:  read_only
        .address_space:  global
        .offset:         32
        .size:           8
        .value_kind:     global_buffer
      - .actual_access:  read_only
        .address_space:  global
        .offset:         40
        .size:           8
        .value_kind:     global_buffer
      - .actual_access:  read_only
        .address_space:  global
        .offset:         48
        .size:           8
        .value_kind:     global_buffer
      - .actual_access:  read_only
        .address_space:  global
        .offset:         56
        .size:           8
        .value_kind:     global_buffer
      - .actual_access:  read_only
        .address_space:  global
        .offset:         64
        .size:           8
        .value_kind:     global_buffer
      - .actual_access:  read_only
        .address_space:  global
        .offset:         72
        .size:           8
        .value_kind:     global_buffer
      - .offset:         80
        .size:           16
        .value_kind:     by_value
      - .address_space:  global
        .offset:         96
        .size:           8
        .value_kind:     global_buffer
      - .offset:         104
        .size:           4
        .value_kind:     by_value
      - .offset:         108
        .size:           1
        .value_kind:     by_value
    .group_segment_fixed_size: 0
    .kernarg_segment_align: 8
    .kernarg_segment_size: 112
    .language:       OpenCL C
    .language_version:
      - 2
      - 0
    .max_flat_workgroup_size: 128
    .name:           _ZN9rocsparseL18bsrxmvn_4x4_kernelILj128ELj4E21rocsparse_complex_numIdElidS2_S2_EEvT3_20rocsparse_direction_NS_24const_host_device_scalarIT1_EES3_PKS3_PKT2_SC_S9_PKT4_PKT5_S7_PT6_21rocsparse_index_base_b
    .private_segment_fixed_size: 0
    .sgpr_count:     28
    .sgpr_spill_count: 0
    .symbol:         _ZN9rocsparseL18bsrxmvn_4x4_kernelILj128ELj4E21rocsparse_complex_numIdElidS2_S2_EEvT3_20rocsparse_direction_NS_24const_host_device_scalarIT1_EES3_PKS3_PKT2_SC_S9_PKT4_PKT5_S7_PT6_21rocsparse_index_base_b.kd
    .uniform_work_group_size: 1
    .uses_dynamic_stack: false
    .vgpr_count:     85
    .vgpr_spill_count: 0
    .wavefront_size: 64
  - .args:
      - .offset:         0
        .size:           4
        .value_kind:     by_value
      - .offset:         4
        .size:           4
        .value_kind:     by_value
      - .offset:         8
        .size:           16
        .value_kind:     by_value
      - .offset:         24
        .size:           4
        .value_kind:     by_value
      - .actual_access:  read_only
        .address_space:  global
        .offset:         32
        .size:           8
        .value_kind:     global_buffer
      - .actual_access:  read_only
        .address_space:  global
        .offset:         40
        .size:           8
        .value_kind:     global_buffer
      - .actual_access:  read_only
        .address_space:  global
        .offset:         48
        .size:           8
        .value_kind:     global_buffer
      - .actual_access:  read_only
        .address_space:  global
        .offset:         56
        .size:           8
        .value_kind:     global_buffer
      - .actual_access:  read_only
        .address_space:  global
        .offset:         64
        .size:           8
        .value_kind:     global_buffer
      - .actual_access:  read_only
        .address_space:  global
        .offset:         72
        .size:           8
        .value_kind:     global_buffer
      - .offset:         80
        .size:           16
        .value_kind:     by_value
      - .address_space:  global
        .offset:         96
        .size:           8
        .value_kind:     global_buffer
      - .offset:         104
        .size:           4
        .value_kind:     by_value
      - .offset:         108
        .size:           1
        .value_kind:     by_value
    .group_segment_fixed_size: 0
    .kernarg_segment_align: 8
    .kernarg_segment_size: 112
    .language:       OpenCL C
    .language_version:
      - 2
      - 0
    .max_flat_workgroup_size: 128
    .name:           _ZN9rocsparseL18bsrxmvn_4x4_kernelILj128ELj8E21rocsparse_complex_numIdElidS2_S2_EEvT3_20rocsparse_direction_NS_24const_host_device_scalarIT1_EES3_PKS3_PKT2_SC_S9_PKT4_PKT5_S7_PT6_21rocsparse_index_base_b
    .private_segment_fixed_size: 0
    .sgpr_count:     28
    .sgpr_spill_count: 0
    .symbol:         _ZN9rocsparseL18bsrxmvn_4x4_kernelILj128ELj8E21rocsparse_complex_numIdElidS2_S2_EEvT3_20rocsparse_direction_NS_24const_host_device_scalarIT1_EES3_PKS3_PKT2_SC_S9_PKT4_PKT5_S7_PT6_21rocsparse_index_base_b.kd
    .uniform_work_group_size: 1
    .uses_dynamic_stack: false
    .vgpr_count:     85
    .vgpr_spill_count: 0
    .wavefront_size: 64
  - .args:
      - .offset:         0
        .size:           4
        .value_kind:     by_value
      - .offset:         4
        .size:           4
        .value_kind:     by_value
      - .offset:         8
        .size:           16
        .value_kind:     by_value
      - .offset:         24
        .size:           4
        .value_kind:     by_value
      - .actual_access:  read_only
        .address_space:  global
        .offset:         32
        .size:           8
        .value_kind:     global_buffer
      - .actual_access:  read_only
        .address_space:  global
        .offset:         40
        .size:           8
        .value_kind:     global_buffer
      - .actual_access:  read_only
        .address_space:  global
        .offset:         48
        .size:           8
        .value_kind:     global_buffer
      - .actual_access:  read_only
        .address_space:  global
        .offset:         56
        .size:           8
        .value_kind:     global_buffer
      - .actual_access:  read_only
        .address_space:  global
        .offset:         64
        .size:           8
        .value_kind:     global_buffer
      - .actual_access:  read_only
        .address_space:  global
        .offset:         72
        .size:           8
        .value_kind:     global_buffer
      - .offset:         80
        .size:           16
        .value_kind:     by_value
      - .address_space:  global
        .offset:         96
        .size:           8
        .value_kind:     global_buffer
      - .offset:         104
        .size:           4
        .value_kind:     by_value
      - .offset:         108
        .size:           1
        .value_kind:     by_value
    .group_segment_fixed_size: 0
    .kernarg_segment_align: 8
    .kernarg_segment_size: 112
    .language:       OpenCL C
    .language_version:
      - 2
      - 0
    .max_flat_workgroup_size: 128
    .name:           _ZN9rocsparseL18bsrxmvn_4x4_kernelILj128ELj16E21rocsparse_complex_numIdElidS2_S2_EEvT3_20rocsparse_direction_NS_24const_host_device_scalarIT1_EES3_PKS3_PKT2_SC_S9_PKT4_PKT5_S7_PT6_21rocsparse_index_base_b
    .private_segment_fixed_size: 0
    .sgpr_count:     28
    .sgpr_spill_count: 0
    .symbol:         _ZN9rocsparseL18bsrxmvn_4x4_kernelILj128ELj16E21rocsparse_complex_numIdElidS2_S2_EEvT3_20rocsparse_direction_NS_24const_host_device_scalarIT1_EES3_PKS3_PKT2_SC_S9_PKT4_PKT5_S7_PT6_21rocsparse_index_base_b.kd
    .uniform_work_group_size: 1
    .uses_dynamic_stack: false
    .vgpr_count:     85
    .vgpr_spill_count: 0
    .wavefront_size: 64
  - .args:
      - .offset:         0
        .size:           4
        .value_kind:     by_value
      - .offset:         4
        .size:           4
        .value_kind:     by_value
      - .offset:         8
        .size:           16
        .value_kind:     by_value
      - .offset:         24
        .size:           4
        .value_kind:     by_value
      - .actual_access:  read_only
        .address_space:  global
        .offset:         32
        .size:           8
        .value_kind:     global_buffer
      - .actual_access:  read_only
        .address_space:  global
        .offset:         40
        .size:           8
        .value_kind:     global_buffer
      - .actual_access:  read_only
        .address_space:  global
        .offset:         48
        .size:           8
        .value_kind:     global_buffer
      - .actual_access:  read_only
        .address_space:  global
        .offset:         56
        .size:           8
        .value_kind:     global_buffer
      - .actual_access:  read_only
        .address_space:  global
        .offset:         64
        .size:           8
        .value_kind:     global_buffer
      - .actual_access:  read_only
        .address_space:  global
        .offset:         72
        .size:           8
        .value_kind:     global_buffer
      - .offset:         80
        .size:           16
        .value_kind:     by_value
      - .address_space:  global
        .offset:         96
        .size:           8
        .value_kind:     global_buffer
      - .offset:         104
        .size:           4
        .value_kind:     by_value
      - .offset:         108
        .size:           1
        .value_kind:     by_value
    .group_segment_fixed_size: 0
    .kernarg_segment_align: 8
    .kernarg_segment_size: 112
    .language:       OpenCL C
    .language_version:
      - 2
      - 0
    .max_flat_workgroup_size: 128
    .name:           _ZN9rocsparseL18bsrxmvn_4x4_kernelILj128ELj32E21rocsparse_complex_numIdElidS2_S2_EEvT3_20rocsparse_direction_NS_24const_host_device_scalarIT1_EES3_PKS3_PKT2_SC_S9_PKT4_PKT5_S7_PT6_21rocsparse_index_base_b
    .private_segment_fixed_size: 0
    .sgpr_count:     26
    .sgpr_spill_count: 0
    .symbol:         _ZN9rocsparseL18bsrxmvn_4x4_kernelILj128ELj32E21rocsparse_complex_numIdElidS2_S2_EEvT3_20rocsparse_direction_NS_24const_host_device_scalarIT1_EES3_PKS3_PKT2_SC_S9_PKT4_PKT5_S7_PT6_21rocsparse_index_base_b.kd
    .uniform_work_group_size: 1
    .uses_dynamic_stack: false
    .vgpr_count:     89
    .vgpr_spill_count: 0
    .wavefront_size: 64
  - .args:
      - .offset:         0
        .size:           4
        .value_kind:     by_value
      - .offset:         4
        .size:           4
        .value_kind:     by_value
      - .offset:         8
        .size:           16
        .value_kind:     by_value
      - .offset:         24
        .size:           4
        .value_kind:     by_value
      - .actual_access:  read_only
        .address_space:  global
        .offset:         32
        .size:           8
        .value_kind:     global_buffer
      - .actual_access:  read_only
        .address_space:  global
        .offset:         40
        .size:           8
        .value_kind:     global_buffer
      - .actual_access:  read_only
        .address_space:  global
        .offset:         48
        .size:           8
        .value_kind:     global_buffer
      - .actual_access:  read_only
        .address_space:  global
        .offset:         56
        .size:           8
        .value_kind:     global_buffer
      - .actual_access:  read_only
        .address_space:  global
        .offset:         64
        .size:           8
        .value_kind:     global_buffer
      - .actual_access:  read_only
        .address_space:  global
        .offset:         72
        .size:           8
        .value_kind:     global_buffer
      - .offset:         80
        .size:           16
        .value_kind:     by_value
      - .address_space:  global
        .offset:         96
        .size:           8
        .value_kind:     global_buffer
      - .offset:         104
        .size:           4
        .value_kind:     by_value
      - .offset:         108
        .size:           1
        .value_kind:     by_value
    .group_segment_fixed_size: 0
    .kernarg_segment_align: 8
    .kernarg_segment_size: 112
    .language:       OpenCL C
    .language_version:
      - 2
      - 0
    .max_flat_workgroup_size: 128
    .name:           _ZN9rocsparseL18bsrxmvn_4x4_kernelILj128ELj64E21rocsparse_complex_numIdElidS2_S2_EEvT3_20rocsparse_direction_NS_24const_host_device_scalarIT1_EES3_PKS3_PKT2_SC_S9_PKT4_PKT5_S7_PT6_21rocsparse_index_base_b
    .private_segment_fixed_size: 0
    .sgpr_count:     26
    .sgpr_spill_count: 0
    .symbol:         _ZN9rocsparseL18bsrxmvn_4x4_kernelILj128ELj64E21rocsparse_complex_numIdElidS2_S2_EEvT3_20rocsparse_direction_NS_24const_host_device_scalarIT1_EES3_PKS3_PKT2_SC_S9_PKT4_PKT5_S7_PT6_21rocsparse_index_base_b.kd
    .uniform_work_group_size: 1
    .uses_dynamic_stack: false
    .vgpr_count:     85
    .vgpr_spill_count: 0
    .wavefront_size: 64
  - .args:
      - .offset:         0
        .size:           8
        .value_kind:     by_value
      - .offset:         8
        .size:           4
        .value_kind:     by_value
      - .offset:         16
        .size:           16
        .value_kind:     by_value
      - .offset:         32
        .size:           8
        .value_kind:     by_value
      - .actual_access:  read_only
        .address_space:  global
        .offset:         40
        .size:           8
        .value_kind:     global_buffer
      - .actual_access:  read_only
        .address_space:  global
        .offset:         48
        .size:           8
        .value_kind:     global_buffer
      - .actual_access:  read_only
        .address_space:  global
        .offset:         56
        .size:           8
        .value_kind:     global_buffer
      - .actual_access:  read_only
        .address_space:  global
        .offset:         64
        .size:           8
        .value_kind:     global_buffer
      - .actual_access:  read_only
        .address_space:  global
        .offset:         72
        .size:           8
        .value_kind:     global_buffer
      - .actual_access:  read_only
        .address_space:  global
        .offset:         80
        .size:           8
        .value_kind:     global_buffer
      - .offset:         88
        .size:           16
        .value_kind:     by_value
      - .address_space:  global
        .offset:         104
        .size:           8
        .value_kind:     global_buffer
      - .offset:         112
        .size:           4
        .value_kind:     by_value
      - .offset:         116
        .size:           1
        .value_kind:     by_value
    .group_segment_fixed_size: 0
    .kernarg_segment_align: 8
    .kernarg_segment_size: 120
    .language:       OpenCL C
    .language_version:
      - 2
      - 0
    .max_flat_workgroup_size: 128
    .name:           _ZN9rocsparseL18bsrxmvn_4x4_kernelILj128ELj4E21rocsparse_complex_numIdElldS2_S2_EEvT3_20rocsparse_direction_NS_24const_host_device_scalarIT1_EES3_PKS3_PKT2_SC_S9_PKT4_PKT5_S7_PT6_21rocsparse_index_base_b
    .private_segment_fixed_size: 0
    .sgpr_count:     27
    .sgpr_spill_count: 0
    .symbol:         _ZN9rocsparseL18bsrxmvn_4x4_kernelILj128ELj4E21rocsparse_complex_numIdElldS2_S2_EEvT3_20rocsparse_direction_NS_24const_host_device_scalarIT1_EES3_PKS3_PKT2_SC_S9_PKT4_PKT5_S7_PT6_21rocsparse_index_base_b.kd
    .uniform_work_group_size: 1
    .uses_dynamic_stack: false
    .vgpr_count:     88
    .vgpr_spill_count: 0
    .wavefront_size: 64
  - .args:
      - .offset:         0
        .size:           8
        .value_kind:     by_value
      - .offset:         8
        .size:           4
        .value_kind:     by_value
      - .offset:         16
        .size:           16
        .value_kind:     by_value
      - .offset:         32
        .size:           8
        .value_kind:     by_value
      - .actual_access:  read_only
        .address_space:  global
        .offset:         40
        .size:           8
        .value_kind:     global_buffer
      - .actual_access:  read_only
        .address_space:  global
        .offset:         48
        .size:           8
        .value_kind:     global_buffer
      - .actual_access:  read_only
        .address_space:  global
        .offset:         56
        .size:           8
        .value_kind:     global_buffer
      - .actual_access:  read_only
        .address_space:  global
        .offset:         64
        .size:           8
        .value_kind:     global_buffer
      - .actual_access:  read_only
        .address_space:  global
        .offset:         72
        .size:           8
        .value_kind:     global_buffer
      - .actual_access:  read_only
        .address_space:  global
        .offset:         80
        .size:           8
        .value_kind:     global_buffer
      - .offset:         88
        .size:           16
        .value_kind:     by_value
      - .address_space:  global
        .offset:         104
        .size:           8
        .value_kind:     global_buffer
      - .offset:         112
        .size:           4
        .value_kind:     by_value
      - .offset:         116
        .size:           1
        .value_kind:     by_value
    .group_segment_fixed_size: 0
    .kernarg_segment_align: 8
    .kernarg_segment_size: 120
    .language:       OpenCL C
    .language_version:
      - 2
      - 0
    .max_flat_workgroup_size: 128
    .name:           _ZN9rocsparseL18bsrxmvn_4x4_kernelILj128ELj8E21rocsparse_complex_numIdElldS2_S2_EEvT3_20rocsparse_direction_NS_24const_host_device_scalarIT1_EES3_PKS3_PKT2_SC_S9_PKT4_PKT5_S7_PT6_21rocsparse_index_base_b
    .private_segment_fixed_size: 0
    .sgpr_count:     27
    .sgpr_spill_count: 0
    .symbol:         _ZN9rocsparseL18bsrxmvn_4x4_kernelILj128ELj8E21rocsparse_complex_numIdElldS2_S2_EEvT3_20rocsparse_direction_NS_24const_host_device_scalarIT1_EES3_PKS3_PKT2_SC_S9_PKT4_PKT5_S7_PT6_21rocsparse_index_base_b.kd
    .uniform_work_group_size: 1
    .uses_dynamic_stack: false
    .vgpr_count:     88
    .vgpr_spill_count: 0
    .wavefront_size: 64
  - .args:
      - .offset:         0
        .size:           8
        .value_kind:     by_value
      - .offset:         8
        .size:           4
        .value_kind:     by_value
      - .offset:         16
        .size:           16
        .value_kind:     by_value
      - .offset:         32
        .size:           8
        .value_kind:     by_value
      - .actual_access:  read_only
        .address_space:  global
        .offset:         40
        .size:           8
        .value_kind:     global_buffer
      - .actual_access:  read_only
        .address_space:  global
        .offset:         48
        .size:           8
        .value_kind:     global_buffer
      - .actual_access:  read_only
        .address_space:  global
        .offset:         56
        .size:           8
        .value_kind:     global_buffer
      - .actual_access:  read_only
        .address_space:  global
        .offset:         64
        .size:           8
        .value_kind:     global_buffer
      - .actual_access:  read_only
        .address_space:  global
        .offset:         72
        .size:           8
        .value_kind:     global_buffer
      - .actual_access:  read_only
        .address_space:  global
        .offset:         80
        .size:           8
        .value_kind:     global_buffer
      - .offset:         88
        .size:           16
        .value_kind:     by_value
      - .address_space:  global
        .offset:         104
        .size:           8
        .value_kind:     global_buffer
      - .offset:         112
        .size:           4
        .value_kind:     by_value
      - .offset:         116
        .size:           1
        .value_kind:     by_value
    .group_segment_fixed_size: 0
    .kernarg_segment_align: 8
    .kernarg_segment_size: 120
    .language:       OpenCL C
    .language_version:
      - 2
      - 0
    .max_flat_workgroup_size: 128
    .name:           _ZN9rocsparseL18bsrxmvn_4x4_kernelILj128ELj16E21rocsparse_complex_numIdElldS2_S2_EEvT3_20rocsparse_direction_NS_24const_host_device_scalarIT1_EES3_PKS3_PKT2_SC_S9_PKT4_PKT5_S7_PT6_21rocsparse_index_base_b
    .private_segment_fixed_size: 0
    .sgpr_count:     25
    .sgpr_spill_count: 0
    .symbol:         _ZN9rocsparseL18bsrxmvn_4x4_kernelILj128ELj16E21rocsparse_complex_numIdElldS2_S2_EEvT3_20rocsparse_direction_NS_24const_host_device_scalarIT1_EES3_PKS3_PKT2_SC_S9_PKT4_PKT5_S7_PT6_21rocsparse_index_base_b.kd
    .uniform_work_group_size: 1
    .uses_dynamic_stack: false
    .vgpr_count:     88
    .vgpr_spill_count: 0
    .wavefront_size: 64
  - .args:
      - .offset:         0
        .size:           8
        .value_kind:     by_value
      - .offset:         8
        .size:           4
        .value_kind:     by_value
      - .offset:         16
        .size:           16
        .value_kind:     by_value
      - .offset:         32
        .size:           8
        .value_kind:     by_value
      - .actual_access:  read_only
        .address_space:  global
        .offset:         40
        .size:           8
        .value_kind:     global_buffer
      - .actual_access:  read_only
        .address_space:  global
        .offset:         48
        .size:           8
        .value_kind:     global_buffer
      - .actual_access:  read_only
        .address_space:  global
        .offset:         56
        .size:           8
        .value_kind:     global_buffer
      - .actual_access:  read_only
        .address_space:  global
        .offset:         64
        .size:           8
        .value_kind:     global_buffer
      - .actual_access:  read_only
        .address_space:  global
        .offset:         72
        .size:           8
        .value_kind:     global_buffer
      - .actual_access:  read_only
        .address_space:  global
        .offset:         80
        .size:           8
        .value_kind:     global_buffer
      - .offset:         88
        .size:           16
        .value_kind:     by_value
      - .address_space:  global
        .offset:         104
        .size:           8
        .value_kind:     global_buffer
      - .offset:         112
        .size:           4
        .value_kind:     by_value
      - .offset:         116
        .size:           1
        .value_kind:     by_value
    .group_segment_fixed_size: 0
    .kernarg_segment_align: 8
    .kernarg_segment_size: 120
    .language:       OpenCL C
    .language_version:
      - 2
      - 0
    .max_flat_workgroup_size: 128
    .name:           _ZN9rocsparseL18bsrxmvn_4x4_kernelILj128ELj32E21rocsparse_complex_numIdElldS2_S2_EEvT3_20rocsparse_direction_NS_24const_host_device_scalarIT1_EES3_PKS3_PKT2_SC_S9_PKT4_PKT5_S7_PT6_21rocsparse_index_base_b
    .private_segment_fixed_size: 0
    .sgpr_count:     25
    .sgpr_spill_count: 0
    .symbol:         _ZN9rocsparseL18bsrxmvn_4x4_kernelILj128ELj32E21rocsparse_complex_numIdElldS2_S2_EEvT3_20rocsparse_direction_NS_24const_host_device_scalarIT1_EES3_PKS3_PKT2_SC_S9_PKT4_PKT5_S7_PT6_21rocsparse_index_base_b.kd
    .uniform_work_group_size: 1
    .uses_dynamic_stack: false
    .vgpr_count:     88
    .vgpr_spill_count: 0
    .wavefront_size: 64
  - .args:
      - .offset:         0
        .size:           8
        .value_kind:     by_value
      - .offset:         8
        .size:           4
        .value_kind:     by_value
      - .offset:         16
        .size:           16
        .value_kind:     by_value
      - .offset:         32
        .size:           8
        .value_kind:     by_value
      - .actual_access:  read_only
        .address_space:  global
        .offset:         40
        .size:           8
        .value_kind:     global_buffer
      - .actual_access:  read_only
        .address_space:  global
        .offset:         48
        .size:           8
        .value_kind:     global_buffer
      - .actual_access:  read_only
        .address_space:  global
        .offset:         56
        .size:           8
        .value_kind:     global_buffer
      - .actual_access:  read_only
        .address_space:  global
        .offset:         64
        .size:           8
        .value_kind:     global_buffer
      - .actual_access:  read_only
        .address_space:  global
        .offset:         72
        .size:           8
        .value_kind:     global_buffer
      - .actual_access:  read_only
        .address_space:  global
        .offset:         80
        .size:           8
        .value_kind:     global_buffer
      - .offset:         88
        .size:           16
        .value_kind:     by_value
      - .address_space:  global
        .offset:         104
        .size:           8
        .value_kind:     global_buffer
      - .offset:         112
        .size:           4
        .value_kind:     by_value
      - .offset:         116
        .size:           1
        .value_kind:     by_value
    .group_segment_fixed_size: 0
    .kernarg_segment_align: 8
    .kernarg_segment_size: 120
    .language:       OpenCL C
    .language_version:
      - 2
      - 0
    .max_flat_workgroup_size: 128
    .name:           _ZN9rocsparseL18bsrxmvn_4x4_kernelILj128ELj64E21rocsparse_complex_numIdElldS2_S2_EEvT3_20rocsparse_direction_NS_24const_host_device_scalarIT1_EES3_PKS3_PKT2_SC_S9_PKT4_PKT5_S7_PT6_21rocsparse_index_base_b
    .private_segment_fixed_size: 0
    .sgpr_count:     25
    .sgpr_spill_count: 0
    .symbol:         _ZN9rocsparseL18bsrxmvn_4x4_kernelILj128ELj64E21rocsparse_complex_numIdElldS2_S2_EEvT3_20rocsparse_direction_NS_24const_host_device_scalarIT1_EES3_PKS3_PKT2_SC_S9_PKT4_PKT5_S7_PT6_21rocsparse_index_base_b.kd
    .uniform_work_group_size: 1
    .uses_dynamic_stack: false
    .vgpr_count:     90
    .vgpr_spill_count: 0
    .wavefront_size: 64
  - .args:
      - .offset:         0
        .size:           4
        .value_kind:     by_value
      - .offset:         4
        .size:           4
        .value_kind:     by_value
      - .offset:         8
        .size:           8
        .value_kind:     by_value
      - .offset:         16
        .size:           4
        .value_kind:     by_value
      - .actual_access:  read_only
        .address_space:  global
        .offset:         24
        .size:           8
        .value_kind:     global_buffer
      - .actual_access:  read_only
        .address_space:  global
        .offset:         32
        .size:           8
        .value_kind:     global_buffer
      - .actual_access:  read_only
        .address_space:  global
        .offset:         40
        .size:           8
        .value_kind:     global_buffer
      - .actual_access:  read_only
        .address_space:  global
        .offset:         48
        .size:           8
        .value_kind:     global_buffer
      - .actual_access:  read_only
        .address_space:  global
        .offset:         56
        .size:           8
        .value_kind:     global_buffer
      - .actual_access:  read_only
        .address_space:  global
        .offset:         64
        .size:           8
        .value_kind:     global_buffer
      - .offset:         72
        .size:           8
        .value_kind:     by_value
      - .address_space:  global
        .offset:         80
        .size:           8
        .value_kind:     global_buffer
      - .offset:         88
        .size:           4
        .value_kind:     by_value
      - .offset:         92
        .size:           1
        .value_kind:     by_value
    .group_segment_fixed_size: 0
    .kernarg_segment_align: 8
    .kernarg_segment_size: 96
    .language:       OpenCL C
    .language_version:
      - 2
      - 0
    .max_flat_workgroup_size: 128
    .name:           _ZN9rocsparseL18bsrxmvn_4x4_kernelILj128ELj4EdiifddEEvT3_20rocsparse_direction_NS_24const_host_device_scalarIT1_EES1_PKS1_PKT2_SA_S7_PKT4_PKT5_S5_PT6_21rocsparse_index_base_b
    .private_segment_fixed_size: 0
    .sgpr_count:     22
    .sgpr_spill_count: 0
    .symbol:         _ZN9rocsparseL18bsrxmvn_4x4_kernelILj128ELj4EdiifddEEvT3_20rocsparse_direction_NS_24const_host_device_scalarIT1_EES1_PKS1_PKT2_SA_S7_PKT4_PKT5_S5_PT6_21rocsparse_index_base_b.kd
    .uniform_work_group_size: 1
    .uses_dynamic_stack: false
    .vgpr_count:     59
    .vgpr_spill_count: 0
    .wavefront_size: 64
  - .args:
      - .offset:         0
        .size:           4
        .value_kind:     by_value
      - .offset:         4
        .size:           4
        .value_kind:     by_value
      - .offset:         8
        .size:           8
        .value_kind:     by_value
      - .offset:         16
        .size:           4
        .value_kind:     by_value
      - .actual_access:  read_only
        .address_space:  global
        .offset:         24
        .size:           8
        .value_kind:     global_buffer
      - .actual_access:  read_only
        .address_space:  global
        .offset:         32
        .size:           8
        .value_kind:     global_buffer
      - .actual_access:  read_only
        .address_space:  global
        .offset:         40
        .size:           8
        .value_kind:     global_buffer
      - .actual_access:  read_only
        .address_space:  global
        .offset:         48
        .size:           8
        .value_kind:     global_buffer
      - .actual_access:  read_only
        .address_space:  global
        .offset:         56
        .size:           8
        .value_kind:     global_buffer
      - .actual_access:  read_only
        .address_space:  global
        .offset:         64
        .size:           8
        .value_kind:     global_buffer
      - .offset:         72
        .size:           8
        .value_kind:     by_value
      - .address_space:  global
        .offset:         80
        .size:           8
        .value_kind:     global_buffer
      - .offset:         88
        .size:           4
        .value_kind:     by_value
      - .offset:         92
        .size:           1
        .value_kind:     by_value
    .group_segment_fixed_size: 0
    .kernarg_segment_align: 8
    .kernarg_segment_size: 96
    .language:       OpenCL C
    .language_version:
      - 2
      - 0
    .max_flat_workgroup_size: 128
    .name:           _ZN9rocsparseL18bsrxmvn_4x4_kernelILj128ELj8EdiifddEEvT3_20rocsparse_direction_NS_24const_host_device_scalarIT1_EES1_PKS1_PKT2_SA_S7_PKT4_PKT5_S5_PT6_21rocsparse_index_base_b
    .private_segment_fixed_size: 0
    .sgpr_count:     22
    .sgpr_spill_count: 0
    .symbol:         _ZN9rocsparseL18bsrxmvn_4x4_kernelILj128ELj8EdiifddEEvT3_20rocsparse_direction_NS_24const_host_device_scalarIT1_EES1_PKS1_PKT2_SA_S7_PKT4_PKT5_S5_PT6_21rocsparse_index_base_b.kd
    .uniform_work_group_size: 1
    .uses_dynamic_stack: false
    .vgpr_count:     59
    .vgpr_spill_count: 0
    .wavefront_size: 64
  - .args:
      - .offset:         0
        .size:           4
        .value_kind:     by_value
      - .offset:         4
        .size:           4
        .value_kind:     by_value
      - .offset:         8
        .size:           8
        .value_kind:     by_value
      - .offset:         16
        .size:           4
        .value_kind:     by_value
      - .actual_access:  read_only
        .address_space:  global
        .offset:         24
        .size:           8
        .value_kind:     global_buffer
      - .actual_access:  read_only
        .address_space:  global
        .offset:         32
        .size:           8
        .value_kind:     global_buffer
      - .actual_access:  read_only
        .address_space:  global
        .offset:         40
        .size:           8
        .value_kind:     global_buffer
      - .actual_access:  read_only
        .address_space:  global
        .offset:         48
        .size:           8
        .value_kind:     global_buffer
      - .actual_access:  read_only
        .address_space:  global
        .offset:         56
        .size:           8
        .value_kind:     global_buffer
      - .actual_access:  read_only
        .address_space:  global
        .offset:         64
        .size:           8
        .value_kind:     global_buffer
      - .offset:         72
        .size:           8
        .value_kind:     by_value
      - .address_space:  global
        .offset:         80
        .size:           8
        .value_kind:     global_buffer
      - .offset:         88
        .size:           4
        .value_kind:     by_value
      - .offset:         92
        .size:           1
        .value_kind:     by_value
    .group_segment_fixed_size: 0
    .kernarg_segment_align: 8
    .kernarg_segment_size: 96
    .language:       OpenCL C
    .language_version:
      - 2
      - 0
    .max_flat_workgroup_size: 128
    .name:           _ZN9rocsparseL18bsrxmvn_4x4_kernelILj128ELj16EdiifddEEvT3_20rocsparse_direction_NS_24const_host_device_scalarIT1_EES1_PKS1_PKT2_SA_S7_PKT4_PKT5_S5_PT6_21rocsparse_index_base_b
    .private_segment_fixed_size: 0
    .sgpr_count:     22
    .sgpr_spill_count: 0
    .symbol:         _ZN9rocsparseL18bsrxmvn_4x4_kernelILj128ELj16EdiifddEEvT3_20rocsparse_direction_NS_24const_host_device_scalarIT1_EES1_PKS1_PKT2_SA_S7_PKT4_PKT5_S5_PT6_21rocsparse_index_base_b.kd
    .uniform_work_group_size: 1
    .uses_dynamic_stack: false
    .vgpr_count:     59
    .vgpr_spill_count: 0
    .wavefront_size: 64
  - .args:
      - .offset:         0
        .size:           4
        .value_kind:     by_value
      - .offset:         4
        .size:           4
        .value_kind:     by_value
      - .offset:         8
        .size:           8
        .value_kind:     by_value
      - .offset:         16
        .size:           4
        .value_kind:     by_value
      - .actual_access:  read_only
        .address_space:  global
        .offset:         24
        .size:           8
        .value_kind:     global_buffer
      - .actual_access:  read_only
        .address_space:  global
        .offset:         32
        .size:           8
        .value_kind:     global_buffer
      - .actual_access:  read_only
        .address_space:  global
        .offset:         40
        .size:           8
        .value_kind:     global_buffer
      - .actual_access:  read_only
        .address_space:  global
        .offset:         48
        .size:           8
        .value_kind:     global_buffer
      - .actual_access:  read_only
        .address_space:  global
        .offset:         56
        .size:           8
        .value_kind:     global_buffer
      - .actual_access:  read_only
        .address_space:  global
        .offset:         64
        .size:           8
        .value_kind:     global_buffer
      - .offset:         72
        .size:           8
        .value_kind:     by_value
      - .address_space:  global
        .offset:         80
        .size:           8
        .value_kind:     global_buffer
      - .offset:         88
        .size:           4
        .value_kind:     by_value
      - .offset:         92
        .size:           1
        .value_kind:     by_value
    .group_segment_fixed_size: 0
    .kernarg_segment_align: 8
    .kernarg_segment_size: 96
    .language:       OpenCL C
    .language_version:
      - 2
      - 0
    .max_flat_workgroup_size: 128
    .name:           _ZN9rocsparseL18bsrxmvn_4x4_kernelILj128ELj32EdiifddEEvT3_20rocsparse_direction_NS_24const_host_device_scalarIT1_EES1_PKS1_PKT2_SA_S7_PKT4_PKT5_S5_PT6_21rocsparse_index_base_b
    .private_segment_fixed_size: 0
    .sgpr_count:     22
    .sgpr_spill_count: 0
    .symbol:         _ZN9rocsparseL18bsrxmvn_4x4_kernelILj128ELj32EdiifddEEvT3_20rocsparse_direction_NS_24const_host_device_scalarIT1_EES1_PKS1_PKT2_SA_S7_PKT4_PKT5_S5_PT6_21rocsparse_index_base_b.kd
    .uniform_work_group_size: 1
    .uses_dynamic_stack: false
    .vgpr_count:     59
    .vgpr_spill_count: 0
    .wavefront_size: 64
  - .args:
      - .offset:         0
        .size:           4
        .value_kind:     by_value
      - .offset:         4
        .size:           4
        .value_kind:     by_value
      - .offset:         8
        .size:           8
        .value_kind:     by_value
      - .offset:         16
        .size:           4
        .value_kind:     by_value
      - .actual_access:  read_only
        .address_space:  global
        .offset:         24
        .size:           8
        .value_kind:     global_buffer
      - .actual_access:  read_only
        .address_space:  global
        .offset:         32
        .size:           8
        .value_kind:     global_buffer
      - .actual_access:  read_only
        .address_space:  global
        .offset:         40
        .size:           8
        .value_kind:     global_buffer
      - .actual_access:  read_only
        .address_space:  global
        .offset:         48
        .size:           8
        .value_kind:     global_buffer
      - .actual_access:  read_only
        .address_space:  global
        .offset:         56
        .size:           8
        .value_kind:     global_buffer
      - .actual_access:  read_only
        .address_space:  global
        .offset:         64
        .size:           8
        .value_kind:     global_buffer
      - .offset:         72
        .size:           8
        .value_kind:     by_value
      - .address_space:  global
        .offset:         80
        .size:           8
        .value_kind:     global_buffer
      - .offset:         88
        .size:           4
        .value_kind:     by_value
      - .offset:         92
        .size:           1
        .value_kind:     by_value
    .group_segment_fixed_size: 0
    .kernarg_segment_align: 8
    .kernarg_segment_size: 96
    .language:       OpenCL C
    .language_version:
      - 2
      - 0
    .max_flat_workgroup_size: 128
    .name:           _ZN9rocsparseL18bsrxmvn_4x4_kernelILj128ELj64EdiifddEEvT3_20rocsparse_direction_NS_24const_host_device_scalarIT1_EES1_PKS1_PKT2_SA_S7_PKT4_PKT5_S5_PT6_21rocsparse_index_base_b
    .private_segment_fixed_size: 0
    .sgpr_count:     24
    .sgpr_spill_count: 0
    .symbol:         _ZN9rocsparseL18bsrxmvn_4x4_kernelILj128ELj64EdiifddEEvT3_20rocsparse_direction_NS_24const_host_device_scalarIT1_EES1_PKS1_PKT2_SA_S7_PKT4_PKT5_S5_PT6_21rocsparse_index_base_b.kd
    .uniform_work_group_size: 1
    .uses_dynamic_stack: false
    .vgpr_count:     60
    .vgpr_spill_count: 0
    .wavefront_size: 64
  - .args:
      - .offset:         0
        .size:           4
        .value_kind:     by_value
      - .offset:         4
        .size:           4
        .value_kind:     by_value
      - .offset:         8
        .size:           8
        .value_kind:     by_value
      - .offset:         16
        .size:           4
        .value_kind:     by_value
      - .actual_access:  read_only
        .address_space:  global
        .offset:         24
        .size:           8
        .value_kind:     global_buffer
      - .actual_access:  read_only
        .address_space:  global
        .offset:         32
        .size:           8
        .value_kind:     global_buffer
      - .actual_access:  read_only
        .address_space:  global
        .offset:         40
        .size:           8
        .value_kind:     global_buffer
      - .actual_access:  read_only
        .address_space:  global
        .offset:         48
        .size:           8
        .value_kind:     global_buffer
      - .actual_access:  read_only
        .address_space:  global
        .offset:         56
        .size:           8
        .value_kind:     global_buffer
      - .actual_access:  read_only
        .address_space:  global
        .offset:         64
        .size:           8
        .value_kind:     global_buffer
      - .offset:         72
        .size:           8
        .value_kind:     by_value
      - .address_space:  global
        .offset:         80
        .size:           8
        .value_kind:     global_buffer
      - .offset:         88
        .size:           4
        .value_kind:     by_value
      - .offset:         92
        .size:           1
        .value_kind:     by_value
    .group_segment_fixed_size: 0
    .kernarg_segment_align: 8
    .kernarg_segment_size: 96
    .language:       OpenCL C
    .language_version:
      - 2
      - 0
    .max_flat_workgroup_size: 128
    .name:           _ZN9rocsparseL18bsrxmvn_4x4_kernelILj128ELj4EdlifddEEvT3_20rocsparse_direction_NS_24const_host_device_scalarIT1_EES1_PKS1_PKT2_SA_S7_PKT4_PKT5_S5_PT6_21rocsparse_index_base_b
    .private_segment_fixed_size: 0
    .sgpr_count:     26
    .sgpr_spill_count: 0
    .symbol:         _ZN9rocsparseL18bsrxmvn_4x4_kernelILj128ELj4EdlifddEEvT3_20rocsparse_direction_NS_24const_host_device_scalarIT1_EES1_PKS1_PKT2_SA_S7_PKT4_PKT5_S5_PT6_21rocsparse_index_base_b.kd
    .uniform_work_group_size: 1
    .uses_dynamic_stack: false
    .vgpr_count:     60
    .vgpr_spill_count: 0
    .wavefront_size: 64
  - .args:
      - .offset:         0
        .size:           4
        .value_kind:     by_value
      - .offset:         4
        .size:           4
        .value_kind:     by_value
      - .offset:         8
        .size:           8
        .value_kind:     by_value
      - .offset:         16
        .size:           4
        .value_kind:     by_value
      - .actual_access:  read_only
        .address_space:  global
        .offset:         24
        .size:           8
        .value_kind:     global_buffer
      - .actual_access:  read_only
        .address_space:  global
        .offset:         32
        .size:           8
        .value_kind:     global_buffer
      - .actual_access:  read_only
        .address_space:  global
        .offset:         40
        .size:           8
        .value_kind:     global_buffer
      - .actual_access:  read_only
        .address_space:  global
        .offset:         48
        .size:           8
        .value_kind:     global_buffer
      - .actual_access:  read_only
        .address_space:  global
        .offset:         56
        .size:           8
        .value_kind:     global_buffer
      - .actual_access:  read_only
        .address_space:  global
        .offset:         64
        .size:           8
        .value_kind:     global_buffer
      - .offset:         72
        .size:           8
        .value_kind:     by_value
      - .address_space:  global
        .offset:         80
        .size:           8
        .value_kind:     global_buffer
      - .offset:         88
        .size:           4
        .value_kind:     by_value
      - .offset:         92
        .size:           1
        .value_kind:     by_value
    .group_segment_fixed_size: 0
    .kernarg_segment_align: 8
    .kernarg_segment_size: 96
    .language:       OpenCL C
    .language_version:
      - 2
      - 0
    .max_flat_workgroup_size: 128
    .name:           _ZN9rocsparseL18bsrxmvn_4x4_kernelILj128ELj8EdlifddEEvT3_20rocsparse_direction_NS_24const_host_device_scalarIT1_EES1_PKS1_PKT2_SA_S7_PKT4_PKT5_S5_PT6_21rocsparse_index_base_b
    .private_segment_fixed_size: 0
    .sgpr_count:     26
    .sgpr_spill_count: 0
    .symbol:         _ZN9rocsparseL18bsrxmvn_4x4_kernelILj128ELj8EdlifddEEvT3_20rocsparse_direction_NS_24const_host_device_scalarIT1_EES1_PKS1_PKT2_SA_S7_PKT4_PKT5_S5_PT6_21rocsparse_index_base_b.kd
    .uniform_work_group_size: 1
    .uses_dynamic_stack: false
    .vgpr_count:     60
    .vgpr_spill_count: 0
    .wavefront_size: 64
  - .args:
      - .offset:         0
        .size:           4
        .value_kind:     by_value
      - .offset:         4
        .size:           4
        .value_kind:     by_value
      - .offset:         8
        .size:           8
        .value_kind:     by_value
      - .offset:         16
        .size:           4
        .value_kind:     by_value
      - .actual_access:  read_only
        .address_space:  global
        .offset:         24
        .size:           8
        .value_kind:     global_buffer
      - .actual_access:  read_only
        .address_space:  global
        .offset:         32
        .size:           8
        .value_kind:     global_buffer
      - .actual_access:  read_only
        .address_space:  global
        .offset:         40
        .size:           8
        .value_kind:     global_buffer
      - .actual_access:  read_only
        .address_space:  global
        .offset:         48
        .size:           8
        .value_kind:     global_buffer
      - .actual_access:  read_only
        .address_space:  global
        .offset:         56
        .size:           8
        .value_kind:     global_buffer
      - .actual_access:  read_only
        .address_space:  global
        .offset:         64
        .size:           8
        .value_kind:     global_buffer
      - .offset:         72
        .size:           8
        .value_kind:     by_value
      - .address_space:  global
        .offset:         80
        .size:           8
        .value_kind:     global_buffer
      - .offset:         88
        .size:           4
        .value_kind:     by_value
      - .offset:         92
        .size:           1
        .value_kind:     by_value
    .group_segment_fixed_size: 0
    .kernarg_segment_align: 8
    .kernarg_segment_size: 96
    .language:       OpenCL C
    .language_version:
      - 2
      - 0
    .max_flat_workgroup_size: 128
    .name:           _ZN9rocsparseL18bsrxmvn_4x4_kernelILj128ELj16EdlifddEEvT3_20rocsparse_direction_NS_24const_host_device_scalarIT1_EES1_PKS1_PKT2_SA_S7_PKT4_PKT5_S5_PT6_21rocsparse_index_base_b
    .private_segment_fixed_size: 0
    .sgpr_count:     26
    .sgpr_spill_count: 0
    .symbol:         _ZN9rocsparseL18bsrxmvn_4x4_kernelILj128ELj16EdlifddEEvT3_20rocsparse_direction_NS_24const_host_device_scalarIT1_EES1_PKS1_PKT2_SA_S7_PKT4_PKT5_S5_PT6_21rocsparse_index_base_b.kd
    .uniform_work_group_size: 1
    .uses_dynamic_stack: false
    .vgpr_count:     60
    .vgpr_spill_count: 0
    .wavefront_size: 64
  - .args:
      - .offset:         0
        .size:           4
        .value_kind:     by_value
      - .offset:         4
        .size:           4
        .value_kind:     by_value
      - .offset:         8
        .size:           8
        .value_kind:     by_value
      - .offset:         16
        .size:           4
        .value_kind:     by_value
      - .actual_access:  read_only
        .address_space:  global
        .offset:         24
        .size:           8
        .value_kind:     global_buffer
      - .actual_access:  read_only
        .address_space:  global
        .offset:         32
        .size:           8
        .value_kind:     global_buffer
      - .actual_access:  read_only
        .address_space:  global
        .offset:         40
        .size:           8
        .value_kind:     global_buffer
      - .actual_access:  read_only
        .address_space:  global
        .offset:         48
        .size:           8
        .value_kind:     global_buffer
      - .actual_access:  read_only
        .address_space:  global
        .offset:         56
        .size:           8
        .value_kind:     global_buffer
      - .actual_access:  read_only
        .address_space:  global
        .offset:         64
        .size:           8
        .value_kind:     global_buffer
      - .offset:         72
        .size:           8
        .value_kind:     by_value
      - .address_space:  global
        .offset:         80
        .size:           8
        .value_kind:     global_buffer
      - .offset:         88
        .size:           4
        .value_kind:     by_value
      - .offset:         92
        .size:           1
        .value_kind:     by_value
    .group_segment_fixed_size: 0
    .kernarg_segment_align: 8
    .kernarg_segment_size: 96
    .language:       OpenCL C
    .language_version:
      - 2
      - 0
    .max_flat_workgroup_size: 128
    .name:           _ZN9rocsparseL18bsrxmvn_4x4_kernelILj128ELj32EdlifddEEvT3_20rocsparse_direction_NS_24const_host_device_scalarIT1_EES1_PKS1_PKT2_SA_S7_PKT4_PKT5_S5_PT6_21rocsparse_index_base_b
    .private_segment_fixed_size: 0
    .sgpr_count:     24
    .sgpr_spill_count: 0
    .symbol:         _ZN9rocsparseL18bsrxmvn_4x4_kernelILj128ELj32EdlifddEEvT3_20rocsparse_direction_NS_24const_host_device_scalarIT1_EES1_PKS1_PKT2_SA_S7_PKT4_PKT5_S5_PT6_21rocsparse_index_base_b.kd
    .uniform_work_group_size: 1
    .uses_dynamic_stack: false
    .vgpr_count:     65
    .vgpr_spill_count: 0
    .wavefront_size: 64
  - .args:
      - .offset:         0
        .size:           4
        .value_kind:     by_value
      - .offset:         4
        .size:           4
        .value_kind:     by_value
      - .offset:         8
        .size:           8
        .value_kind:     by_value
      - .offset:         16
        .size:           4
        .value_kind:     by_value
      - .actual_access:  read_only
        .address_space:  global
        .offset:         24
        .size:           8
        .value_kind:     global_buffer
      - .actual_access:  read_only
        .address_space:  global
        .offset:         32
        .size:           8
        .value_kind:     global_buffer
      - .actual_access:  read_only
        .address_space:  global
        .offset:         40
        .size:           8
        .value_kind:     global_buffer
      - .actual_access:  read_only
        .address_space:  global
        .offset:         48
        .size:           8
        .value_kind:     global_buffer
      - .actual_access:  read_only
        .address_space:  global
        .offset:         56
        .size:           8
        .value_kind:     global_buffer
      - .actual_access:  read_only
        .address_space:  global
        .offset:         64
        .size:           8
        .value_kind:     global_buffer
      - .offset:         72
        .size:           8
        .value_kind:     by_value
      - .address_space:  global
        .offset:         80
        .size:           8
        .value_kind:     global_buffer
      - .offset:         88
        .size:           4
        .value_kind:     by_value
      - .offset:         92
        .size:           1
        .value_kind:     by_value
    .group_segment_fixed_size: 0
    .kernarg_segment_align: 8
    .kernarg_segment_size: 96
    .language:       OpenCL C
    .language_version:
      - 2
      - 0
    .max_flat_workgroup_size: 128
    .name:           _ZN9rocsparseL18bsrxmvn_4x4_kernelILj128ELj64EdlifddEEvT3_20rocsparse_direction_NS_24const_host_device_scalarIT1_EES1_PKS1_PKT2_SA_S7_PKT4_PKT5_S5_PT6_21rocsparse_index_base_b
    .private_segment_fixed_size: 0
    .sgpr_count:     24
    .sgpr_spill_count: 0
    .symbol:         _ZN9rocsparseL18bsrxmvn_4x4_kernelILj128ELj64EdlifddEEvT3_20rocsparse_direction_NS_24const_host_device_scalarIT1_EES1_PKS1_PKT2_SA_S7_PKT4_PKT5_S5_PT6_21rocsparse_index_base_b.kd
    .uniform_work_group_size: 1
    .uses_dynamic_stack: false
    .vgpr_count:     65
    .vgpr_spill_count: 0
    .wavefront_size: 64
  - .args:
      - .offset:         0
        .size:           8
        .value_kind:     by_value
      - .offset:         8
        .size:           4
        .value_kind:     by_value
      - .offset:         16
        .size:           8
        .value_kind:     by_value
      - .offset:         24
        .size:           8
        .value_kind:     by_value
      - .actual_access:  read_only
        .address_space:  global
        .offset:         32
        .size:           8
        .value_kind:     global_buffer
      - .actual_access:  read_only
        .address_space:  global
        .offset:         40
        .size:           8
        .value_kind:     global_buffer
      - .actual_access:  read_only
        .address_space:  global
        .offset:         48
        .size:           8
        .value_kind:     global_buffer
      - .actual_access:  read_only
        .address_space:  global
        .offset:         56
        .size:           8
        .value_kind:     global_buffer
      - .actual_access:  read_only
        .address_space:  global
        .offset:         64
        .size:           8
        .value_kind:     global_buffer
      - .actual_access:  read_only
        .address_space:  global
        .offset:         72
        .size:           8
        .value_kind:     global_buffer
      - .offset:         80
        .size:           8
        .value_kind:     by_value
      - .address_space:  global
        .offset:         88
        .size:           8
        .value_kind:     global_buffer
      - .offset:         96
        .size:           4
        .value_kind:     by_value
      - .offset:         100
        .size:           1
        .value_kind:     by_value
    .group_segment_fixed_size: 0
    .kernarg_segment_align: 8
    .kernarg_segment_size: 104
    .language:       OpenCL C
    .language_version:
      - 2
      - 0
    .max_flat_workgroup_size: 128
    .name:           _ZN9rocsparseL18bsrxmvn_4x4_kernelILj128ELj4EdllfddEEvT3_20rocsparse_direction_NS_24const_host_device_scalarIT1_EES1_PKS1_PKT2_SA_S7_PKT4_PKT5_S5_PT6_21rocsparse_index_base_b
    .private_segment_fixed_size: 0
    .sgpr_count:     25
    .sgpr_spill_count: 0
    .symbol:         _ZN9rocsparseL18bsrxmvn_4x4_kernelILj128ELj4EdllfddEEvT3_20rocsparse_direction_NS_24const_host_device_scalarIT1_EES1_PKS1_PKT2_SA_S7_PKT4_PKT5_S5_PT6_21rocsparse_index_base_b.kd
    .uniform_work_group_size: 1
    .uses_dynamic_stack: false
    .vgpr_count:     63
    .vgpr_spill_count: 0
    .wavefront_size: 64
  - .args:
      - .offset:         0
        .size:           8
        .value_kind:     by_value
      - .offset:         8
        .size:           4
        .value_kind:     by_value
      - .offset:         16
        .size:           8
        .value_kind:     by_value
      - .offset:         24
        .size:           8
        .value_kind:     by_value
      - .actual_access:  read_only
        .address_space:  global
        .offset:         32
        .size:           8
        .value_kind:     global_buffer
      - .actual_access:  read_only
        .address_space:  global
        .offset:         40
        .size:           8
        .value_kind:     global_buffer
      - .actual_access:  read_only
        .address_space:  global
        .offset:         48
        .size:           8
        .value_kind:     global_buffer
      - .actual_access:  read_only
        .address_space:  global
        .offset:         56
        .size:           8
        .value_kind:     global_buffer
      - .actual_access:  read_only
        .address_space:  global
        .offset:         64
        .size:           8
        .value_kind:     global_buffer
      - .actual_access:  read_only
        .address_space:  global
        .offset:         72
        .size:           8
        .value_kind:     global_buffer
      - .offset:         80
        .size:           8
        .value_kind:     by_value
      - .address_space:  global
        .offset:         88
        .size:           8
        .value_kind:     global_buffer
      - .offset:         96
        .size:           4
        .value_kind:     by_value
      - .offset:         100
        .size:           1
        .value_kind:     by_value
    .group_segment_fixed_size: 0
    .kernarg_segment_align: 8
    .kernarg_segment_size: 104
    .language:       OpenCL C
    .language_version:
      - 2
      - 0
    .max_flat_workgroup_size: 128
    .name:           _ZN9rocsparseL18bsrxmvn_4x4_kernelILj128ELj8EdllfddEEvT3_20rocsparse_direction_NS_24const_host_device_scalarIT1_EES1_PKS1_PKT2_SA_S7_PKT4_PKT5_S5_PT6_21rocsparse_index_base_b
    .private_segment_fixed_size: 0
    .sgpr_count:     25
    .sgpr_spill_count: 0
    .symbol:         _ZN9rocsparseL18bsrxmvn_4x4_kernelILj128ELj8EdllfddEEvT3_20rocsparse_direction_NS_24const_host_device_scalarIT1_EES1_PKS1_PKT2_SA_S7_PKT4_PKT5_S5_PT6_21rocsparse_index_base_b.kd
    .uniform_work_group_size: 1
    .uses_dynamic_stack: false
    .vgpr_count:     63
    .vgpr_spill_count: 0
    .wavefront_size: 64
  - .args:
      - .offset:         0
        .size:           8
        .value_kind:     by_value
      - .offset:         8
        .size:           4
        .value_kind:     by_value
      - .offset:         16
        .size:           8
        .value_kind:     by_value
      - .offset:         24
        .size:           8
        .value_kind:     by_value
      - .actual_access:  read_only
        .address_space:  global
        .offset:         32
        .size:           8
        .value_kind:     global_buffer
      - .actual_access:  read_only
        .address_space:  global
        .offset:         40
        .size:           8
        .value_kind:     global_buffer
      - .actual_access:  read_only
        .address_space:  global
        .offset:         48
        .size:           8
        .value_kind:     global_buffer
      - .actual_access:  read_only
        .address_space:  global
        .offset:         56
        .size:           8
        .value_kind:     global_buffer
      - .actual_access:  read_only
        .address_space:  global
        .offset:         64
        .size:           8
        .value_kind:     global_buffer
      - .actual_access:  read_only
        .address_space:  global
        .offset:         72
        .size:           8
        .value_kind:     global_buffer
      - .offset:         80
        .size:           8
        .value_kind:     by_value
      - .address_space:  global
        .offset:         88
        .size:           8
        .value_kind:     global_buffer
      - .offset:         96
        .size:           4
        .value_kind:     by_value
      - .offset:         100
        .size:           1
        .value_kind:     by_value
    .group_segment_fixed_size: 0
    .kernarg_segment_align: 8
    .kernarg_segment_size: 104
    .language:       OpenCL C
    .language_version:
      - 2
      - 0
    .max_flat_workgroup_size: 128
    .name:           _ZN9rocsparseL18bsrxmvn_4x4_kernelILj128ELj16EdllfddEEvT3_20rocsparse_direction_NS_24const_host_device_scalarIT1_EES1_PKS1_PKT2_SA_S7_PKT4_PKT5_S5_PT6_21rocsparse_index_base_b
    .private_segment_fixed_size: 0
    .sgpr_count:     23
    .sgpr_spill_count: 0
    .symbol:         _ZN9rocsparseL18bsrxmvn_4x4_kernelILj128ELj16EdllfddEEvT3_20rocsparse_direction_NS_24const_host_device_scalarIT1_EES1_PKS1_PKT2_SA_S7_PKT4_PKT5_S5_PT6_21rocsparse_index_base_b.kd
    .uniform_work_group_size: 1
    .uses_dynamic_stack: false
    .vgpr_count:     63
    .vgpr_spill_count: 0
    .wavefront_size: 64
  - .args:
      - .offset:         0
        .size:           8
        .value_kind:     by_value
      - .offset:         8
        .size:           4
        .value_kind:     by_value
      - .offset:         16
        .size:           8
        .value_kind:     by_value
      - .offset:         24
        .size:           8
        .value_kind:     by_value
      - .actual_access:  read_only
        .address_space:  global
        .offset:         32
        .size:           8
        .value_kind:     global_buffer
      - .actual_access:  read_only
        .address_space:  global
        .offset:         40
        .size:           8
        .value_kind:     global_buffer
      - .actual_access:  read_only
        .address_space:  global
        .offset:         48
        .size:           8
        .value_kind:     global_buffer
      - .actual_access:  read_only
        .address_space:  global
        .offset:         56
        .size:           8
        .value_kind:     global_buffer
      - .actual_access:  read_only
        .address_space:  global
        .offset:         64
        .size:           8
        .value_kind:     global_buffer
      - .actual_access:  read_only
        .address_space:  global
        .offset:         72
        .size:           8
        .value_kind:     global_buffer
      - .offset:         80
        .size:           8
        .value_kind:     by_value
      - .address_space:  global
        .offset:         88
        .size:           8
        .value_kind:     global_buffer
      - .offset:         96
        .size:           4
        .value_kind:     by_value
      - .offset:         100
        .size:           1
        .value_kind:     by_value
    .group_segment_fixed_size: 0
    .kernarg_segment_align: 8
    .kernarg_segment_size: 104
    .language:       OpenCL C
    .language_version:
      - 2
      - 0
    .max_flat_workgroup_size: 128
    .name:           _ZN9rocsparseL18bsrxmvn_4x4_kernelILj128ELj32EdllfddEEvT3_20rocsparse_direction_NS_24const_host_device_scalarIT1_EES1_PKS1_PKT2_SA_S7_PKT4_PKT5_S5_PT6_21rocsparse_index_base_b
    .private_segment_fixed_size: 0
    .sgpr_count:     23
    .sgpr_spill_count: 0
    .symbol:         _ZN9rocsparseL18bsrxmvn_4x4_kernelILj128ELj32EdllfddEEvT3_20rocsparse_direction_NS_24const_host_device_scalarIT1_EES1_PKS1_PKT2_SA_S7_PKT4_PKT5_S5_PT6_21rocsparse_index_base_b.kd
    .uniform_work_group_size: 1
    .uses_dynamic_stack: false
    .vgpr_count:     63
    .vgpr_spill_count: 0
    .wavefront_size: 64
  - .args:
      - .offset:         0
        .size:           8
        .value_kind:     by_value
      - .offset:         8
        .size:           4
        .value_kind:     by_value
      - .offset:         16
        .size:           8
        .value_kind:     by_value
      - .offset:         24
        .size:           8
        .value_kind:     by_value
      - .actual_access:  read_only
        .address_space:  global
        .offset:         32
        .size:           8
        .value_kind:     global_buffer
      - .actual_access:  read_only
        .address_space:  global
        .offset:         40
        .size:           8
        .value_kind:     global_buffer
      - .actual_access:  read_only
        .address_space:  global
        .offset:         48
        .size:           8
        .value_kind:     global_buffer
      - .actual_access:  read_only
        .address_space:  global
        .offset:         56
        .size:           8
        .value_kind:     global_buffer
      - .actual_access:  read_only
        .address_space:  global
        .offset:         64
        .size:           8
        .value_kind:     global_buffer
      - .actual_access:  read_only
        .address_space:  global
        .offset:         72
        .size:           8
        .value_kind:     global_buffer
      - .offset:         80
        .size:           8
        .value_kind:     by_value
      - .address_space:  global
        .offset:         88
        .size:           8
        .value_kind:     global_buffer
      - .offset:         96
        .size:           4
        .value_kind:     by_value
      - .offset:         100
        .size:           1
        .value_kind:     by_value
    .group_segment_fixed_size: 0
    .kernarg_segment_align: 8
    .kernarg_segment_size: 104
    .language:       OpenCL C
    .language_version:
      - 2
      - 0
    .max_flat_workgroup_size: 128
    .name:           _ZN9rocsparseL18bsrxmvn_4x4_kernelILj128ELj64EdllfddEEvT3_20rocsparse_direction_NS_24const_host_device_scalarIT1_EES1_PKS1_PKT2_SA_S7_PKT4_PKT5_S5_PT6_21rocsparse_index_base_b
    .private_segment_fixed_size: 0
    .sgpr_count:     23
    .sgpr_spill_count: 0
    .symbol:         _ZN9rocsparseL18bsrxmvn_4x4_kernelILj128ELj64EdllfddEEvT3_20rocsparse_direction_NS_24const_host_device_scalarIT1_EES1_PKS1_PKT2_SA_S7_PKT4_PKT5_S5_PT6_21rocsparse_index_base_b.kd
    .uniform_work_group_size: 1
    .uses_dynamic_stack: false
    .vgpr_count:     63
    .vgpr_spill_count: 0
    .wavefront_size: 64
  - .args:
      - .offset:         0
        .size:           4
        .value_kind:     by_value
      - .offset:         4
        .size:           4
        .value_kind:     by_value
      - .offset:         8
        .size:           16
        .value_kind:     by_value
      - .offset:         24
        .size:           4
        .value_kind:     by_value
      - .actual_access:  read_only
        .address_space:  global
        .offset:         32
        .size:           8
        .value_kind:     global_buffer
      - .actual_access:  read_only
        .address_space:  global
        .offset:         40
        .size:           8
        .value_kind:     global_buffer
      - .actual_access:  read_only
        .address_space:  global
        .offset:         48
        .size:           8
        .value_kind:     global_buffer
      - .actual_access:  read_only
        .address_space:  global
        .offset:         56
        .size:           8
        .value_kind:     global_buffer
      - .actual_access:  read_only
        .address_space:  global
        .offset:         64
        .size:           8
        .value_kind:     global_buffer
      - .actual_access:  read_only
        .address_space:  global
        .offset:         72
        .size:           8
        .value_kind:     global_buffer
      - .offset:         80
        .size:           16
        .value_kind:     by_value
      - .address_space:  global
        .offset:         96
        .size:           8
        .value_kind:     global_buffer
      - .offset:         104
        .size:           4
        .value_kind:     by_value
      - .offset:         108
        .size:           1
        .value_kind:     by_value
    .group_segment_fixed_size: 0
    .kernarg_segment_align: 8
    .kernarg_segment_size: 112
    .language:       OpenCL C
    .language_version:
      - 2
      - 0
    .max_flat_workgroup_size: 128
    .name:           _ZN9rocsparseL18bsrxmvn_4x4_kernelILj128ELj4E21rocsparse_complex_numIdEiiS1_IfES2_S2_EEvT3_20rocsparse_direction_NS_24const_host_device_scalarIT1_EES4_PKS4_PKT2_SD_SA_PKT4_PKT5_S8_PT6_21rocsparse_index_base_b
    .private_segment_fixed_size: 0
    .sgpr_count:     22
    .sgpr_spill_count: 0
    .symbol:         _ZN9rocsparseL18bsrxmvn_4x4_kernelILj128ELj4E21rocsparse_complex_numIdEiiS1_IfES2_S2_EEvT3_20rocsparse_direction_NS_24const_host_device_scalarIT1_EES4_PKS4_PKT2_SD_SA_PKT4_PKT5_S8_PT6_21rocsparse_index_base_b.kd
    .uniform_work_group_size: 1
    .uses_dynamic_stack: false
    .vgpr_count:     85
    .vgpr_spill_count: 0
    .wavefront_size: 64
  - .args:
      - .offset:         0
        .size:           4
        .value_kind:     by_value
      - .offset:         4
        .size:           4
        .value_kind:     by_value
      - .offset:         8
        .size:           16
        .value_kind:     by_value
      - .offset:         24
        .size:           4
        .value_kind:     by_value
      - .actual_access:  read_only
        .address_space:  global
        .offset:         32
        .size:           8
        .value_kind:     global_buffer
      - .actual_access:  read_only
        .address_space:  global
        .offset:         40
        .size:           8
        .value_kind:     global_buffer
      - .actual_access:  read_only
        .address_space:  global
        .offset:         48
        .size:           8
        .value_kind:     global_buffer
      - .actual_access:  read_only
        .address_space:  global
        .offset:         56
        .size:           8
        .value_kind:     global_buffer
      - .actual_access:  read_only
        .address_space:  global
        .offset:         64
        .size:           8
        .value_kind:     global_buffer
      - .actual_access:  read_only
        .address_space:  global
        .offset:         72
        .size:           8
        .value_kind:     global_buffer
      - .offset:         80
        .size:           16
        .value_kind:     by_value
      - .address_space:  global
        .offset:         96
        .size:           8
        .value_kind:     global_buffer
      - .offset:         104
        .size:           4
        .value_kind:     by_value
      - .offset:         108
        .size:           1
        .value_kind:     by_value
    .group_segment_fixed_size: 0
    .kernarg_segment_align: 8
    .kernarg_segment_size: 112
    .language:       OpenCL C
    .language_version:
      - 2
      - 0
    .max_flat_workgroup_size: 128
    .name:           _ZN9rocsparseL18bsrxmvn_4x4_kernelILj128ELj8E21rocsparse_complex_numIdEiiS1_IfES2_S2_EEvT3_20rocsparse_direction_NS_24const_host_device_scalarIT1_EES4_PKS4_PKT2_SD_SA_PKT4_PKT5_S8_PT6_21rocsparse_index_base_b
    .private_segment_fixed_size: 0
    .sgpr_count:     22
    .sgpr_spill_count: 0
    .symbol:         _ZN9rocsparseL18bsrxmvn_4x4_kernelILj128ELj8E21rocsparse_complex_numIdEiiS1_IfES2_S2_EEvT3_20rocsparse_direction_NS_24const_host_device_scalarIT1_EES4_PKS4_PKT2_SD_SA_PKT4_PKT5_S8_PT6_21rocsparse_index_base_b.kd
    .uniform_work_group_size: 1
    .uses_dynamic_stack: false
    .vgpr_count:     85
    .vgpr_spill_count: 0
    .wavefront_size: 64
  - .args:
      - .offset:         0
        .size:           4
        .value_kind:     by_value
      - .offset:         4
        .size:           4
        .value_kind:     by_value
      - .offset:         8
        .size:           16
        .value_kind:     by_value
      - .offset:         24
        .size:           4
        .value_kind:     by_value
      - .actual_access:  read_only
        .address_space:  global
        .offset:         32
        .size:           8
        .value_kind:     global_buffer
      - .actual_access:  read_only
        .address_space:  global
        .offset:         40
        .size:           8
        .value_kind:     global_buffer
      - .actual_access:  read_only
        .address_space:  global
        .offset:         48
        .size:           8
        .value_kind:     global_buffer
      - .actual_access:  read_only
        .address_space:  global
        .offset:         56
        .size:           8
        .value_kind:     global_buffer
      - .actual_access:  read_only
        .address_space:  global
        .offset:         64
        .size:           8
        .value_kind:     global_buffer
      - .actual_access:  read_only
        .address_space:  global
        .offset:         72
        .size:           8
        .value_kind:     global_buffer
      - .offset:         80
        .size:           16
        .value_kind:     by_value
      - .address_space:  global
        .offset:         96
        .size:           8
        .value_kind:     global_buffer
      - .offset:         104
        .size:           4
        .value_kind:     by_value
      - .offset:         108
        .size:           1
        .value_kind:     by_value
    .group_segment_fixed_size: 0
    .kernarg_segment_align: 8
    .kernarg_segment_size: 112
    .language:       OpenCL C
    .language_version:
      - 2
      - 0
    .max_flat_workgroup_size: 128
    .name:           _ZN9rocsparseL18bsrxmvn_4x4_kernelILj128ELj16E21rocsparse_complex_numIdEiiS1_IfES2_S2_EEvT3_20rocsparse_direction_NS_24const_host_device_scalarIT1_EES4_PKS4_PKT2_SD_SA_PKT4_PKT5_S8_PT6_21rocsparse_index_base_b
    .private_segment_fixed_size: 0
    .sgpr_count:     22
    .sgpr_spill_count: 0
    .symbol:         _ZN9rocsparseL18bsrxmvn_4x4_kernelILj128ELj16E21rocsparse_complex_numIdEiiS1_IfES2_S2_EEvT3_20rocsparse_direction_NS_24const_host_device_scalarIT1_EES4_PKS4_PKT2_SD_SA_PKT4_PKT5_S8_PT6_21rocsparse_index_base_b.kd
    .uniform_work_group_size: 1
    .uses_dynamic_stack: false
    .vgpr_count:     83
    .vgpr_spill_count: 0
    .wavefront_size: 64
  - .args:
      - .offset:         0
        .size:           4
        .value_kind:     by_value
      - .offset:         4
        .size:           4
        .value_kind:     by_value
      - .offset:         8
        .size:           16
        .value_kind:     by_value
      - .offset:         24
        .size:           4
        .value_kind:     by_value
      - .actual_access:  read_only
        .address_space:  global
        .offset:         32
        .size:           8
        .value_kind:     global_buffer
      - .actual_access:  read_only
        .address_space:  global
        .offset:         40
        .size:           8
        .value_kind:     global_buffer
      - .actual_access:  read_only
        .address_space:  global
        .offset:         48
        .size:           8
        .value_kind:     global_buffer
      - .actual_access:  read_only
        .address_space:  global
        .offset:         56
        .size:           8
        .value_kind:     global_buffer
      - .actual_access:  read_only
        .address_space:  global
        .offset:         64
        .size:           8
        .value_kind:     global_buffer
      - .actual_access:  read_only
        .address_space:  global
        .offset:         72
        .size:           8
        .value_kind:     global_buffer
      - .offset:         80
        .size:           16
        .value_kind:     by_value
      - .address_space:  global
        .offset:         96
        .size:           8
        .value_kind:     global_buffer
      - .offset:         104
        .size:           4
        .value_kind:     by_value
      - .offset:         108
        .size:           1
        .value_kind:     by_value
    .group_segment_fixed_size: 0
    .kernarg_segment_align: 8
    .kernarg_segment_size: 112
    .language:       OpenCL C
    .language_version:
      - 2
      - 0
    .max_flat_workgroup_size: 128
    .name:           _ZN9rocsparseL18bsrxmvn_4x4_kernelILj128ELj32E21rocsparse_complex_numIdEiiS1_IfES2_S2_EEvT3_20rocsparse_direction_NS_24const_host_device_scalarIT1_EES4_PKS4_PKT2_SD_SA_PKT4_PKT5_S8_PT6_21rocsparse_index_base_b
    .private_segment_fixed_size: 0
    .sgpr_count:     24
    .sgpr_spill_count: 0
    .symbol:         _ZN9rocsparseL18bsrxmvn_4x4_kernelILj128ELj32E21rocsparse_complex_numIdEiiS1_IfES2_S2_EEvT3_20rocsparse_direction_NS_24const_host_device_scalarIT1_EES4_PKS4_PKT2_SD_SA_PKT4_PKT5_S8_PT6_21rocsparse_index_base_b.kd
    .uniform_work_group_size: 1
    .uses_dynamic_stack: false
    .vgpr_count:     83
    .vgpr_spill_count: 0
    .wavefront_size: 64
  - .args:
      - .offset:         0
        .size:           4
        .value_kind:     by_value
      - .offset:         4
        .size:           4
        .value_kind:     by_value
      - .offset:         8
        .size:           16
        .value_kind:     by_value
      - .offset:         24
        .size:           4
        .value_kind:     by_value
      - .actual_access:  read_only
        .address_space:  global
        .offset:         32
        .size:           8
        .value_kind:     global_buffer
      - .actual_access:  read_only
        .address_space:  global
        .offset:         40
        .size:           8
        .value_kind:     global_buffer
      - .actual_access:  read_only
        .address_space:  global
        .offset:         48
        .size:           8
        .value_kind:     global_buffer
      - .actual_access:  read_only
        .address_space:  global
        .offset:         56
        .size:           8
        .value_kind:     global_buffer
      - .actual_access:  read_only
        .address_space:  global
        .offset:         64
        .size:           8
        .value_kind:     global_buffer
      - .actual_access:  read_only
        .address_space:  global
        .offset:         72
        .size:           8
        .value_kind:     global_buffer
      - .offset:         80
        .size:           16
        .value_kind:     by_value
      - .address_space:  global
        .offset:         96
        .size:           8
        .value_kind:     global_buffer
      - .offset:         104
        .size:           4
        .value_kind:     by_value
      - .offset:         108
        .size:           1
        .value_kind:     by_value
    .group_segment_fixed_size: 0
    .kernarg_segment_align: 8
    .kernarg_segment_size: 112
    .language:       OpenCL C
    .language_version:
      - 2
      - 0
    .max_flat_workgroup_size: 128
    .name:           _ZN9rocsparseL18bsrxmvn_4x4_kernelILj128ELj64E21rocsparse_complex_numIdEiiS1_IfES2_S2_EEvT3_20rocsparse_direction_NS_24const_host_device_scalarIT1_EES4_PKS4_PKT2_SD_SA_PKT4_PKT5_S8_PT6_21rocsparse_index_base_b
    .private_segment_fixed_size: 0
    .sgpr_count:     24
    .sgpr_spill_count: 0
    .symbol:         _ZN9rocsparseL18bsrxmvn_4x4_kernelILj128ELj64E21rocsparse_complex_numIdEiiS1_IfES2_S2_EEvT3_20rocsparse_direction_NS_24const_host_device_scalarIT1_EES4_PKS4_PKT2_SD_SA_PKT4_PKT5_S8_PT6_21rocsparse_index_base_b.kd
    .uniform_work_group_size: 1
    .uses_dynamic_stack: false
    .vgpr_count:     85
    .vgpr_spill_count: 0
    .wavefront_size: 64
  - .args:
      - .offset:         0
        .size:           4
        .value_kind:     by_value
      - .offset:         4
        .size:           4
        .value_kind:     by_value
      - .offset:         8
        .size:           16
        .value_kind:     by_value
      - .offset:         24
        .size:           4
        .value_kind:     by_value
      - .actual_access:  read_only
        .address_space:  global
        .offset:         32
        .size:           8
        .value_kind:     global_buffer
      - .actual_access:  read_only
        .address_space:  global
        .offset:         40
        .size:           8
        .value_kind:     global_buffer
      - .actual_access:  read_only
        .address_space:  global
        .offset:         48
        .size:           8
        .value_kind:     global_buffer
      - .actual_access:  read_only
        .address_space:  global
        .offset:         56
        .size:           8
        .value_kind:     global_buffer
      - .actual_access:  read_only
        .address_space:  global
        .offset:         64
        .size:           8
        .value_kind:     global_buffer
      - .actual_access:  read_only
        .address_space:  global
        .offset:         72
        .size:           8
        .value_kind:     global_buffer
      - .offset:         80
        .size:           16
        .value_kind:     by_value
      - .address_space:  global
        .offset:         96
        .size:           8
        .value_kind:     global_buffer
      - .offset:         104
        .size:           4
        .value_kind:     by_value
      - .offset:         108
        .size:           1
        .value_kind:     by_value
    .group_segment_fixed_size: 0
    .kernarg_segment_align: 8
    .kernarg_segment_size: 112
    .language:       OpenCL C
    .language_version:
      - 2
      - 0
    .max_flat_workgroup_size: 128
    .name:           _ZN9rocsparseL18bsrxmvn_4x4_kernelILj128ELj4E21rocsparse_complex_numIdEliS1_IfES2_S2_EEvT3_20rocsparse_direction_NS_24const_host_device_scalarIT1_EES4_PKS4_PKT2_SD_SA_PKT4_PKT5_S8_PT6_21rocsparse_index_base_b
    .private_segment_fixed_size: 0
    .sgpr_count:     22
    .sgpr_spill_count: 0
    .symbol:         _ZN9rocsparseL18bsrxmvn_4x4_kernelILj128ELj4E21rocsparse_complex_numIdEliS1_IfES2_S2_EEvT3_20rocsparse_direction_NS_24const_host_device_scalarIT1_EES4_PKS4_PKT2_SD_SA_PKT4_PKT5_S8_PT6_21rocsparse_index_base_b.kd
    .uniform_work_group_size: 1
    .uses_dynamic_stack: false
    .vgpr_count:     85
    .vgpr_spill_count: 0
    .wavefront_size: 64
  - .args:
      - .offset:         0
        .size:           4
        .value_kind:     by_value
      - .offset:         4
        .size:           4
        .value_kind:     by_value
      - .offset:         8
        .size:           16
        .value_kind:     by_value
      - .offset:         24
        .size:           4
        .value_kind:     by_value
      - .actual_access:  read_only
        .address_space:  global
        .offset:         32
        .size:           8
        .value_kind:     global_buffer
      - .actual_access:  read_only
        .address_space:  global
        .offset:         40
        .size:           8
        .value_kind:     global_buffer
      - .actual_access:  read_only
        .address_space:  global
        .offset:         48
        .size:           8
        .value_kind:     global_buffer
      - .actual_access:  read_only
        .address_space:  global
        .offset:         56
        .size:           8
        .value_kind:     global_buffer
      - .actual_access:  read_only
        .address_space:  global
        .offset:         64
        .size:           8
        .value_kind:     global_buffer
      - .actual_access:  read_only
        .address_space:  global
        .offset:         72
        .size:           8
        .value_kind:     global_buffer
      - .offset:         80
        .size:           16
        .value_kind:     by_value
      - .address_space:  global
        .offset:         96
        .size:           8
        .value_kind:     global_buffer
      - .offset:         104
        .size:           4
        .value_kind:     by_value
      - .offset:         108
        .size:           1
        .value_kind:     by_value
    .group_segment_fixed_size: 0
    .kernarg_segment_align: 8
    .kernarg_segment_size: 112
    .language:       OpenCL C
    .language_version:
      - 2
      - 0
    .max_flat_workgroup_size: 128
    .name:           _ZN9rocsparseL18bsrxmvn_4x4_kernelILj128ELj8E21rocsparse_complex_numIdEliS1_IfES2_S2_EEvT3_20rocsparse_direction_NS_24const_host_device_scalarIT1_EES4_PKS4_PKT2_SD_SA_PKT4_PKT5_S8_PT6_21rocsparse_index_base_b
    .private_segment_fixed_size: 0
    .sgpr_count:     22
    .sgpr_spill_count: 0
    .symbol:         _ZN9rocsparseL18bsrxmvn_4x4_kernelILj128ELj8E21rocsparse_complex_numIdEliS1_IfES2_S2_EEvT3_20rocsparse_direction_NS_24const_host_device_scalarIT1_EES4_PKS4_PKT2_SD_SA_PKT4_PKT5_S8_PT6_21rocsparse_index_base_b.kd
    .uniform_work_group_size: 1
    .uses_dynamic_stack: false
    .vgpr_count:     85
    .vgpr_spill_count: 0
    .wavefront_size: 64
  - .args:
      - .offset:         0
        .size:           4
        .value_kind:     by_value
      - .offset:         4
        .size:           4
        .value_kind:     by_value
      - .offset:         8
        .size:           16
        .value_kind:     by_value
      - .offset:         24
        .size:           4
        .value_kind:     by_value
      - .actual_access:  read_only
        .address_space:  global
        .offset:         32
        .size:           8
        .value_kind:     global_buffer
      - .actual_access:  read_only
        .address_space:  global
        .offset:         40
        .size:           8
        .value_kind:     global_buffer
      - .actual_access:  read_only
        .address_space:  global
        .offset:         48
        .size:           8
        .value_kind:     global_buffer
      - .actual_access:  read_only
        .address_space:  global
        .offset:         56
        .size:           8
        .value_kind:     global_buffer
      - .actual_access:  read_only
        .address_space:  global
        .offset:         64
        .size:           8
        .value_kind:     global_buffer
      - .actual_access:  read_only
        .address_space:  global
        .offset:         72
        .size:           8
        .value_kind:     global_buffer
      - .offset:         80
        .size:           16
        .value_kind:     by_value
      - .address_space:  global
        .offset:         96
        .size:           8
        .value_kind:     global_buffer
      - .offset:         104
        .size:           4
        .value_kind:     by_value
      - .offset:         108
        .size:           1
        .value_kind:     by_value
    .group_segment_fixed_size: 0
    .kernarg_segment_align: 8
    .kernarg_segment_size: 112
    .language:       OpenCL C
    .language_version:
      - 2
      - 0
    .max_flat_workgroup_size: 128
    .name:           _ZN9rocsparseL18bsrxmvn_4x4_kernelILj128ELj16E21rocsparse_complex_numIdEliS1_IfES2_S2_EEvT3_20rocsparse_direction_NS_24const_host_device_scalarIT1_EES4_PKS4_PKT2_SD_SA_PKT4_PKT5_S8_PT6_21rocsparse_index_base_b
    .private_segment_fixed_size: 0
    .sgpr_count:     22
    .sgpr_spill_count: 0
    .symbol:         _ZN9rocsparseL18bsrxmvn_4x4_kernelILj128ELj16E21rocsparse_complex_numIdEliS1_IfES2_S2_EEvT3_20rocsparse_direction_NS_24const_host_device_scalarIT1_EES4_PKS4_PKT2_SD_SA_PKT4_PKT5_S8_PT6_21rocsparse_index_base_b.kd
    .uniform_work_group_size: 1
    .uses_dynamic_stack: false
    .vgpr_count:     85
    .vgpr_spill_count: 0
    .wavefront_size: 64
  - .args:
      - .offset:         0
        .size:           4
        .value_kind:     by_value
      - .offset:         4
        .size:           4
        .value_kind:     by_value
      - .offset:         8
        .size:           16
        .value_kind:     by_value
      - .offset:         24
        .size:           4
        .value_kind:     by_value
      - .actual_access:  read_only
        .address_space:  global
        .offset:         32
        .size:           8
        .value_kind:     global_buffer
      - .actual_access:  read_only
        .address_space:  global
        .offset:         40
        .size:           8
        .value_kind:     global_buffer
      - .actual_access:  read_only
        .address_space:  global
        .offset:         48
        .size:           8
        .value_kind:     global_buffer
      - .actual_access:  read_only
        .address_space:  global
        .offset:         56
        .size:           8
        .value_kind:     global_buffer
      - .actual_access:  read_only
        .address_space:  global
        .offset:         64
        .size:           8
        .value_kind:     global_buffer
      - .actual_access:  read_only
        .address_space:  global
        .offset:         72
        .size:           8
        .value_kind:     global_buffer
      - .offset:         80
        .size:           16
        .value_kind:     by_value
      - .address_space:  global
        .offset:         96
        .size:           8
        .value_kind:     global_buffer
      - .offset:         104
        .size:           4
        .value_kind:     by_value
      - .offset:         108
        .size:           1
        .value_kind:     by_value
    .group_segment_fixed_size: 0
    .kernarg_segment_align: 8
    .kernarg_segment_size: 112
    .language:       OpenCL C
    .language_version:
      - 2
      - 0
    .max_flat_workgroup_size: 128
    .name:           _ZN9rocsparseL18bsrxmvn_4x4_kernelILj128ELj32E21rocsparse_complex_numIdEliS1_IfES2_S2_EEvT3_20rocsparse_direction_NS_24const_host_device_scalarIT1_EES4_PKS4_PKT2_SD_SA_PKT4_PKT5_S8_PT6_21rocsparse_index_base_b
    .private_segment_fixed_size: 0
    .sgpr_count:     24
    .sgpr_spill_count: 0
    .symbol:         _ZN9rocsparseL18bsrxmvn_4x4_kernelILj128ELj32E21rocsparse_complex_numIdEliS1_IfES2_S2_EEvT3_20rocsparse_direction_NS_24const_host_device_scalarIT1_EES4_PKS4_PKT2_SD_SA_PKT4_PKT5_S8_PT6_21rocsparse_index_base_b.kd
    .uniform_work_group_size: 1
    .uses_dynamic_stack: false
    .vgpr_count:     87
    .vgpr_spill_count: 0
    .wavefront_size: 64
  - .args:
      - .offset:         0
        .size:           4
        .value_kind:     by_value
      - .offset:         4
        .size:           4
        .value_kind:     by_value
      - .offset:         8
        .size:           16
        .value_kind:     by_value
      - .offset:         24
        .size:           4
        .value_kind:     by_value
      - .actual_access:  read_only
        .address_space:  global
        .offset:         32
        .size:           8
        .value_kind:     global_buffer
      - .actual_access:  read_only
        .address_space:  global
        .offset:         40
        .size:           8
        .value_kind:     global_buffer
      - .actual_access:  read_only
        .address_space:  global
        .offset:         48
        .size:           8
        .value_kind:     global_buffer
      - .actual_access:  read_only
        .address_space:  global
        .offset:         56
        .size:           8
        .value_kind:     global_buffer
      - .actual_access:  read_only
        .address_space:  global
        .offset:         64
        .size:           8
        .value_kind:     global_buffer
      - .actual_access:  read_only
        .address_space:  global
        .offset:         72
        .size:           8
        .value_kind:     global_buffer
      - .offset:         80
        .size:           16
        .value_kind:     by_value
      - .address_space:  global
        .offset:         96
        .size:           8
        .value_kind:     global_buffer
      - .offset:         104
        .size:           4
        .value_kind:     by_value
      - .offset:         108
        .size:           1
        .value_kind:     by_value
    .group_segment_fixed_size: 0
    .kernarg_segment_align: 8
    .kernarg_segment_size: 112
    .language:       OpenCL C
    .language_version:
      - 2
      - 0
    .max_flat_workgroup_size: 128
    .name:           _ZN9rocsparseL18bsrxmvn_4x4_kernelILj128ELj64E21rocsparse_complex_numIdEliS1_IfES2_S2_EEvT3_20rocsparse_direction_NS_24const_host_device_scalarIT1_EES4_PKS4_PKT2_SD_SA_PKT4_PKT5_S8_PT6_21rocsparse_index_base_b
    .private_segment_fixed_size: 0
    .sgpr_count:     24
    .sgpr_spill_count: 0
    .symbol:         _ZN9rocsparseL18bsrxmvn_4x4_kernelILj128ELj64E21rocsparse_complex_numIdEliS1_IfES2_S2_EEvT3_20rocsparse_direction_NS_24const_host_device_scalarIT1_EES4_PKS4_PKT2_SD_SA_PKT4_PKT5_S8_PT6_21rocsparse_index_base_b.kd
    .uniform_work_group_size: 1
    .uses_dynamic_stack: false
    .vgpr_count:     85
    .vgpr_spill_count: 0
    .wavefront_size: 64
  - .args:
      - .offset:         0
        .size:           8
        .value_kind:     by_value
      - .offset:         8
        .size:           4
        .value_kind:     by_value
      - .offset:         16
        .size:           16
        .value_kind:     by_value
      - .offset:         32
        .size:           8
        .value_kind:     by_value
      - .actual_access:  read_only
        .address_space:  global
        .offset:         40
        .size:           8
        .value_kind:     global_buffer
      - .actual_access:  read_only
        .address_space:  global
        .offset:         48
        .size:           8
        .value_kind:     global_buffer
      - .actual_access:  read_only
        .address_space:  global
        .offset:         56
        .size:           8
        .value_kind:     global_buffer
      - .actual_access:  read_only
        .address_space:  global
        .offset:         64
        .size:           8
        .value_kind:     global_buffer
      - .actual_access:  read_only
        .address_space:  global
        .offset:         72
        .size:           8
        .value_kind:     global_buffer
      - .actual_access:  read_only
        .address_space:  global
        .offset:         80
        .size:           8
        .value_kind:     global_buffer
      - .offset:         88
        .size:           16
        .value_kind:     by_value
      - .address_space:  global
        .offset:         104
        .size:           8
        .value_kind:     global_buffer
      - .offset:         112
        .size:           4
        .value_kind:     by_value
      - .offset:         116
        .size:           1
        .value_kind:     by_value
    .group_segment_fixed_size: 0
    .kernarg_segment_align: 8
    .kernarg_segment_size: 120
    .language:       OpenCL C
    .language_version:
      - 2
      - 0
    .max_flat_workgroup_size: 128
    .name:           _ZN9rocsparseL18bsrxmvn_4x4_kernelILj128ELj4E21rocsparse_complex_numIdEllS1_IfES2_S2_EEvT3_20rocsparse_direction_NS_24const_host_device_scalarIT1_EES4_PKS4_PKT2_SD_SA_PKT4_PKT5_S8_PT6_21rocsparse_index_base_b
    .private_segment_fixed_size: 0
    .sgpr_count:     21
    .sgpr_spill_count: 0
    .symbol:         _ZN9rocsparseL18bsrxmvn_4x4_kernelILj128ELj4E21rocsparse_complex_numIdEllS1_IfES2_S2_EEvT3_20rocsparse_direction_NS_24const_host_device_scalarIT1_EES4_PKS4_PKT2_SD_SA_PKT4_PKT5_S8_PT6_21rocsparse_index_base_b.kd
    .uniform_work_group_size: 1
    .uses_dynamic_stack: false
    .vgpr_count:     88
    .vgpr_spill_count: 0
    .wavefront_size: 64
  - .args:
      - .offset:         0
        .size:           8
        .value_kind:     by_value
      - .offset:         8
        .size:           4
        .value_kind:     by_value
      - .offset:         16
        .size:           16
        .value_kind:     by_value
      - .offset:         32
        .size:           8
        .value_kind:     by_value
      - .actual_access:  read_only
        .address_space:  global
        .offset:         40
        .size:           8
        .value_kind:     global_buffer
      - .actual_access:  read_only
        .address_space:  global
        .offset:         48
        .size:           8
        .value_kind:     global_buffer
      - .actual_access:  read_only
        .address_space:  global
        .offset:         56
        .size:           8
        .value_kind:     global_buffer
      - .actual_access:  read_only
        .address_space:  global
        .offset:         64
        .size:           8
        .value_kind:     global_buffer
      - .actual_access:  read_only
        .address_space:  global
        .offset:         72
        .size:           8
        .value_kind:     global_buffer
      - .actual_access:  read_only
        .address_space:  global
        .offset:         80
        .size:           8
        .value_kind:     global_buffer
      - .offset:         88
        .size:           16
        .value_kind:     by_value
      - .address_space:  global
        .offset:         104
        .size:           8
        .value_kind:     global_buffer
      - .offset:         112
        .size:           4
        .value_kind:     by_value
      - .offset:         116
        .size:           1
        .value_kind:     by_value
    .group_segment_fixed_size: 0
    .kernarg_segment_align: 8
    .kernarg_segment_size: 120
    .language:       OpenCL C
    .language_version:
      - 2
      - 0
    .max_flat_workgroup_size: 128
    .name:           _ZN9rocsparseL18bsrxmvn_4x4_kernelILj128ELj8E21rocsparse_complex_numIdEllS1_IfES2_S2_EEvT3_20rocsparse_direction_NS_24const_host_device_scalarIT1_EES4_PKS4_PKT2_SD_SA_PKT4_PKT5_S8_PT6_21rocsparse_index_base_b
    .private_segment_fixed_size: 0
    .sgpr_count:     21
    .sgpr_spill_count: 0
    .symbol:         _ZN9rocsparseL18bsrxmvn_4x4_kernelILj128ELj8E21rocsparse_complex_numIdEllS1_IfES2_S2_EEvT3_20rocsparse_direction_NS_24const_host_device_scalarIT1_EES4_PKS4_PKT2_SD_SA_PKT4_PKT5_S8_PT6_21rocsparse_index_base_b.kd
    .uniform_work_group_size: 1
    .uses_dynamic_stack: false
    .vgpr_count:     88
    .vgpr_spill_count: 0
    .wavefront_size: 64
  - .args:
      - .offset:         0
        .size:           8
        .value_kind:     by_value
      - .offset:         8
        .size:           4
        .value_kind:     by_value
      - .offset:         16
        .size:           16
        .value_kind:     by_value
      - .offset:         32
        .size:           8
        .value_kind:     by_value
      - .actual_access:  read_only
        .address_space:  global
        .offset:         40
        .size:           8
        .value_kind:     global_buffer
      - .actual_access:  read_only
        .address_space:  global
        .offset:         48
        .size:           8
        .value_kind:     global_buffer
      - .actual_access:  read_only
        .address_space:  global
        .offset:         56
        .size:           8
        .value_kind:     global_buffer
      - .actual_access:  read_only
        .address_space:  global
        .offset:         64
        .size:           8
        .value_kind:     global_buffer
      - .actual_access:  read_only
        .address_space:  global
        .offset:         72
        .size:           8
        .value_kind:     global_buffer
      - .actual_access:  read_only
        .address_space:  global
        .offset:         80
        .size:           8
        .value_kind:     global_buffer
      - .offset:         88
        .size:           16
        .value_kind:     by_value
      - .address_space:  global
        .offset:         104
        .size:           8
        .value_kind:     global_buffer
      - .offset:         112
        .size:           4
        .value_kind:     by_value
      - .offset:         116
        .size:           1
        .value_kind:     by_value
    .group_segment_fixed_size: 0
    .kernarg_segment_align: 8
    .kernarg_segment_size: 120
    .language:       OpenCL C
    .language_version:
      - 2
      - 0
    .max_flat_workgroup_size: 128
    .name:           _ZN9rocsparseL18bsrxmvn_4x4_kernelILj128ELj16E21rocsparse_complex_numIdEllS1_IfES2_S2_EEvT3_20rocsparse_direction_NS_24const_host_device_scalarIT1_EES4_PKS4_PKT2_SD_SA_PKT4_PKT5_S8_PT6_21rocsparse_index_base_b
    .private_segment_fixed_size: 0
    .sgpr_count:     21
    .sgpr_spill_count: 0
    .symbol:         _ZN9rocsparseL18bsrxmvn_4x4_kernelILj128ELj16E21rocsparse_complex_numIdEllS1_IfES2_S2_EEvT3_20rocsparse_direction_NS_24const_host_device_scalarIT1_EES4_PKS4_PKT2_SD_SA_PKT4_PKT5_S8_PT6_21rocsparse_index_base_b.kd
    .uniform_work_group_size: 1
    .uses_dynamic_stack: false
    .vgpr_count:     90
    .vgpr_spill_count: 0
    .wavefront_size: 64
  - .args:
      - .offset:         0
        .size:           8
        .value_kind:     by_value
      - .offset:         8
        .size:           4
        .value_kind:     by_value
      - .offset:         16
        .size:           16
        .value_kind:     by_value
      - .offset:         32
        .size:           8
        .value_kind:     by_value
      - .actual_access:  read_only
        .address_space:  global
        .offset:         40
        .size:           8
        .value_kind:     global_buffer
      - .actual_access:  read_only
        .address_space:  global
        .offset:         48
        .size:           8
        .value_kind:     global_buffer
      - .actual_access:  read_only
        .address_space:  global
        .offset:         56
        .size:           8
        .value_kind:     global_buffer
      - .actual_access:  read_only
        .address_space:  global
        .offset:         64
        .size:           8
        .value_kind:     global_buffer
      - .actual_access:  read_only
        .address_space:  global
        .offset:         72
        .size:           8
        .value_kind:     global_buffer
      - .actual_access:  read_only
        .address_space:  global
        .offset:         80
        .size:           8
        .value_kind:     global_buffer
      - .offset:         88
        .size:           16
        .value_kind:     by_value
      - .address_space:  global
        .offset:         104
        .size:           8
        .value_kind:     global_buffer
      - .offset:         112
        .size:           4
        .value_kind:     by_value
      - .offset:         116
        .size:           1
        .value_kind:     by_value
    .group_segment_fixed_size: 0
    .kernarg_segment_align: 8
    .kernarg_segment_size: 120
    .language:       OpenCL C
    .language_version:
      - 2
      - 0
    .max_flat_workgroup_size: 128
    .name:           _ZN9rocsparseL18bsrxmvn_4x4_kernelILj128ELj32E21rocsparse_complex_numIdEllS1_IfES2_S2_EEvT3_20rocsparse_direction_NS_24const_host_device_scalarIT1_EES4_PKS4_PKT2_SD_SA_PKT4_PKT5_S8_PT6_21rocsparse_index_base_b
    .private_segment_fixed_size: 0
    .sgpr_count:     23
    .sgpr_spill_count: 0
    .symbol:         _ZN9rocsparseL18bsrxmvn_4x4_kernelILj128ELj32E21rocsparse_complex_numIdEllS1_IfES2_S2_EEvT3_20rocsparse_direction_NS_24const_host_device_scalarIT1_EES4_PKS4_PKT2_SD_SA_PKT4_PKT5_S8_PT6_21rocsparse_index_base_b.kd
    .uniform_work_group_size: 1
    .uses_dynamic_stack: false
    .vgpr_count:     88
    .vgpr_spill_count: 0
    .wavefront_size: 64
  - .args:
      - .offset:         0
        .size:           8
        .value_kind:     by_value
      - .offset:         8
        .size:           4
        .value_kind:     by_value
      - .offset:         16
        .size:           16
        .value_kind:     by_value
      - .offset:         32
        .size:           8
        .value_kind:     by_value
      - .actual_access:  read_only
        .address_space:  global
        .offset:         40
        .size:           8
        .value_kind:     global_buffer
      - .actual_access:  read_only
        .address_space:  global
        .offset:         48
        .size:           8
        .value_kind:     global_buffer
      - .actual_access:  read_only
        .address_space:  global
        .offset:         56
        .size:           8
        .value_kind:     global_buffer
      - .actual_access:  read_only
        .address_space:  global
        .offset:         64
        .size:           8
        .value_kind:     global_buffer
      - .actual_access:  read_only
        .address_space:  global
        .offset:         72
        .size:           8
        .value_kind:     global_buffer
      - .actual_access:  read_only
        .address_space:  global
        .offset:         80
        .size:           8
        .value_kind:     global_buffer
      - .offset:         88
        .size:           16
        .value_kind:     by_value
      - .address_space:  global
        .offset:         104
        .size:           8
        .value_kind:     global_buffer
      - .offset:         112
        .size:           4
        .value_kind:     by_value
      - .offset:         116
        .size:           1
        .value_kind:     by_value
    .group_segment_fixed_size: 0
    .kernarg_segment_align: 8
    .kernarg_segment_size: 120
    .language:       OpenCL C
    .language_version:
      - 2
      - 0
    .max_flat_workgroup_size: 128
    .name:           _ZN9rocsparseL18bsrxmvn_4x4_kernelILj128ELj64E21rocsparse_complex_numIdEllS1_IfES2_S2_EEvT3_20rocsparse_direction_NS_24const_host_device_scalarIT1_EES4_PKS4_PKT2_SD_SA_PKT4_PKT5_S8_PT6_21rocsparse_index_base_b
    .private_segment_fixed_size: 0
    .sgpr_count:     23
    .sgpr_spill_count: 0
    .symbol:         _ZN9rocsparseL18bsrxmvn_4x4_kernelILj128ELj64E21rocsparse_complex_numIdEllS1_IfES2_S2_EEvT3_20rocsparse_direction_NS_24const_host_device_scalarIT1_EES4_PKS4_PKT2_SD_SA_PKT4_PKT5_S8_PT6_21rocsparse_index_base_b.kd
    .uniform_work_group_size: 1
    .uses_dynamic_stack: false
    .vgpr_count:     88
    .vgpr_spill_count: 0
    .wavefront_size: 64
amdhsa.target:   amdgcn-amd-amdhsa--gfx906
amdhsa.version:
  - 1
  - 2
...

	.end_amdgpu_metadata
